;; amdgpu-corpus repo=ROCm/rocBLAS kind=compiled arch=gfx906 opt=O3
	.amdgcn_target "amdgcn-amd-amdhsa--gfx906"
	.amdhsa_code_object_version 6
	.section	.text._ZL26rocblas_hemvn_kernel_upperILb1ELi64ELi4ELi33ELi32ELi16ElPK19rocblas_complex_numIfES3_PS1_EviT6_lT7_lT5_lS6_lS7_lS5_lT8_i,"axG",@progbits,_ZL26rocblas_hemvn_kernel_upperILb1ELi64ELi4ELi33ELi32ELi16ElPK19rocblas_complex_numIfES3_PS1_EviT6_lT7_lT5_lS6_lS7_lS5_lT8_i,comdat
	.globl	_ZL26rocblas_hemvn_kernel_upperILb1ELi64ELi4ELi33ELi32ELi16ElPK19rocblas_complex_numIfES3_PS1_EviT6_lT7_lT5_lS6_lS7_lS5_lT8_i ; -- Begin function _ZL26rocblas_hemvn_kernel_upperILb1ELi64ELi4ELi33ELi32ELi16ElPK19rocblas_complex_numIfES3_PS1_EviT6_lT7_lT5_lS6_lS7_lS5_lT8_i
	.p2align	8
	.type	_ZL26rocblas_hemvn_kernel_upperILb1ELi64ELi4ELi33ELi32ELi16ElPK19rocblas_complex_numIfES3_PS1_EviT6_lT7_lT5_lS6_lS7_lS5_lT8_i,@function
_ZL26rocblas_hemvn_kernel_upperILb1ELi64ELi4ELi33ELi32ELi16ElPK19rocblas_complex_numIfES3_PS1_EviT6_lT7_lT5_lS6_lS7_lS5_lT8_i: ; @_ZL26rocblas_hemvn_kernel_upperILb1ELi64ELi4ELi33ELi32ELi16ElPK19rocblas_complex_numIfES3_PS1_EviT6_lT7_lT5_lS6_lS7_lS5_lT8_i
; %bb.0:
	s_load_dwordx2 s[2:3], s[4:5], 0x84
	s_add_u32 s0, s4, 0x78
	s_addc_u32 s1, s5, 0
	s_waitcnt lgkmcnt(0)
	s_lshr_b32 s8, s2, 16
	s_and_b32 s2, s2, 0xffff
	s_and_b32 s3, s3, 0xffff
	s_mul_i32 s2, s8, s2
	s_mul_i32 s2, s2, s3
	s_cmpk_lg_i32 s2, 0x100
	s_cbranch_scc1 .LBB0_202
; %bb.1:
	s_load_dwordx16 s[8:23], s[4:5], 0x8
	s_waitcnt lgkmcnt(0)
	s_mul_i32 s3, s11, s7
	s_mul_hi_u32 s11, s10, s7
	s_mul_i32 s2, s10, s7
	s_add_i32 s3, s11, s3
	s_lshl_b64 s[2:3], s[2:3], 3
	s_add_u32 s2, s8, s2
	s_addc_u32 s3, s9, s3
	s_load_dwordx2 s[8:9], s[2:3], 0x0
	s_load_dwordx2 s[34:35], s[4:5], 0x68
	s_load_dwordx8 s[24:31], s[4:5], 0x48
	s_waitcnt lgkmcnt(0)
	s_or_b32 s2, s8, s9
	s_bitset0_b32 s2, 31
	s_cmp_lg_u32 s2, 0
	s_cselect_b64 s[2:3], -1, 0
	s_mov_b64 s[8:9], -1
	s_and_b64 vcc, exec, s[2:3]
	s_cbranch_vccnz .LBB0_3
; %bb.2:
	s_mul_i32 s8, s31, s7
	s_mul_hi_u32 s9, s30, s7
	s_add_i32 s9, s9, s8
	s_mul_i32 s8, s30, s7
	s_lshl_b64 s[8:9], s[8:9], 3
	s_add_u32 s8, s28, s8
	s_addc_u32 s9, s29, s9
	s_load_dwordx2 s[10:11], s[8:9], 0x0
	s_waitcnt lgkmcnt(0)
	v_cmp_neq_f32_e64 s[8:9], s10, 1.0
	v_cmp_neq_f32_e64 s[10:11], s11, 0
	s_or_b64 s[8:9], s[8:9], s[10:11]
.LBB0_3:
	s_andn2_b64 vcc, exec, s[8:9]
	s_cbranch_vccnz .LBB0_202
; %bb.4:
	s_andn2_b64 vcc, exec, s[2:3]
	s_cbranch_vccnz .LBB0_202
; %bb.5:
	s_load_dword s33, s[0:1], 0x0
	s_load_dword s37, s[4:5], 0x0
	s_mul_i32 s0, s27, s7
	s_mul_hi_u32 s1, s26, s7
	s_add_i32 s1, s1, s0
	s_mul_i32 s0, s26, s7
	s_lshl_b64 s[0:1], s[0:1], 3
	s_add_u32 s2, s20, s0
	s_addc_u32 s3, s21, s1
	s_lshl_b64 s[0:1], s[22:23], 3
	s_add_u32 s2, s2, s0
	s_addc_u32 s3, s3, s1
	s_lshl_b32 s22, s6, 6
	s_waitcnt lgkmcnt(0)
	s_ashr_i32 s38, s37, 31
	s_lshr_b32 s0, s38, 26
	v_add_u32_e32 v50, s22, v0
	s_add_i32 s0, s37, s0
	v_ashrrev_i32_e32 v51, 31, v50
	s_and_b32 s5, s0, 0xffffffc0
	v_mul_lo_u32 v4, s24, v51
	v_mul_lo_u32 v5, s25, v50
	v_mad_u64_u32 v[2:3], s[0:1], s24, v50, 0
	s_add_i32 s4, s33, -1
	s_sub_i32 s36, s37, s5
	v_add3_u32 v3, v3, v4, v5
	v_lshlrev_b64 v[2:3], 3, v[2:3]
	s_cmp_eq_u32 s6, s4
	v_mov_b32_e32 v4, s3
	v_add_co_u32_e32 v14, vcc, s2, v2
	s_cselect_b32 s20, s36, 0
	v_addc_co_u32_e32 v15, vcc, v4, v3, vcc
	v_cmp_eq_u32_e64 s[0:1], 0, v1
	s_and_saveexec_b64 s[2:3], s[0:1]
	s_cbranch_execz .LBB0_10
; %bb.6:
	s_cmp_lg_u32 s20, 0
	s_cselect_b64 s[4:5], -1, 0
	v_cmp_le_i32_e32 vcc, s20, v0
	v_mov_b32_e32 v2, 0x2380
	s_and_b64 s[4:5], s[4:5], vcc
	v_lshl_add_u32 v2, v0, 3, v2
	s_and_saveexec_b64 s[8:9], s[4:5]
	s_xor_b64 s[4:5], exec, s[8:9]
; %bb.7:
	v_mov_b32_e32 v3, 0
	v_mov_b32_e32 v4, v3
	ds_write_b64 v2, v[3:4]
                                        ; implicit-def: $vgpr2
; %bb.8:
	s_andn2_saveexec_b64 s[4:5], s[4:5]
	s_cbranch_execz .LBB0_10
; %bb.9:
	global_load_dwordx2 v[3:4], v[14:15], off
	s_waitcnt vmcnt(0)
	ds_write_b64 v2, v[3:4]
.LBB0_10:
	s_or_b64 exec, exec, s[2:3]
	v_lshl_add_u32 v24, v1, 6, v0
	s_mul_i32 s2, s19, s7
	s_mul_hi_u32 s3, s18, s7
	v_and_b32_e32 v2, 31, v0
	v_lshrrev_b32_e32 v9, 5, v24
	s_add_i32 s3, s3, s2
	s_mul_i32 s2, s18, s7
	v_mov_b32_e32 v3, 0
	s_lshl_b64 s[2:3], s[2:3], 3
	v_mad_u64_u32 v[3:4], s[4:5], s16, v9, v[2:3]
	s_add_u32 s8, s12, s2
	s_addc_u32 s9, s13, s3
	s_lshl_b64 s[2:3], s[14:15], 3
	s_add_u32 s4, s8, s2
	s_addc_u32 s5, s9, s3
	v_mad_u64_u32 v[4:5], s[2:3], s17, v9, v[4:5]
	s_ashr_i32 s23, s22, 31
	s_lshl_b64 s[2:3], s[22:23], 3
	s_add_u32 s2, s4, s2
	v_lshlrev_b64 v[16:17], 3, v[3:4]
	s_addc_u32 s3, s5, s3
	v_mov_b32_e32 v3, s3
	v_add_co_u32_e32 v4, vcc, s2, v16
	s_mul_hi_u32 s2, s16, s22
	s_mul_i32 s3, s16, s23
	s_add_i32 s2, s2, s3
	s_mul_i32 s3, s17, s22
	s_add_i32 s3, s2, s3
	s_mul_i32 s2, s16, s22
	s_lshl_b64 s[2:3], s[2:3], 3
	v_addc_co_u32_e32 v3, vcc, v3, v17, vcc
	s_cmp_eq_u32 s20, 0
	v_mov_b32_e32 v6, s3
	v_add_co_u32_e32 v5, vcc, s2, v4
	s_cselect_b64 s[18:19], -1, 0
	s_cmp_lg_u32 s20, 0
	v_addc_co_u32_e32 v6, vcc, v3, v6, vcc
	s_cselect_b64 s[26:27], -1, 0
	s_and_b64 vcc, exec, s[26:27]
	v_cmp_gt_i32_e64 s[2:3], s20, v2
	v_lshlrev_b32_e32 v11, 3, v2
	v_lshlrev_b32_e32 v10, 3, v2
	s_cbranch_vccz .LBB0_28
; %bb.11:
	v_sub_co_u32_e32 v3, vcc, v5, v11
	s_ashr_i32 s21, s20, 31
	v_subbrev_co_u32_e32 v4, vcc, 0, v6, vcc
	s_lshl_b64 s[4:5], s[20:21], 3
	v_mov_b32_e32 v7, s5
	v_add_co_u32_e32 v3, vcc, s4, v3
	v_addc_co_u32_e32 v4, vcc, v4, v7, vcc
	v_add_co_u32_e32 v3, vcc, -8, v3
	v_addc_co_u32_e32 v4, vcc, -1, v4, vcc
	v_mul_u32_u24_e32 v7, 0x108, v9
	v_cndmask_b32_e64 v4, v4, v6, s[2:3]
	v_cndmask_b32_e64 v3, v3, v5, s[2:3]
	v_cmp_le_i32_e32 vcc, s20, v9
	v_add_u32_e32 v7, v10, v7
	s_and_saveexec_b64 s[8:9], vcc
	s_xor_b64 s[8:9], exec, s[8:9]
; %bb.12:
	v_mov_b32_e32 v12, 0
	v_mov_b32_e32 v13, v12
	ds_write_b64 v7, v[12:13]
; %bb.13:
	s_andn2_saveexec_b64 s[8:9], s[8:9]
	s_cbranch_execz .LBB0_15
; %bb.14:
	global_load_dwordx2 v[12:13], v[3:4], off
	s_waitcnt vmcnt(0)
	ds_write_b64 v7, v[12:13]
.LBB0_15:
	s_or_b64 exec, exec, s[8:9]
	v_add_u32_e32 v8, 8, v9
	v_cmp_le_i32_e32 vcc, s20, v8
	s_and_saveexec_b64 s[8:9], vcc
	s_xor_b64 s[8:9], exec, s[8:9]
; %bb.16:
	v_mov_b32_e32 v12, 0
	v_mov_b32_e32 v13, v12
	ds_write_b64 v7, v[12:13] offset:2112
; %bb.17:
	s_andn2_saveexec_b64 s[8:9], s[8:9]
	s_cbranch_execz .LBB0_19
; %bb.18:
	s_lshl_b64 s[10:11], s[16:17], 6
	v_mov_b32_e32 v8, s11
	v_add_co_u32_e32 v12, vcc, s10, v3
	v_addc_co_u32_e32 v13, vcc, v4, v8, vcc
	global_load_dwordx2 v[12:13], v[12:13], off
	s_waitcnt vmcnt(0)
	ds_write_b64 v7, v[12:13] offset:2112
.LBB0_19:
	s_or_b64 exec, exec, s[8:9]
	v_add_u32_e32 v8, 16, v9
	v_cmp_le_i32_e32 vcc, s20, v8
	s_and_saveexec_b64 s[8:9], vcc
	s_xor_b64 s[8:9], exec, s[8:9]
; %bb.20:
	v_mov_b32_e32 v12, 0
	v_mov_b32_e32 v13, v12
	ds_write_b64 v7, v[12:13] offset:4224
; %bb.21:
	s_andn2_saveexec_b64 s[8:9], s[8:9]
	s_cbranch_execz .LBB0_23
; %bb.22:
	s_lshl_b64 s[10:11], s[16:17], 7
	v_mov_b32_e32 v8, s11
	v_add_co_u32_e32 v12, vcc, s10, v3
	v_addc_co_u32_e32 v13, vcc, v4, v8, vcc
	global_load_dwordx2 v[12:13], v[12:13], off
	s_waitcnt vmcnt(0)
	ds_write_b64 v7, v[12:13] offset:4224
.LBB0_23:
	s_or_b64 exec, exec, s[8:9]
	v_add_u32_e32 v8, 24, v9
	v_cmp_le_i32_e32 vcc, s20, v8
	s_and_saveexec_b64 s[8:9], vcc
	s_xor_b64 s[8:9], exec, s[8:9]
; %bb.24:
	v_mov_b32_e32 v12, 0
	v_mov_b32_e32 v13, v12
	ds_write_b64 v7, v[12:13] offset:6336
                                        ; implicit-def: $vgpr7
; %bb.25:
	s_andn2_saveexec_b64 s[8:9], s[8:9]
	s_cbranch_execz .LBB0_27
; %bb.26:
	v_mov_b32_e32 v8, 0xc0
	v_mad_u64_u32 v[12:13], s[10:11], s16, v8, v[3:4]
	s_mul_i32 s10, s17, 0xc0
	v_add_u32_e32 v13, s10, v13
	global_load_dwordx2 v[12:13], v[12:13], off
	s_waitcnt vmcnt(0)
	ds_write_b64 v7, v[12:13] offset:6336
.LBB0_27:
	s_or_b64 exec, exec, s[8:9]
	v_add_co_u32_e32 v3, vcc, v3, v11
	v_addc_co_u32_e32 v4, vcc, 0, v4, vcc
	v_mov_b32_e32 v7, s5
	v_subrev_co_u32_e32 v3, vcc, s4, v3
	v_subb_co_u32_e32 v4, vcc, v4, v7, vcc
	v_add_co_u32_e32 v3, vcc, 8, v3
	v_addc_co_u32_e32 v4, vcc, 0, v4, vcc
	v_cndmask_b32_e64 v4, v4, v6, s[2:3]
	v_cndmask_b32_e64 v3, v3, v5, s[2:3]
	s_branch .LBB0_30
.LBB0_28:
                                        ; implicit-def: $vgpr3_vgpr4
	s_cbranch_execz .LBB0_30
; %bb.29:
	s_lshl_b64 s[2:3], s[16:17], 6
	v_mov_b32_e32 v13, s3
	v_add_co_u32_e32 v3, vcc, s2, v5
	v_addc_co_u32_e32 v4, vcc, v6, v13, vcc
	v_add_co_u32_e32 v7, vcc, s2, v3
	v_addc_co_u32_e32 v8, vcc, v4, v13, vcc
	;; [unrolled: 2-line block ×3, first 2 shown]
	global_load_dwordx2 v[18:19], v[5:6], off
	global_load_dwordx2 v[20:21], v[3:4], off
	;; [unrolled: 1-line block ×4, first 2 shown]
	v_mul_u32_u24_e32 v3, 0x108, v9
	v_lshl_add_u32 v3, v2, 3, v3
	s_waitcnt vmcnt(3)
	ds_write_b64 v3, v[18:19]
	s_waitcnt vmcnt(2)
	ds_write_b64 v3, v[20:21] offset:2112
	s_waitcnt vmcnt(1)
	ds_write_b64 v3, v[22:23] offset:4224
	;; [unrolled: 2-line block ×3, first 2 shown]
	v_mov_b32_e32 v3, v5
	v_mov_b32_e32 v4, v6
.LBB0_30:
	v_lshlrev_b32_e32 v13, 2, v9
	v_mul_u32_u24_e32 v12, 0x108, v2
	v_cmp_le_u32_e64 s[4:5], v13, v2
	s_mov_b64 s[2:3], 0
	s_waitcnt lgkmcnt(0)
	s_barrier
                                        ; implicit-def: $vgpr6
	s_and_saveexec_b64 s[8:9], s[4:5]
	s_xor_b64 s[8:9], exec, s[8:9]
	s_cbranch_execz .LBB0_34
; %bb.31:
	v_cmp_eq_u32_e32 vcc, v13, v2
                                        ; implicit-def: $vgpr6
	s_and_saveexec_b64 s[10:11], vcc
	s_xor_b64 s[10:11], exec, s[10:11]
; %bb.32:
	s_mov_b64 s[2:3], exec
	v_add_u32_e32 v6, v10, v12
; %bb.33:
	s_or_b64 exec, exec, s[10:11]
	s_and_b64 s[2:3], s[2:3], exec
.LBB0_34:
	s_or_saveexec_b64 s[8:9], s[8:9]
	v_lshl_or_b32 v5, v2, 8, v10
	v_mov_b32_e32 v7, 0
	v_lshl_add_u32 v5, v13, 3, v5
	s_xor_b64 exec, exec, s[8:9]
	s_cbranch_execz .LBB0_36
; %bb.35:
	s_movk_i32 s10, 0x420
	v_mad_u32_u24 v6, v9, s10, v10
	ds_read_b64 v[6:7], v6
	s_or_b64 s[2:3], s[2:3], exec
	s_waitcnt lgkmcnt(0)
	v_xor_b32_e32 v7, 0x80000000, v7
	ds_write_b32 v5, v6
	v_mov_b32_e32 v6, v5
.LBB0_36:
	s_or_b64 exec, exec, s[8:9]
	s_and_saveexec_b64 s[8:9], s[2:3]
; %bb.37:
	ds_write_b32 v6, v7 offset:4
; %bb.38:
	s_or_b64 exec, exec, s[8:9]
	v_or_b32_e32 v18, 1, v13
	v_cmp_ge_u32_e64 s[14:15], v13, v2
	s_mov_b64 s[2:3], 0
                                        ; implicit-def: $vgpr7
                                        ; implicit-def: $vgpr6
	s_and_saveexec_b64 s[8:9], s[14:15]
	s_xor_b64 s[8:9], exec, s[8:9]
	s_cbranch_execnz .LBB0_70
; %bb.39:
	s_andn2_saveexec_b64 s[8:9], s[8:9]
	s_cbranch_execnz .LBB0_71
.LBB0_40:
	s_or_b64 exec, exec, s[8:9]
	s_and_saveexec_b64 s[8:9], s[2:3]
.LBB0_41:
	ds_write_b32 v6, v7 offset:4
.LBB0_42:
	s_or_b64 exec, exec, s[8:9]
	v_or_b32_e32 v19, 2, v13
	v_cmp_le_u32_e64 s[8:9], v19, v2
	s_mov_b64 s[2:3], 0
                                        ; implicit-def: $vgpr6
	s_and_saveexec_b64 s[10:11], s[8:9]
	s_xor_b64 s[10:11], exec, s[10:11]
	s_cbranch_execnz .LBB0_74
; %bb.43:
	s_or_saveexec_b64 s[10:11], s[10:11]
	v_mov_b32_e32 v7, 0
	s_xor_b64 exec, exec, s[10:11]
	s_cbranch_execnz .LBB0_77
.LBB0_44:
	s_or_b64 exec, exec, s[10:11]
	s_and_saveexec_b64 s[10:11], s[2:3]
.LBB0_45:
	ds_write_b32 v6, v7 offset:4
.LBB0_46:
	s_or_b64 exec, exec, s[10:11]
	v_or_b32_e32 v21, 3, v13
	v_cmp_le_u32_e64 s[10:11], v21, v2
	s_mov_b64 s[2:3], 0
                                        ; implicit-def: $vgpr6
	s_and_saveexec_b64 s[12:13], s[10:11]
	s_xor_b64 s[12:13], exec, s[12:13]
	s_cbranch_execnz .LBB0_78
; %bb.47:
	s_or_saveexec_b64 s[12:13], s[12:13]
	v_mov_b32_e32 v7, 0
	s_xor_b64 exec, exec, s[12:13]
	s_cbranch_execnz .LBB0_81
.LBB0_48:
	s_or_b64 exec, exec, s[12:13]
	s_and_saveexec_b64 s[12:13], s[2:3]
.LBB0_49:
	ds_write_b32 v6, v7 offset:4
.LBB0_50:
	s_or_b64 exec, exec, s[12:13]
	s_movk_i32 s2, 0x420
	v_mad_u32_u24 v5, v9, s2, v10
	s_movk_i32 s2, 0x108
	s_waitcnt lgkmcnt(0)
	s_barrier
	v_lshlrev_b32_e32 v22, 3, v13
	ds_read_b64 v[33:34], v5
	ds_read_b128 v[5:8], v22 offset:9088
	ds_read_b128 v[25:28], v22 offset:9104
	v_mad_u32_u24 v23, v18, s2, v10
	ds_read2_b64 v[29:32], v23 offset1:33
	v_mov_b32_e32 v52, 0
	s_waitcnt lgkmcnt(2)
	v_mul_f32_e32 v20, v6, v34
	v_fma_f32 v20, v5, v33, -v20
	v_mul_f32_e32 v5, v5, v34
	v_fmac_f32_e32 v5, v6, v33
	v_add_f32_e32 v6, 0, v20
	s_waitcnt lgkmcnt(0)
	v_mul_f32_e32 v20, v8, v30
	v_fma_f32 v20, v7, v29, -v20
	v_mul_f32_e32 v7, v7, v30
	v_add_f32_e32 v5, 0, v5
	v_fmac_f32_e32 v7, v8, v29
	v_add_f32_e32 v8, v6, v20
	v_add_f32_e32 v7, v5, v7
	ds_read_b64 v[5:6], v23 offset:528
	v_mul_f32_e32 v20, v26, v32
	v_fma_f32 v20, v25, v31, -v20
	v_mul_f32_e32 v23, v25, v32
	v_fmac_f32_e32 v23, v26, v31
	v_add_f32_e32 v8, v8, v20
	s_waitcnt lgkmcnt(0)
	v_mul_f32_e32 v20, v28, v6
	v_mul_f32_e32 v6, v27, v6
	v_add_f32_e32 v7, v7, v23
	v_fmac_f32_e32 v6, v28, v5
	v_add_f32_e32 v6, v7, v6
	v_mul_u32_u24_e32 v7, 33, v2
	v_fma_f32 v20, v27, v5, -v20
	v_lshlrev_b32_e32 v25, 3, v7
	v_add_f32_e32 v5, v8, v20
	v_lshl_add_u32 v26, v9, 3, v25
	v_cmp_gt_u32_e64 s[2:3], 32, v24
	v_mov_b32_e32 v53, 0
	s_barrier
	ds_write_b64 v26, v[5:6]
	s_waitcnt lgkmcnt(0)
	s_barrier
	s_and_saveexec_b64 s[12:13], s[2:3]
	s_cbranch_execz .LBB0_52
; %bb.51:
	ds_read2_b64 v[5:8], v25 offset1:7
	ds_read2_b64 v[27:30], v25 offset0:1 offset1:2
	ds_read2_b64 v[31:34], v25 offset0:3 offset1:4
	s_waitcnt lgkmcnt(1)
	v_add_f32_e32 v5, v27, v5
	v_add_f32_e32 v6, v28, v6
	;; [unrolled: 1-line block ×4, first 2 shown]
	ds_read2_b64 v[27:30], v25 offset0:5 offset1:6
	s_waitcnt lgkmcnt(1)
	v_add_f32_e32 v5, v5, v31
	v_add_f32_e32 v6, v6, v32
	;; [unrolled: 1-line block ×4, first 2 shown]
	s_waitcnt lgkmcnt(0)
	v_add_f32_e32 v5, v5, v27
	v_add_f32_e32 v6, v6, v28
	;; [unrolled: 1-line block ×6, first 2 shown]
.LBB0_52:
	s_or_b64 exec, exec, s[12:13]
	s_lshl_b64 s[12:13], s[16:17], 8
	v_mov_b32_e32 v5, s13
	v_add_co_u32_e32 v7, vcc, s12, v3
	v_addc_co_u32_e32 v8, vcc, v4, v5, vcc
	v_add_co_u32_e32 v5, vcc, 0x100, v7
	v_addc_co_u32_e32 v6, vcc, 0, v8, vcc
	s_and_b64 vcc, exec, s[26:27]
	s_barrier
	s_cbranch_vccz .LBB0_82
; %bb.53:
	v_sub_co_u32_e32 v4, vcc, v7, v11
	s_ashr_i32 s21, s20, 31
	v_subbrev_co_u32_e32 v20, vcc, 0, v8, vcc
	s_lshl_b64 s[28:29], s[20:21], 3
	v_mov_b32_e32 v23, s29
	v_add_co_u32_e32 v4, vcc, s28, v4
	v_addc_co_u32_e32 v20, vcc, v20, v23, vcc
	v_or_b32_e32 v3, 32, v2
	v_add_co_u32_e32 v23, vcc, -8, v4
	v_addc_co_u32_e32 v4, vcc, -1, v20, vcc
	v_cmp_gt_i32_e64 s[12:13], s20, v3
	s_sub_i32 s21, s20, 32
	v_mul_u32_u24_e32 v20, 0x108, v9
	v_cndmask_b32_e64 v4, v4, v6, s[12:13]
	v_cndmask_b32_e64 v3, v23, v5, s[12:13]
	v_cmp_le_i32_e32 vcc, s21, v9
	v_add_u32_e32 v20, v10, v20
	s_and_saveexec_b64 s[30:31], vcc
	s_xor_b64 s[30:31], exec, s[30:31]
; %bb.54:
	v_mov_b32_e32 v27, 0
	v_mov_b32_e32 v28, v27
	ds_write_b64 v20, v[27:28]
; %bb.55:
	s_andn2_saveexec_b64 s[30:31], s[30:31]
	s_cbranch_execz .LBB0_57
; %bb.56:
	global_load_dwordx2 v[27:28], v[3:4], off
	s_waitcnt vmcnt(0)
	ds_write_b64 v20, v[27:28]
.LBB0_57:
	s_or_b64 exec, exec, s[30:31]
	v_add_u32_e32 v23, 8, v9
	v_cmp_le_i32_e32 vcc, s21, v23
	s_and_saveexec_b64 s[30:31], vcc
	s_xor_b64 s[30:31], exec, s[30:31]
; %bb.58:
	v_mov_b32_e32 v27, 0
	v_mov_b32_e32 v28, v27
	ds_write_b64 v20, v[27:28] offset:2112
; %bb.59:
	s_andn2_saveexec_b64 s[30:31], s[30:31]
	s_cbranch_execz .LBB0_61
; %bb.60:
	s_lshl_b64 s[40:41], s[16:17], 6
	v_mov_b32_e32 v23, s41
	v_add_co_u32_e32 v27, vcc, s40, v3
	v_addc_co_u32_e32 v28, vcc, v4, v23, vcc
	global_load_dwordx2 v[27:28], v[27:28], off
	s_waitcnt vmcnt(0)
	ds_write_b64 v20, v[27:28] offset:2112
.LBB0_61:
	s_or_b64 exec, exec, s[30:31]
	v_add_u32_e32 v23, 16, v9
	v_cmp_le_i32_e32 vcc, s21, v23
	s_and_saveexec_b64 s[30:31], vcc
	s_xor_b64 s[30:31], exec, s[30:31]
; %bb.62:
	v_mov_b32_e32 v27, 0
	v_mov_b32_e32 v28, v27
	ds_write_b64 v20, v[27:28] offset:4224
; %bb.63:
	s_andn2_saveexec_b64 s[30:31], s[30:31]
	s_cbranch_execz .LBB0_65
; %bb.64:
	s_lshl_b64 s[40:41], s[16:17], 7
	v_mov_b32_e32 v23, s41
	v_add_co_u32_e32 v27, vcc, s40, v3
	v_addc_co_u32_e32 v28, vcc, v4, v23, vcc
	global_load_dwordx2 v[27:28], v[27:28], off
	s_waitcnt vmcnt(0)
	ds_write_b64 v20, v[27:28] offset:4224
.LBB0_65:
	s_or_b64 exec, exec, s[30:31]
	v_add_u32_e32 v23, 24, v9
	v_cmp_le_i32_e32 vcc, s21, v23
	s_and_saveexec_b64 s[30:31], vcc
	s_xor_b64 s[30:31], exec, s[30:31]
; %bb.66:
	v_mov_b32_e32 v27, 0
	v_mov_b32_e32 v28, v27
	ds_write_b64 v20, v[27:28] offset:6336
                                        ; implicit-def: $vgpr20
; %bb.67:
	s_andn2_saveexec_b64 s[30:31], s[30:31]
	s_cbranch_execz .LBB0_69
; %bb.68:
	v_mov_b32_e32 v23, 0xc0
	v_mad_u64_u32 v[27:28], s[40:41], s16, v23, v[3:4]
	s_mul_i32 s21, s17, 0xc0
	v_add_u32_e32 v28, s21, v28
	global_load_dwordx2 v[27:28], v[27:28], off
	s_waitcnt vmcnt(0)
	ds_write_b64 v20, v[27:28] offset:6336
.LBB0_69:
	s_or_b64 exec, exec, s[30:31]
	v_add_co_u32_e32 v3, vcc, v3, v11
	v_addc_co_u32_e32 v4, vcc, 0, v4, vcc
	v_mov_b32_e32 v20, s29
	v_subrev_co_u32_e32 v3, vcc, s28, v3
	v_subb_co_u32_e32 v4, vcc, v4, v20, vcc
	v_add_co_u32_e32 v3, vcc, 0x108, v3
	v_addc_co_u32_e32 v4, vcc, 0, v4, vcc
	v_cndmask_b32_e64 v4, v4, v6, s[12:13]
	v_cndmask_b32_e64 v3, v3, v5, s[12:13]
	s_branch .LBB0_84
.LBB0_70:
	s_movk_i32 s10, 0x108
	v_mad_u32_u24 v6, v18, s10, v10
	ds_read_b64 v[19:20], v6
	s_mov_b64 s[2:3], exec
	v_add_u32_e32 v6, 8, v5
	s_waitcnt lgkmcnt(0)
	v_xor_b32_e32 v7, 0x80000000, v20
	ds_write_b32 v5, v19 offset:8
	s_andn2_saveexec_b64 s[8:9], s[8:9]
	s_cbranch_execz .LBB0_40
.LBB0_71:
	v_cmp_eq_u32_e32 vcc, v18, v2
	s_mov_b64 s[10:11], s[2:3]
                                        ; implicit-def: $vgpr6
	s_and_saveexec_b64 s[12:13], vcc
; %bb.72:
	v_add_u32_e32 v6, v10, v12
	s_or_b64 s[10:11], s[2:3], exec
; %bb.73:
	s_or_b64 exec, exec, s[12:13]
	s_andn2_b64 s[2:3], s[2:3], exec
	s_and_b64 s[10:11], s[10:11], exec
	v_mov_b32_e32 v7, 0
	s_or_b64 s[2:3], s[2:3], s[10:11]
	s_or_b64 exec, exec, s[8:9]
	s_and_saveexec_b64 s[8:9], s[2:3]
	s_cbranch_execnz .LBB0_41
	s_branch .LBB0_42
.LBB0_74:
	v_cmp_eq_u32_e32 vcc, v19, v2
                                        ; implicit-def: $vgpr6
	s_and_saveexec_b64 s[12:13], vcc
; %bb.75:
	s_mov_b64 s[2:3], exec
	v_add_u32_e32 v6, v10, v12
; %bb.76:
	s_or_b64 exec, exec, s[12:13]
	s_and_b64 s[2:3], s[2:3], exec
	s_or_saveexec_b64 s[10:11], s[10:11]
	v_mov_b32_e32 v7, 0
	s_xor_b64 exec, exec, s[10:11]
	s_cbranch_execz .LBB0_44
.LBB0_77:
	s_movk_i32 s12, 0x108
	v_mad_u32_u24 v6, v19, s12, v10
	ds_read_b64 v[20:21], v6
	v_add_u32_e32 v6, 16, v5
	s_or_b64 s[2:3], s[2:3], exec
	s_waitcnt lgkmcnt(0)
	v_xor_b32_e32 v7, 0x80000000, v21
	ds_write_b32 v5, v20 offset:16
	s_or_b64 exec, exec, s[10:11]
	s_and_saveexec_b64 s[10:11], s[2:3]
	s_cbranch_execnz .LBB0_45
	s_branch .LBB0_46
.LBB0_78:
	v_cmp_eq_u32_e32 vcc, v21, v2
                                        ; implicit-def: $vgpr6
	s_and_saveexec_b64 s[28:29], vcc
; %bb.79:
	s_mov_b64 s[2:3], exec
	v_add_u32_e32 v6, v10, v12
; %bb.80:
	s_or_b64 exec, exec, s[28:29]
	s_and_b64 s[2:3], s[2:3], exec
                                        ; implicit-def: $vgpr5
	s_or_saveexec_b64 s[12:13], s[12:13]
	v_mov_b32_e32 v7, 0
	s_xor_b64 exec, exec, s[12:13]
	s_cbranch_execz .LBB0_48
.LBB0_81:
	s_movk_i32 s21, 0x108
	v_mad_u32_u24 v6, v21, s21, v10
	ds_read_b64 v[22:23], v6
	v_add_u32_e32 v6, 24, v5
	s_or_b64 s[2:3], s[2:3], exec
	s_waitcnt lgkmcnt(0)
	v_xor_b32_e32 v7, 0x80000000, v23
	ds_write_b32 v5, v22 offset:24
	s_or_b64 exec, exec, s[12:13]
	s_and_saveexec_b64 s[12:13], s[2:3]
	s_cbranch_execnz .LBB0_49
	s_branch .LBB0_50
.LBB0_82:
                                        ; implicit-def: $vgpr3_vgpr4
	s_cbranch_execz .LBB0_84
; %bb.83:
	s_lshl_b64 s[12:13], s[16:17], 6
	v_mov_b32_e32 v20, s13
	v_add_co_u32_e32 v3, vcc, s12, v7
	v_addc_co_u32_e32 v4, vcc, v8, v20, vcc
	v_add_co_u32_e32 v27, vcc, s12, v3
	v_addc_co_u32_e32 v28, vcc, v4, v20, vcc
	;; [unrolled: 2-line block ×3, first 2 shown]
	global_load_dwordx2 v[31:32], v[7:8], off offset:256
	global_load_dwordx2 v[33:34], v[3:4], off offset:256
	;; [unrolled: 1-line block ×4, first 2 shown]
	s_movk_i32 s12, 0x108
	v_mad_u32_u24 v3, v9, s12, v10
	s_waitcnt vmcnt(3)
	ds_write_b64 v3, v[31:32]
	s_waitcnt vmcnt(2)
	ds_write_b64 v3, v[33:34] offset:2112
	s_waitcnt vmcnt(1)
	ds_write_b64 v3, v[35:36] offset:4224
	s_waitcnt vmcnt(0)
	ds_write_b64 v3, v[37:38] offset:6336
	v_mov_b32_e32 v3, v5
	v_mov_b32_e32 v4, v6
.LBB0_84:
	v_mul_u32_u24_e32 v5, 0x420, v9
	s_mov_b64 s[12:13], 0
	s_waitcnt lgkmcnt(0)
	s_barrier
                                        ; implicit-def: $vgpr6
	s_and_saveexec_b64 s[28:29], s[4:5]
	s_xor_b64 s[4:5], exec, s[28:29]
	s_cbranch_execz .LBB0_88
; %bb.85:
	v_cmp_eq_u32_e32 vcc, v13, v2
                                        ; implicit-def: $vgpr6
	s_and_saveexec_b64 s[28:29], vcc
	s_xor_b64 s[28:29], exec, s[28:29]
; %bb.86:
	s_mov_b64 s[12:13], exec
	v_add_u32_e32 v6, v10, v12
; %bb.87:
	s_or_b64 exec, exec, s[28:29]
	s_and_b64 s[12:13], s[12:13], exec
.LBB0_88:
	s_or_saveexec_b64 s[4:5], s[4:5]
	v_mov_b32_e32 v7, 0
	v_add_u32_e32 v20, v10, v5
	v_lshl_add_u32 v5, v13, 3, v25
	s_xor_b64 exec, exec, s[4:5]
	s_cbranch_execz .LBB0_90
; %bb.89:
	ds_read_b64 v[6:7], v20
	s_or_b64 s[12:13], s[12:13], exec
	s_waitcnt lgkmcnt(0)
	v_xor_b32_e32 v7, 0x80000000, v7
	ds_write_b32 v5, v6
	v_mov_b32_e32 v6, v5
.LBB0_90:
	s_or_b64 exec, exec, s[4:5]
	v_mul_u32_u24_e32 v8, 0x108, v18
	s_and_saveexec_b64 s[4:5], s[12:13]
; %bb.91:
	ds_write_b32 v6, v7 offset:4
; %bb.92:
	s_or_b64 exec, exec, s[4:5]
	s_mov_b64 s[4:5], 0
	v_add_u32_e32 v27, v10, v8
                                        ; implicit-def: $vgpr7
                                        ; implicit-def: $vgpr6
	s_and_saveexec_b64 s[12:13], s[14:15]
	s_xor_b64 s[12:13], exec, s[12:13]
	s_cbranch_execnz .LBB0_124
; %bb.93:
	s_andn2_saveexec_b64 s[12:13], s[12:13]
	s_cbranch_execnz .LBB0_125
.LBB0_94:
	s_or_b64 exec, exec, s[12:13]
	s_and_saveexec_b64 s[12:13], s[4:5]
.LBB0_95:
	ds_write_b32 v6, v7 offset:4
.LBB0_96:
	s_or_b64 exec, exec, s[12:13]
	s_mov_b64 s[4:5], 0
                                        ; implicit-def: $vgpr6
	s_and_saveexec_b64 s[12:13], s[8:9]
	s_xor_b64 s[8:9], exec, s[12:13]
	s_cbranch_execnz .LBB0_128
; %bb.97:
	s_or_saveexec_b64 s[8:9], s[8:9]
	v_mov_b32_e32 v7, 0
	s_xor_b64 exec, exec, s[8:9]
	s_cbranch_execnz .LBB0_131
.LBB0_98:
	s_or_b64 exec, exec, s[8:9]
	s_and_saveexec_b64 s[8:9], s[4:5]
.LBB0_99:
	ds_write_b32 v6, v7 offset:4
.LBB0_100:
	s_or_b64 exec, exec, s[8:9]
	s_mov_b64 s[4:5], 0
                                        ; implicit-def: $vgpr6
	s_and_saveexec_b64 s[8:9], s[10:11]
	s_xor_b64 s[8:9], exec, s[8:9]
	s_cbranch_execnz .LBB0_132
; %bb.101:
	s_or_saveexec_b64 s[8:9], s[8:9]
	v_mov_b32_e32 v7, 0
	s_xor_b64 exec, exec, s[8:9]
	s_cbranch_execnz .LBB0_135
.LBB0_102:
	s_or_b64 exec, exec, s[8:9]
	v_add_u32_e32 v12, 0x2380, v22
	s_and_saveexec_b64 s[8:9], s[4:5]
.LBB0_103:
	ds_write_b32 v6, v7 offset:4
.LBB0_104:
	s_or_b64 exec, exec, s[8:9]
	s_waitcnt lgkmcnt(0)
	s_barrier
	ds_read_b64 v[18:19], v20
	ds_read_b128 v[5:8], v12 offset:256
	ds_read_b128 v[28:31], v12 offset:272
	ds_read_b64 v[21:22], v27 offset:528
	ds_read2_b64 v[32:35], v27 offset1:33
	v_cmp_eq_u32_e64 s[4:5], 1, v9
	s_waitcnt lgkmcnt(3)
	v_mul_f32_e32 v13, v6, v19
	v_fma_f32 v13, v5, v18, -v13
	v_mul_f32_e32 v5, v5, v19
	v_fmac_f32_e32 v5, v6, v18
	v_add_f32_e32 v6, 0, v13
	s_waitcnt lgkmcnt(0)
	v_mul_f32_e32 v13, v8, v33
	v_fma_f32 v13, v7, v32, -v13
	v_mul_f32_e32 v7, v7, v33
	v_add_f32_e32 v5, 0, v5
	v_fmac_f32_e32 v7, v8, v32
	v_add_f32_e32 v5, v5, v7
	v_mul_f32_e32 v7, v29, v35
	v_mul_f32_e32 v8, v28, v35
	v_add_f32_e32 v6, v6, v13
	v_fma_f32 v7, v28, v34, -v7
	v_fmac_f32_e32 v8, v29, v34
	v_add_f32_e32 v6, v6, v7
	v_add_f32_e32 v7, v5, v8
	v_mul_f32_e32 v5, v31, v22
	v_mul_f32_e32 v8, v30, v22
	v_fma_f32 v5, v30, v21, -v5
	v_fmac_f32_e32 v8, v31, v21
	v_add_f32_e32 v5, v6, v5
	v_add_f32_e32 v6, v7, v8
	s_barrier
	ds_write_b64 v26, v[5:6]
	s_waitcnt lgkmcnt(0)
	s_barrier
	s_and_saveexec_b64 s[8:9], s[4:5]
	s_cbranch_execz .LBB0_106
; %bb.105:
	ds_read2_b64 v[5:8], v25 offset1:7
	ds_read2_b64 v[28:31], v25 offset0:1 offset1:2
	ds_read2_b64 v[32:35], v25 offset0:3 offset1:4
	s_waitcnt lgkmcnt(1)
	v_add_f32_e32 v5, v28, v5
	v_add_f32_e32 v6, v29, v6
	;; [unrolled: 1-line block ×4, first 2 shown]
	ds_read2_b64 v[28:31], v25 offset0:5 offset1:6
	s_waitcnt lgkmcnt(1)
	v_add_f32_e32 v5, v5, v32
	v_add_f32_e32 v6, v6, v33
	;; [unrolled: 1-line block ×4, first 2 shown]
	s_waitcnt lgkmcnt(0)
	v_add_f32_e32 v5, v5, v28
	v_add_f32_e32 v6, v6, v29
	;; [unrolled: 1-line block ×6, first 2 shown]
.LBB0_106:
	s_or_b64 exec, exec, s[8:9]
	v_add_co_u32_e32 v5, vcc, 0xffffff00, v3
	v_addc_co_u32_e32 v6, vcc, -1, v4, vcc
	s_and_b64 vcc, exec, s[26:27]
	s_barrier
	s_cbranch_vccz .LBB0_136
; %bb.107:
	v_sub_co_u32_e32 v7, vcc, v3, v11
	s_ashr_i32 s21, s20, 31
	v_subbrev_co_u32_e32 v8, vcc, 0, v4, vcc
	s_lshl_b64 s[10:11], s[20:21], 3
	v_mov_b32_e32 v13, s11
	v_add_co_u32_e32 v7, vcc, s10, v7
	v_addc_co_u32_e32 v8, vcc, v8, v13, vcc
	v_add_co_u32_e32 v7, vcc, 0xfffffef8, v7
	v_addc_co_u32_e32 v8, vcc, -1, v8, vcc
	v_cmp_gt_i32_e32 vcc, s20, v2
	s_sub_i32 s14, s20, 32
	v_mul_u32_u24_e32 v2, 0x108, v9
	v_cndmask_b32_e32 v8, v8, v6, vcc
	v_cndmask_b32_e32 v7, v7, v5, vcc
	v_cmp_le_i32_e64 s[8:9], s14, v9
	v_add_u32_e32 v18, v10, v2
	s_and_saveexec_b64 s[12:13], s[8:9]
	s_xor_b64 s[8:9], exec, s[12:13]
; %bb.108:
	v_mov_b32_e32 v21, 0
	v_mov_b32_e32 v22, v21
	ds_write_b64 v18, v[21:22]
; %bb.109:
	s_andn2_saveexec_b64 s[8:9], s[8:9]
	s_cbranch_execz .LBB0_111
; %bb.110:
	global_load_dwordx2 v[21:22], v[7:8], off
	s_waitcnt vmcnt(0)
	ds_write_b64 v18, v[21:22]
.LBB0_111:
	s_or_b64 exec, exec, s[8:9]
	v_add_u32_e32 v2, 8, v9
	v_cmp_le_i32_e64 s[8:9], s14, v2
	s_and_saveexec_b64 s[12:13], s[8:9]
	s_xor_b64 s[8:9], exec, s[12:13]
; %bb.112:
	v_mov_b32_e32 v21, 0
	v_mov_b32_e32 v22, v21
	ds_write_b64 v18, v[21:22] offset:2112
; %bb.113:
	s_andn2_saveexec_b64 s[12:13], s[8:9]
	s_cbranch_execz .LBB0_115
; %bb.114:
	s_lshl_b64 s[8:9], s[16:17], 6
	v_mov_b32_e32 v13, s9
	v_add_co_u32_e64 v21, s[8:9], s8, v7
	v_addc_co_u32_e64 v22, s[8:9], v8, v13, s[8:9]
	global_load_dwordx2 v[21:22], v[21:22], off
	s_waitcnt vmcnt(0)
	ds_write_b64 v18, v[21:22] offset:2112
.LBB0_115:
	s_or_b64 exec, exec, s[12:13]
	v_add_u32_e32 v13, 16, v9
	v_cmp_le_i32_e64 s[8:9], s14, v13
	s_and_saveexec_b64 s[12:13], s[8:9]
	s_xor_b64 s[8:9], exec, s[12:13]
; %bb.116:
	v_mov_b32_e32 v21, 0
	v_mov_b32_e32 v22, v21
	ds_write_b64 v18, v[21:22] offset:4224
; %bb.117:
	s_andn2_saveexec_b64 s[12:13], s[8:9]
	s_cbranch_execz .LBB0_119
; %bb.118:
	s_lshl_b64 s[8:9], s[16:17], 7
	v_mov_b32_e32 v19, s9
	v_add_co_u32_e64 v21, s[8:9], s8, v7
	v_addc_co_u32_e64 v22, s[8:9], v8, v19, s[8:9]
	global_load_dwordx2 v[21:22], v[21:22], off
	s_waitcnt vmcnt(0)
	ds_write_b64 v18, v[21:22] offset:4224
.LBB0_119:
	s_or_b64 exec, exec, s[12:13]
	v_add_u32_e32 v21, 24, v9
	v_cmp_le_i32_e64 s[8:9], s14, v21
	s_and_saveexec_b64 s[12:13], s[8:9]
	s_xor_b64 s[8:9], exec, s[12:13]
; %bb.120:
	v_mov_b32_e32 v22, 0
	v_mov_b32_e32 v23, v22
	ds_write_b64 v18, v[22:23] offset:6336
                                        ; implicit-def: $vgpr18
; %bb.121:
	s_andn2_saveexec_b64 s[8:9], s[8:9]
	s_cbranch_execz .LBB0_123
; %bb.122:
	v_mov_b32_e32 v19, 0xc0
	v_mad_u64_u32 v[22:23], s[12:13], s16, v19, v[7:8]
	s_mul_i32 s12, s17, 0xc0
	v_add_u32_e32 v23, s12, v23
	global_load_dwordx2 v[22:23], v[22:23], off
	s_waitcnt vmcnt(0)
	ds_write_b64 v18, v[22:23] offset:6336
.LBB0_123:
	s_or_b64 exec, exec, s[8:9]
	v_add_co_u32_e64 v7, s[8:9], v7, v11
	v_addc_co_u32_e64 v8, s[8:9], 0, v8, s[8:9]
	v_mov_b32_e32 v11, s11
	v_subrev_co_u32_e64 v7, s[8:9], s10, v7
	v_subb_co_u32_e64 v8, s[8:9], v8, v11, s[8:9]
	v_add_co_u32_e64 v7, s[8:9], 8, v7
	v_addc_co_u32_e64 v8, s[8:9], 0, v8, s[8:9]
	v_cndmask_b32_e32 v19, v8, v6, vcc
	v_cndmask_b32_e32 v18, v7, v5, vcc
	s_branch .LBB0_138
.LBB0_124:
	ds_read_b64 v[28:29], v27
	s_mov_b64 s[4:5], exec
	v_add_u32_e32 v6, 8, v5
                                        ; implicit-def: $vgpr18
	s_waitcnt lgkmcnt(0)
	v_xor_b32_e32 v7, 0x80000000, v29
	ds_write_b32 v5, v28 offset:8
	s_andn2_saveexec_b64 s[12:13], s[12:13]
	s_cbranch_execz .LBB0_94
.LBB0_125:
	v_cmp_eq_u32_e32 vcc, v18, v2
	s_mov_b64 s[14:15], s[4:5]
                                        ; implicit-def: $vgpr6
	s_and_saveexec_b64 s[28:29], vcc
; %bb.126:
	v_add_u32_e32 v6, v10, v12
	s_or_b64 s[14:15], s[4:5], exec
; %bb.127:
	s_or_b64 exec, exec, s[28:29]
	s_andn2_b64 s[4:5], s[4:5], exec
	s_and_b64 s[14:15], s[14:15], exec
	v_mov_b32_e32 v7, 0
	s_or_b64 s[4:5], s[4:5], s[14:15]
	s_or_b64 exec, exec, s[12:13]
	s_and_saveexec_b64 s[12:13], s[4:5]
	s_cbranch_execnz .LBB0_95
	s_branch .LBB0_96
.LBB0_128:
	v_cmp_eq_u32_e32 vcc, v19, v2
                                        ; implicit-def: $vgpr6
	s_and_saveexec_b64 s[12:13], vcc
; %bb.129:
	s_mov_b64 s[4:5], exec
	v_add_u32_e32 v6, v10, v12
; %bb.130:
	s_or_b64 exec, exec, s[12:13]
	s_and_b64 s[4:5], s[4:5], exec
	s_or_saveexec_b64 s[8:9], s[8:9]
	v_mov_b32_e32 v7, 0
	s_xor_b64 exec, exec, s[8:9]
	s_cbranch_execz .LBB0_98
.LBB0_131:
	ds_read_b64 v[18:19], v27 offset:264
	v_add_u32_e32 v6, 16, v5
	s_or_b64 s[4:5], s[4:5], exec
	s_waitcnt lgkmcnt(0)
	v_xor_b32_e32 v7, 0x80000000, v19
	ds_write_b32 v5, v18 offset:16
	s_or_b64 exec, exec, s[8:9]
	s_and_saveexec_b64 s[8:9], s[4:5]
	s_cbranch_execnz .LBB0_99
	s_branch .LBB0_100
.LBB0_132:
	v_cmp_eq_u32_e32 vcc, v21, v2
                                        ; implicit-def: $vgpr6
	s_and_saveexec_b64 s[10:11], vcc
; %bb.133:
	s_mov_b64 s[4:5], exec
	v_add_u32_e32 v6, v10, v12
; %bb.134:
	s_or_b64 exec, exec, s[10:11]
	s_and_b64 s[4:5], s[4:5], exec
                                        ; implicit-def: $vgpr5
	s_or_saveexec_b64 s[8:9], s[8:9]
	v_mov_b32_e32 v7, 0
	s_xor_b64 exec, exec, s[8:9]
	s_cbranch_execz .LBB0_102
.LBB0_135:
	ds_read_b64 v[12:13], v27 offset:528
	v_add_u32_e32 v6, 24, v5
	s_or_b64 s[4:5], s[4:5], exec
	s_waitcnt lgkmcnt(0)
	v_xor_b32_e32 v7, 0x80000000, v13
	ds_write_b32 v5, v12 offset:24
	s_or_b64 exec, exec, s[8:9]
	v_add_u32_e32 v12, 0x2380, v22
	s_and_saveexec_b64 s[8:9], s[4:5]
	s_cbranch_execnz .LBB0_103
	s_branch .LBB0_104
.LBB0_136:
                                        ; implicit-def: $vgpr18_vgpr19
                                        ; implicit-def: $vgpr2
                                        ; implicit-def: $vgpr13
                                        ; implicit-def: $vgpr21
	s_cbranch_execz .LBB0_138
; %bb.137:
	s_lshl_b64 s[8:9], s[16:17], 6
	v_mov_b32_e32 v2, s9
	v_add_co_u32_e32 v7, vcc, s8, v3
	v_addc_co_u32_e32 v8, vcc, v4, v2, vcc
	v_add_co_u32_e32 v18, vcc, s8, v7
	v_addc_co_u32_e32 v19, vcc, v8, v2, vcc
	;; [unrolled: 2-line block ×3, first 2 shown]
	global_load_dwordx2 v[28:29], v[3:4], off offset:-256
	global_load_dwordx2 v[30:31], v[7:8], off offset:-256
	;; [unrolled: 1-line block ×4, first 2 shown]
	s_movk_i32 s8, 0x108
	v_mov_b32_e32 v19, v6
	v_add_u32_e32 v2, 8, v9
	v_add_u32_e32 v13, 16, v9
	;; [unrolled: 1-line block ×3, first 2 shown]
	v_mad_u32_u24 v3, v9, s8, v10
	v_mov_b32_e32 v18, v5
	s_waitcnt vmcnt(3)
	ds_write_b64 v3, v[28:29]
	s_waitcnt vmcnt(2)
	ds_write_b64 v3, v[30:31] offset:2112
	s_waitcnt vmcnt(1)
	ds_write_b64 v3, v[32:33] offset:4224
	;; [unrolled: 2-line block ×3, first 2 shown]
.LBB0_138:
	v_lshlrev_b32_e32 v3, 3, v9
	v_add_u32_e32 v4, v25, v3
	v_lshlrev_b32_e32 v2, 3, v2
	s_waitcnt lgkmcnt(0)
	s_barrier
	v_add_u32_e32 v5, v25, v2
	ds_read_b64 v[10:11], v4
	ds_read_b64 v[28:29], v2 offset:9088
	ds_read_b64 v[30:31], v5
	ds_read_b64 v[22:23], v3 offset:9088
	v_lshlrev_b32_e32 v3, 3, v13
	v_add_u32_e32 v4, v25, v3
	v_lshlrev_b32_e32 v5, 3, v21
	v_add_u32_e32 v6, v25, v5
	ds_read_b64 v[32:33], v4
	ds_read_b64 v[34:35], v6
	ds_read_b64 v[36:37], v5 offset:9088
	ds_read_b64 v[38:39], v3 offset:9088
	s_waitcnt lgkmcnt(4)
	v_mul_f32_e32 v2, v11, v23
	v_fmac_f32_e32 v2, v10, v22
	v_mul_f32_e32 v3, v31, v29
	v_add_f32_e32 v2, 0, v2
	v_fmac_f32_e32 v3, v30, v28
	v_add_f32_e32 v2, v2, v3
	s_waitcnt lgkmcnt(0)
	v_mul_f32_e32 v3, v33, v39
	v_fmac_f32_e32 v3, v32, v38
	v_add_f32_e32 v2, v2, v3
	v_mul_f32_e32 v3, v35, v37
	v_mul_f32_e32 v11, v11, v22
	v_fmac_f32_e32 v3, v34, v36
	v_mul_f32_e32 v31, v31, v28
	v_mul_f32_e32 v35, v35, v36
	v_add_f32_e32 v28, v2, v3
	ds_read_b128 v[6:9], v12 offset:256
	ds_read_b128 v[2:5], v12 offset:272
	v_fma_f32 v36, v10, v23, -v11
	ds_read2_b64 v[10:13], v27 offset1:33
	ds_read_b64 v[22:23], v20
	ds_read_b64 v[20:21], v27 offset:528
	v_mul_f32_e32 v33, v33, v38
	v_add_f32_e32 v27, 0, v36
	v_fma_f32 v29, v30, v29, -v31
	v_add_f32_e32 v27, v27, v29
	v_fma_f32 v29, v32, v39, -v33
	;; [unrolled: 2-line block ×3, first 2 shown]
	v_add_f32_e32 v29, v27, v29
	s_waitcnt lgkmcnt(0)
	s_barrier
	ds_write_b64 v26, v[28:29]
	s_waitcnt lgkmcnt(0)
	s_barrier
	s_and_saveexec_b64 s[8:9], s[4:5]
	s_cbranch_execz .LBB0_140
; %bb.139:
	ds_read2_b64 v[27:30], v25 offset1:1
	ds_read2_b64 v[31:34], v25 offset0:2 offset1:3
	ds_read2_b64 v[35:38], v25 offset0:4 offset1:5
	s_waitcnt lgkmcnt(2)
	v_add_f32_e32 v27, v52, v27
	v_add_f32_e32 v28, v53, v28
	;; [unrolled: 1-line block ×4, first 2 shown]
	s_waitcnt lgkmcnt(1)
	v_add_f32_e32 v27, v27, v31
	v_add_f32_e32 v28, v28, v32
	;; [unrolled: 1-line block ×4, first 2 shown]
	ds_read2_b64 v[27:30], v25 offset0:6 offset1:7
	s_waitcnt lgkmcnt(1)
	v_add_f32_e32 v31, v31, v35
	v_add_f32_e32 v32, v32, v36
	;; [unrolled: 1-line block ×4, first 2 shown]
	s_waitcnt lgkmcnt(0)
	v_add_f32_e32 v27, v31, v27
	v_add_f32_e32 v28, v32, v28
	;; [unrolled: 1-line block ×4, first 2 shown]
.LBB0_140:
	s_or_b64 exec, exec, s[8:9]
	v_mul_f32_e32 v27, v7, v23
	v_fma_f32 v27, v6, v22, -v27
	v_mul_f32_e32 v6, v6, v23
	v_fmac_f32_e32 v6, v7, v22
	v_mul_f32_e32 v22, v9, v11
	v_fma_f32 v22, v8, v10, -v22
	v_mul_f32_e32 v8, v8, v11
	v_add_f32_e32 v6, 0, v6
	v_fmac_f32_e32 v8, v9, v10
	v_add_f32_e32 v6, v6, v8
	v_mul_f32_e32 v8, v3, v13
	v_fma_f32 v8, v2, v12, -v8
	v_mul_f32_e32 v2, v2, v13
	v_fmac_f32_e32 v2, v3, v12
	v_add_f32_e32 v7, 0, v27
	v_add_f32_e32 v6, v6, v2
	v_mul_f32_e32 v2, v5, v21
	v_add_f32_e32 v7, v7, v22
	v_fma_f32 v2, v4, v20, -v2
	v_mul_f32_e32 v4, v4, v21
	v_add_f32_e32 v3, v7, v8
	v_fmac_f32_e32 v4, v5, v20
	v_add_f32_e32 v2, v3, v2
	v_add_f32_e32 v3, v6, v4
	s_barrier
	ds_write_b64 v26, v[2:3]
	s_waitcnt lgkmcnt(0)
	s_barrier
	s_and_saveexec_b64 s[4:5], s[2:3]
	s_cbranch_execz .LBB0_142
; %bb.141:
	ds_read2_b64 v[2:5], v25 offset1:1
	ds_read2_b64 v[6:9], v25 offset0:2 offset1:3
	ds_read2_b64 v[10:13], v25 offset0:4 offset1:5
	s_waitcnt lgkmcnt(2)
	v_add_f32_e32 v2, v52, v2
	v_add_f32_e32 v3, v53, v3
	;; [unrolled: 1-line block ×4, first 2 shown]
	s_waitcnt lgkmcnt(1)
	v_add_f32_e32 v2, v2, v6
	v_add_f32_e32 v3, v3, v7
	;; [unrolled: 1-line block ×4, first 2 shown]
	ds_read2_b64 v[2:5], v25 offset0:6 offset1:7
	s_waitcnt lgkmcnt(1)
	v_add_f32_e32 v6, v6, v10
	v_add_f32_e32 v7, v7, v11
	;; [unrolled: 1-line block ×4, first 2 shown]
	s_waitcnt lgkmcnt(0)
	v_add_f32_e32 v2, v6, v2
	v_add_f32_e32 v3, v7, v3
	;; [unrolled: 1-line block ×4, first 2 shown]
.LBB0_142:
	s_or_b64 exec, exec, s[4:5]
	s_mul_hi_u32 s2, s37, s7
	s_mul_i32 s38, s38, s7
	s_add_i32 s2, s2, s38
	s_mul_i32 s4, s37, s7
	s_mul_i32 s2, s2, s33
	s_mul_hi_u32 s3, s4, s33
	s_add_i32 s3, s3, s2
	s_mul_i32 s2, s4, s33
	s_lshl_b64 s[2:3], s[2:3], 3
	s_add_u32 s4, s34, s2
	s_addc_u32 s5, s35, s3
	s_mul_hi_i32 s3, s37, s6
	s_mul_i32 s2, s37, s6
	s_lshl_b64 s[2:3], s[2:3], 3
	s_add_u32 s7, s4, s2
	s_addc_u32 s21, s5, s3
	s_add_i32 s2, s6, 1
	s_cmp_ge_u32 s2, s33
	v_lshlrev_b32_e32 v87, 3, v0
	s_barrier
	s_cbranch_scc1 .LBB0_200
; %bb.143:
	v_lshlrev_b32_e32 v7, 5, v1
	v_add_u32_e32 v4, 0x100, v7
	v_mad_u64_u32 v[2:3], s[2:3], s16, v4, 0
	v_add_u32_e32 v6, 0x298, v7
	v_add_u32_e32 v20, 0x108, v7
	v_mad_u64_u32 v[3:4], s[2:3], s17, v4, v[3:4]
	v_mad_u64_u32 v[4:5], s[2:3], s16, v6, 0
	v_sub_co_u32_e32 v8, vcc, v2, v16
	v_mov_b32_e32 v2, v5
	v_subb_co_u32_e32 v9, vcc, v3, v17, vcc
	v_mad_u64_u32 v[2:3], s[2:3], s17, v6, v[2:3]
	v_add_u32_e32 v3, 0x110, v7
	v_mad_u64_u32 v[5:6], s[2:3], s16, v3, 0
	v_sub_co_u32_e32 v10, vcc, v4, v16
	v_subb_co_u32_e32 v11, vcc, v2, v17, vcc
	v_mov_b32_e32 v2, v6
	v_mad_u64_u32 v[2:3], s[2:3], s17, v3, v[2:3]
	v_add_u32_e32 v6, 0x290, v7
	v_mad_u64_u32 v[3:4], s[2:3], s16, v6, 0
	v_sub_co_u32_e32 v12, vcc, v5, v16
	v_subb_co_u32_e32 v13, vcc, v2, v17, vcc
	v_mov_b32_e32 v2, v4
	v_mad_u64_u32 v[4:5], s[2:3], s17, v6, v[2:3]
	v_mad_u64_u32 v[5:6], s[2:3], s16, v20, 0
	v_sub_co_u32_e32 v21, vcc, v3, v16
	v_mov_b32_e32 v2, v6
	v_mad_u64_u32 v[2:3], s[2:3], s17, v20, v[2:3]
	v_add_u32_e32 v6, 0x288, v7
	v_subb_co_u32_e32 v22, vcc, v4, v17, vcc
	v_mad_u64_u32 v[3:4], s[2:3], s16, v6, 0
	v_sub_co_u32_e32 v20, vcc, v5, v16
	v_subb_co_u32_e32 v23, vcc, v2, v17, vcc
	v_mov_b32_e32 v2, v4
	v_mad_u64_u32 v[4:5], s[2:3], s17, v6, v[2:3]
	v_add_u32_e32 v25, 0x118, v7
	v_mad_u64_u32 v[5:6], s[2:3], s16, v25, 0
	v_sub_co_u32_e32 v26, vcc, v3, v16
	v_mov_b32_e32 v2, v6
	v_mad_u64_u32 v[2:3], s[2:3], s17, v25, v[2:3]
	v_add_u32_e32 v6, 0x280, v7
	v_subb_co_u32_e32 v27, vcc, v4, v17, vcc
	v_mad_u64_u32 v[3:4], s[2:3], s16, v6, 0
	v_sub_co_u32_e32 v25, vcc, v5, v16
	v_subb_co_u32_e32 v28, vcc, v2, v17, vcc
	v_mov_b32_e32 v2, v4
	v_mad_u64_u32 v[4:5], s[2:3], s17, v6, v[2:3]
	v_add_u32_e32 v29, 0x180, v7
	;; [unrolled: 12-line block ×5, first 2 shown]
	v_mad_u64_u32 v[5:6], s[2:3], s16, v41, 0
	v_sub_co_u32_e32 v42, vcc, v3, v16
	v_mov_b32_e32 v2, v6
	v_mad_u64_u32 v[2:3], s[2:3], s17, v41, v[2:3]
	v_add_u32_e32 v6, 0x200, v7
	v_subb_co_u32_e32 v43, vcc, v4, v17, vcc
	v_mad_u64_u32 v[3:4], s[2:3], s16, v6, 0
	v_sub_co_u32_e32 v41, vcc, v5, v16
	v_subb_co_u32_e32 v44, vcc, v2, v17, vcc
	v_mov_b32_e32 v2, v4
	v_mad_u64_u32 v[4:5], s[2:3], s17, v6, v[2:3]
	s_mul_i32 s2, s24, s23
	s_mul_hi_u32 s3, s24, s22
	s_add_i32 s2, s3, s2
	s_mul_i32 s3, s25, s22
	v_sub_co_u32_e32 v2, vcc, v3, v16
	s_add_i32 s3, s2, s3
	s_mul_i32 s2, s24, s22
	v_subb_co_u32_e32 v3, vcc, v4, v17, vcc
	s_lshl_b64 s[2:3], s[2:3], 3
	v_mov_b32_e32 v4, s3
	v_subrev_co_u32_e32 v89, vcc, s2, v14
	v_subb_co_u32_e32 v90, vcc, v15, v4, vcc
	v_lshrrev_b32_e32 v4, 4, v24
	v_and_b32_e32 v5, 15, v0
	v_lshlrev_b32_e32 v6, 5, v4
	s_movk_i32 s4, 0x218
	v_mad_u32_u24 v91, v5, s4, v6
	v_or_b32_e32 v6, 4, v8
	v_add_co_u32_e32 v92, vcc, v18, v6
	v_addc_co_u32_e32 v93, vcc, v19, v9, vcc
	v_add_co_u32_e32 v94, vcc, v18, v10
	v_addc_co_u32_e32 v95, vcc, v19, v11, vcc
	;; [unrolled: 2-line block ×4, first 2 shown]
	v_or_b32_e32 v6, 4, v20
	v_add_co_u32_e32 v100, vcc, v18, v6
	v_addc_co_u32_e32 v101, vcc, v19, v23, vcc
	v_add_co_u32_e32 v102, vcc, v18, v26
	v_addc_co_u32_e32 v103, vcc, v19, v27, vcc
	v_or_b32_e32 v6, 4, v25
	v_add_co_u32_e32 v104, vcc, v18, v6
	v_addc_co_u32_e32 v105, vcc, v19, v28, vcc
	v_add_co_u32_e32 v106, vcc, v18, v30
	v_addc_co_u32_e32 v107, vcc, v19, v31, vcc
	;; [unrolled: 5-line block ×5, first 2 shown]
	v_or_b32_e32 v6, 4, v41
	v_add_co_u32_e32 v120, vcc, v18, v6
	v_addc_co_u32_e32 v121, vcc, v19, v44, vcc
	v_or_b32_e32 v2, 4, v2
	v_add_co_u32_e32 v122, vcc, v18, v2
	v_and_b32_e32 v2, 48, v0
	v_lshlrev_b32_e32 v2, 3, v2
	v_mad_u32_u24 v124, v5, s4, v2
	v_or_b32_e32 v2, 0x78, v87
	v_lshlrev_b32_e32 v88, 2, v1
	v_mad_u32_u24 v125, v5, s4, v2
	s_movk_i32 s4, 0x860
	v_mul_i32_i24_e32 v2, 0xffffffe8, v4
	s_add_i32 s23, s33, -2
	v_cmp_gt_u32_e64 s[2:3], 64, v24
	v_addc_co_u32_e32 v123, vcc, v19, v3, vcc
	v_add_u32_e32 v126, 0x2180, v87
	v_add_u32_e32 v127, 0x2180, v7
	s_add_i32 s22, s22, 64
	s_lshl_b64 s[10:11], s[16:17], 9
	v_add_u32_e32 v128, v91, v2
	v_add_u32_e32 v129, 0x2380, v87
	v_mad_u32_u24 v130, v1, s4, v87
	v_or_b32_e32 v131, 1, v88
	v_or_b32_e32 v132, 2, v88
	v_or_b32_e32 v133, 3, v88
	v_add_u32_e32 v134, 16, v88
	v_add_u32_e32 v135, 17, v88
	v_add_u32_e32 v136, 18, v88
	v_add_u32_e32 v137, 19, v88
	v_add_u32_e32 v138, 32, v88
	v_add_u32_e32 v139, 33, v88
	v_add_u32_e32 v140, 34, v88
	v_add_u32_e32 v141, 35, v88
	v_add_u32_e32 v142, 48, v88
	v_add_u32_e32 v143, 49, v88
	v_add_u32_e32 v144, 50, v88
	v_add_u32_e32 v145, 51, v88
	v_mov_b32_e32 v54, 0
	s_cmp_eq_u32 s23, s6
	s_cselect_b32 s16, s36, 0
	s_and_saveexec_b64 s[4:5], s[0:1]
	s_cbranch_execz .LBB0_148
.LBB0_144:
	s_cmp_lg_u32 s16, 0
	s_cselect_b64 s[8:9], -1, 0
	v_cmp_le_i32_e32 vcc, s16, v0
	s_and_b64 s[8:9], s[8:9], vcc
	s_and_saveexec_b64 s[12:13], s[8:9]
	s_xor_b64 s[8:9], exec, s[12:13]
; %bb.145:
	v_mov_b32_e32 v55, v54
	ds_write_b64 v126, v[54:55]
; %bb.146:
	s_andn2_saveexec_b64 s[8:9], s[8:9]
	s_cbranch_execz .LBB0_148
; %bb.147:
	s_ashr_i32 s8, s22, 31
	s_mul_hi_u32 s9, s24, s22
	s_mul_i32 s8, s24, s8
	s_add_i32 s8, s9, s8
	s_mul_i32 s9, s25, s22
	s_add_i32 s9, s8, s9
	s_mul_i32 s8, s24, s22
	s_lshl_b64 s[8:9], s[8:9], 3
	v_mov_b32_e32 v3, s9
	v_add_co_u32_e32 v2, vcc, s8, v89
	v_addc_co_u32_e32 v3, vcc, v90, v3, vcc
	global_load_dwordx2 v[2:3], v[2:3], off
	s_waitcnt vmcnt(0)
	ds_write_b64 v126, v[2:3]
.LBB0_148:                              ; =>This Inner Loop Header: Depth=1
	s_or_b64 exec, exec, s[4:5]
	s_cmp_eq_u32 s16, 0
	v_add_co_u32_e32 v2, vcc, v92, v87
	s_cselect_b64 s[12:13], -1, 0
	s_cmp_lg_u32 s16, 0
	v_addc_co_u32_e32 v3, vcc, 0, v93, vcc
	s_cselect_b64 s[8:9], -1, 0
	s_and_b64 vcc, exec, s[8:9]
	s_waitcnt lgkmcnt(0)
	s_barrier
	s_cbranch_vccz .LBB0_156
; %bb.149:                              ;   in Loop: Header=BB0_148 Depth=1
	v_cmp_gt_i32_e32 vcc, s16, v88
	v_mov_b32_e32 v57, 0
	v_mov_b32_e32 v55, 0
	;; [unrolled: 1-line block ×3, first 2 shown]
	s_and_saveexec_b64 s[4:5], vcc
	s_cbranch_execz .LBB0_151
; %bb.150:                              ;   in Loop: Header=BB0_148 Depth=1
	global_load_dwordx2 v[55:56], v[2:3], off offset:-4
.LBB0_151:                              ;   in Loop: Header=BB0_148 Depth=1
	s_or_b64 exec, exec, s[4:5]
	v_cmp_gt_i32_e32 vcc, s16, v131
	v_mov_b32_e32 v58, 0
	s_and_saveexec_b64 s[4:5], vcc
	s_cbranch_execz .LBB0_153
; %bb.152:                              ;   in Loop: Header=BB0_148 Depth=1
	v_add_co_u32_e32 v4, vcc, v100, v87
	v_addc_co_u32_e32 v5, vcc, 0, v101, vcc
	global_load_dwordx2 v[57:58], v[4:5], off offset:-4
.LBB0_153:                              ;   in Loop: Header=BB0_148 Depth=1
	s_or_b64 exec, exec, s[4:5]
	v_cmp_gt_i32_e32 vcc, s16, v132
	v_mov_b32_e32 v59, 0
	v_mov_b32_e32 v60, 0
	s_and_saveexec_b64 s[4:5], vcc
	s_cbranch_execz .LBB0_155
; %bb.154:                              ;   in Loop: Header=BB0_148 Depth=1
	v_add_co_u32_e32 v4, vcc, v96, v87
	v_addc_co_u32_e32 v5, vcc, 0, v97, vcc
	global_load_dwordx2 v[59:60], v[4:5], off
.LBB0_155:                              ;   in Loop: Header=BB0_148 Depth=1
	s_or_b64 exec, exec, s[4:5]
	v_cmp_gt_i32_e64 s[4:5], s16, v133
	s_branch .LBB0_158
.LBB0_156:                              ;   in Loop: Header=BB0_148 Depth=1
	s_mov_b64 s[4:5], 0
                                        ; implicit-def: $vgpr56
                                        ; implicit-def: $vgpr58
                                        ; implicit-def: $vgpr60
	s_cbranch_execz .LBB0_158
; %bb.157:                              ;   in Loop: Header=BB0_148 Depth=1
	global_load_dwordx2 v[55:56], v[2:3], off offset:-4
	v_add_co_u32_e32 v2, vcc, v100, v87
	v_addc_co_u32_e32 v3, vcc, 0, v101, vcc
	global_load_dwordx2 v[57:58], v[2:3], off offset:-4
	v_add_co_u32_e32 v2, vcc, v96, v87
	v_addc_co_u32_e32 v3, vcc, 0, v97, vcc
	global_load_dwordx2 v[59:60], v[2:3], off
	s_or_b64 s[4:5], s[4:5], exec
.LBB0_158:                              ;   in Loop: Header=BB0_148 Depth=1
	v_mov_b32_e32 v61, 0
	v_mov_b32_e32 v62, 0
	s_and_saveexec_b64 s[14:15], s[4:5]
	s_cbranch_execz .LBB0_160
; %bb.159:                              ;   in Loop: Header=BB0_148 Depth=1
	v_add_co_u32_e32 v2, vcc, v104, v87
	v_addc_co_u32_e32 v3, vcc, 0, v105, vcc
	global_load_dwordx2 v[61:62], v[2:3], off offset:-4
.LBB0_160:                              ;   in Loop: Header=BB0_148 Depth=1
	s_or_b64 exec, exec, s[14:15]
	ds_read_b64 v[10:11], v129
	ds_read_b128 v[6:9], v127
	ds_read_b128 v[2:5], v127 offset:16
	s_andn2_b64 vcc, exec, s[8:9]
	s_waitcnt vmcnt(0) lgkmcnt(2)
	v_mul_f32_e32 v12, v56, v11
	v_mul_f32_e32 v13, v56, v10
	;; [unrolled: 1-line block ×4, first 2 shown]
	v_fmac_f32_e32 v12, v55, v10
	v_fma_f32 v13, v55, v11, -v13
	v_fmac_f32_e32 v14, v57, v10
	v_fma_f32 v15, v57, v11, -v15
	ds_write2_b64 v130, v[12:13], v[14:15] offset1:67
	v_mul_f32_e32 v12, v60, v11
	v_mul_f32_e32 v14, v62, v11
	v_fmac_f32_e32 v12, v59, v10
	v_mul_f32_e32 v13, v60, v10
	v_fmac_f32_e32 v14, v61, v10
	v_mul_f32_e32 v10, v62, v10
	v_fma_f32 v13, v59, v11, -v13
	v_fma_f32 v15, v61, v11, -v10
	ds_write2_b64 v130, v[12:13], v[14:15] offset0:134 offset1:201
	s_waitcnt lgkmcnt(0)
	s_barrier
	ds_read2_b64 v[22:25], v91 offset1:1
	ds_read2_b64 v[10:13], v91 offset0:2 offset1:3
	v_cndmask_b32_e64 v14, 0, 1, s[8:9]
	v_cmp_ne_u32_e64 s[4:5], 1, v14
	v_add_co_u32_e64 v14, s[8:9], v108, v87
	v_addc_co_u32_e64 v15, s[8:9], 0, v109, s[8:9]
	s_waitcnt lgkmcnt(0)
	s_barrier
	s_cbranch_vccnz .LBB0_168
; %bb.161:                              ;   in Loop: Header=BB0_148 Depth=1
	v_cmp_gt_i32_e32 vcc, s16, v134
	v_mov_b32_e32 v65, 0
	v_mov_b32_e32 v63, 0
	;; [unrolled: 1-line block ×3, first 2 shown]
	s_and_saveexec_b64 s[8:9], vcc
	s_cbranch_execz .LBB0_163
; %bb.162:                              ;   in Loop: Header=BB0_148 Depth=1
	global_load_dwordx2 v[63:64], v[14:15], off offset:-4
.LBB0_163:                              ;   in Loop: Header=BB0_148 Depth=1
	s_or_b64 exec, exec, s[8:9]
	v_cmp_gt_i32_e32 vcc, s16, v135
	v_mov_b32_e32 v66, 0
	s_and_saveexec_b64 s[8:9], vcc
	s_cbranch_execz .LBB0_165
; %bb.164:                              ;   in Loop: Header=BB0_148 Depth=1
	v_add_co_u32_e32 v16, vcc, v112, v87
	v_addc_co_u32_e32 v17, vcc, 0, v113, vcc
	global_load_dwordx2 v[65:66], v[16:17], off offset:-4
.LBB0_165:                              ;   in Loop: Header=BB0_148 Depth=1
	s_or_b64 exec, exec, s[8:9]
	v_cmp_gt_i32_e32 vcc, s16, v136
	v_mov_b32_e32 v67, 0
	v_mov_b32_e32 v68, 0
	s_and_saveexec_b64 s[8:9], vcc
	s_cbranch_execz .LBB0_167
; %bb.166:                              ;   in Loop: Header=BB0_148 Depth=1
	v_add_co_u32_e32 v16, vcc, v116, v87
	v_addc_co_u32_e32 v17, vcc, 0, v117, vcc
	global_load_dwordx2 v[67:68], v[16:17], off offset:-4
.LBB0_167:                              ;   in Loop: Header=BB0_148 Depth=1
	s_or_b64 exec, exec, s[8:9]
	v_cmp_gt_i32_e64 s[8:9], s16, v137
	s_branch .LBB0_170
.LBB0_168:                              ;   in Loop: Header=BB0_148 Depth=1
	s_mov_b64 s[8:9], 0
                                        ; implicit-def: $vgpr64
                                        ; implicit-def: $vgpr66
                                        ; implicit-def: $vgpr68
	s_cbranch_execz .LBB0_170
; %bb.169:                              ;   in Loop: Header=BB0_148 Depth=1
	global_load_dwordx2 v[63:64], v[14:15], off offset:-4
	v_add_co_u32_e32 v14, vcc, v112, v87
	v_addc_co_u32_e32 v15, vcc, 0, v113, vcc
	global_load_dwordx2 v[65:66], v[14:15], off offset:-4
	v_add_co_u32_e32 v14, vcc, v116, v87
	v_addc_co_u32_e32 v15, vcc, 0, v117, vcc
	global_load_dwordx2 v[67:68], v[14:15], off offset:-4
	s_or_b64 s[8:9], s[8:9], exec
.LBB0_170:                              ;   in Loop: Header=BB0_148 Depth=1
	v_mov_b32_e32 v69, 0
	v_mov_b32_e32 v70, 0
	s_and_saveexec_b64 s[14:15], s[8:9]
	s_cbranch_execz .LBB0_172
; %bb.171:                              ;   in Loop: Header=BB0_148 Depth=1
	v_add_co_u32_e32 v14, vcc, v120, v87
	v_addc_co_u32_e32 v15, vcc, 0, v121, vcc
	global_load_dwordx2 v[69:70], v[14:15], off offset:-4
.LBB0_172:                              ;   in Loop: Header=BB0_148 Depth=1
	s_or_b64 exec, exec, s[14:15]
	ds_read_b64 v[26:27], v129
	ds_read_b128 v[18:21], v127 offset:128
	ds_read_b128 v[14:17], v127 offset:144
	s_and_b64 vcc, exec, s[4:5]
	s_waitcnt vmcnt(0) lgkmcnt(2)
	v_mul_f32_e32 v28, v64, v27
	v_mul_f32_e32 v29, v64, v26
	;; [unrolled: 1-line block ×4, first 2 shown]
	v_fmac_f32_e32 v28, v63, v26
	v_fma_f32 v29, v63, v27, -v29
	v_fmac_f32_e32 v30, v65, v26
	v_fma_f32 v31, v65, v27, -v31
	ds_write2_b64 v130, v[28:29], v[30:31] offset1:67
	v_mul_f32_e32 v28, v68, v27
	v_mul_f32_e32 v30, v70, v27
	v_fmac_f32_e32 v28, v67, v26
	v_mul_f32_e32 v29, v68, v26
	v_fmac_f32_e32 v30, v69, v26
	v_mul_f32_e32 v26, v70, v26
	v_fma_f32 v29, v67, v27, -v29
	v_fma_f32 v31, v69, v27, -v26
	ds_write2_b64 v130, v[28:29], v[30:31] offset0:134 offset1:201
	s_waitcnt lgkmcnt(0)
	s_barrier
	ds_read2_b64 v[38:41], v91 offset1:1
	ds_read2_b64 v[34:37], v91 offset0:2 offset1:3
	v_add_co_u32_e64 v26, s[8:9], v122, v87
	v_addc_co_u32_e64 v27, s[8:9], 0, v123, s[8:9]
	s_waitcnt lgkmcnt(0)
	s_barrier
	s_cbranch_vccnz .LBB0_180
; %bb.173:                              ;   in Loop: Header=BB0_148 Depth=1
	v_cmp_gt_i32_e32 vcc, s16, v138
	v_mov_b32_e32 v73, 0
	v_mov_b32_e32 v71, 0
	;; [unrolled: 1-line block ×3, first 2 shown]
	s_and_saveexec_b64 s[8:9], vcc
	s_cbranch_execz .LBB0_175
; %bb.174:                              ;   in Loop: Header=BB0_148 Depth=1
	global_load_dwordx2 v[71:72], v[26:27], off offset:-4
.LBB0_175:                              ;   in Loop: Header=BB0_148 Depth=1
	s_or_b64 exec, exec, s[8:9]
	v_cmp_gt_i32_e32 vcc, s16, v139
	v_mov_b32_e32 v74, 0
	s_and_saveexec_b64 s[8:9], vcc
	s_cbranch_execz .LBB0_177
; %bb.176:                              ;   in Loop: Header=BB0_148 Depth=1
	v_add_co_u32_e32 v28, vcc, v118, v87
	v_addc_co_u32_e32 v29, vcc, 0, v119, vcc
	global_load_dwordx2 v[73:74], v[28:29], off
.LBB0_177:                              ;   in Loop: Header=BB0_148 Depth=1
	s_or_b64 exec, exec, s[8:9]
	v_cmp_gt_i32_e32 vcc, s16, v140
	v_mov_b32_e32 v75, 0
	v_mov_b32_e32 v76, 0
	s_and_saveexec_b64 s[8:9], vcc
	s_cbranch_execz .LBB0_179
; %bb.178:                              ;   in Loop: Header=BB0_148 Depth=1
	v_add_co_u32_e32 v28, vcc, v114, v87
	v_addc_co_u32_e32 v29, vcc, 0, v115, vcc
	global_load_dwordx2 v[75:76], v[28:29], off
.LBB0_179:                              ;   in Loop: Header=BB0_148 Depth=1
	s_or_b64 exec, exec, s[8:9]
	v_cmp_gt_i32_e64 s[8:9], s16, v141
	s_branch .LBB0_182
.LBB0_180:                              ;   in Loop: Header=BB0_148 Depth=1
	s_mov_b64 s[8:9], 0
                                        ; implicit-def: $vgpr72
                                        ; implicit-def: $vgpr74
                                        ; implicit-def: $vgpr76
	s_cbranch_execz .LBB0_182
; %bb.181:                              ;   in Loop: Header=BB0_148 Depth=1
	global_load_dwordx2 v[71:72], v[26:27], off offset:-4
	v_add_co_u32_e32 v26, vcc, v118, v87
	v_addc_co_u32_e32 v27, vcc, 0, v119, vcc
	global_load_dwordx2 v[73:74], v[26:27], off
	v_add_co_u32_e32 v26, vcc, v114, v87
	v_addc_co_u32_e32 v27, vcc, 0, v115, vcc
	global_load_dwordx2 v[75:76], v[26:27], off
	s_or_b64 s[8:9], s[8:9], exec
.LBB0_182:                              ;   in Loop: Header=BB0_148 Depth=1
	v_mov_b32_e32 v77, 0
	v_mov_b32_e32 v78, 0
	s_and_saveexec_b64 s[14:15], s[8:9]
	s_cbranch_execz .LBB0_184
; %bb.183:                              ;   in Loop: Header=BB0_148 Depth=1
	v_add_co_u32_e32 v26, vcc, v110, v87
	v_addc_co_u32_e32 v27, vcc, 0, v111, vcc
	global_load_dwordx2 v[77:78], v[26:27], off
.LBB0_184:                              ;   in Loop: Header=BB0_148 Depth=1
	s_or_b64 exec, exec, s[14:15]
	ds_read_b64 v[42:43], v129
	ds_read_b128 v[30:33], v127 offset:256
	ds_read_b128 v[26:29], v127 offset:272
	s_and_b64 vcc, exec, s[4:5]
	v_add_co_u32_e64 v85, s[4:5], v106, v87
	s_waitcnt vmcnt(0) lgkmcnt(2)
	v_mul_f32_e32 v44, v72, v43
	v_mul_f32_e32 v45, v72, v42
	v_mul_f32_e32 v46, v74, v43
	v_mul_f32_e32 v47, v74, v42
	v_fmac_f32_e32 v44, v71, v42
	v_fma_f32 v45, v71, v43, -v45
	v_fmac_f32_e32 v46, v73, v42
	v_fma_f32 v47, v73, v43, -v47
	ds_write2_b64 v130, v[44:45], v[46:47] offset1:67
	v_mul_f32_e32 v44, v76, v43
	v_mul_f32_e32 v46, v78, v43
	v_fmac_f32_e32 v44, v75, v42
	v_mul_f32_e32 v45, v76, v42
	v_fmac_f32_e32 v46, v77, v42
	v_mul_f32_e32 v42, v78, v42
	v_fma_f32 v45, v75, v43, -v45
	v_fma_f32 v47, v77, v43, -v42
	ds_write2_b64 v130, v[44:45], v[46:47] offset0:134 offset1:201
	s_waitcnt lgkmcnt(0)
	s_barrier
	ds_read2_b64 v[46:49], v91 offset1:1
	ds_read2_b64 v[42:45], v91 offset0:2 offset1:3
	v_addc_co_u32_e64 v86, s[4:5], 0, v107, s[4:5]
	s_waitcnt lgkmcnt(0)
	s_barrier
	s_cbranch_vccnz .LBB0_192
; %bb.185:                              ;   in Loop: Header=BB0_148 Depth=1
	v_cmp_gt_i32_e32 vcc, s16, v142
	v_mov_b32_e32 v81, 0
	v_mov_b32_e32 v79, 0
	;; [unrolled: 1-line block ×3, first 2 shown]
	s_and_saveexec_b64 s[4:5], vcc
	s_cbranch_execz .LBB0_187
; %bb.186:                              ;   in Loop: Header=BB0_148 Depth=1
	global_load_dwordx2 v[79:80], v[85:86], off
.LBB0_187:                              ;   in Loop: Header=BB0_148 Depth=1
	s_or_b64 exec, exec, s[4:5]
	v_cmp_gt_i32_e32 vcc, s16, v143
	v_mov_b32_e32 v82, 0
	s_and_saveexec_b64 s[4:5], vcc
	s_cbranch_execz .LBB0_189
; %bb.188:                              ;   in Loop: Header=BB0_148 Depth=1
	v_add_co_u32_e32 v81, vcc, v102, v87
	v_addc_co_u32_e32 v82, vcc, 0, v103, vcc
	global_load_dwordx2 v[81:82], v[81:82], off
.LBB0_189:                              ;   in Loop: Header=BB0_148 Depth=1
	s_or_b64 exec, exec, s[4:5]
	v_cmp_gt_i32_e32 vcc, s16, v144
	v_mov_b32_e32 v83, 0
	v_mov_b32_e32 v84, 0
	s_and_saveexec_b64 s[4:5], vcc
	s_cbranch_execz .LBB0_191
; %bb.190:                              ;   in Loop: Header=BB0_148 Depth=1
	v_add_co_u32_e32 v83, vcc, v98, v87
	v_addc_co_u32_e32 v84, vcc, 0, v99, vcc
	global_load_dwordx2 v[83:84], v[83:84], off
.LBB0_191:                              ;   in Loop: Header=BB0_148 Depth=1
	s_or_b64 exec, exec, s[4:5]
	v_cmp_gt_i32_e64 s[4:5], s16, v145
	s_branch .LBB0_194
.LBB0_192:                              ;   in Loop: Header=BB0_148 Depth=1
	s_mov_b64 s[4:5], 0
                                        ; implicit-def: $vgpr80
                                        ; implicit-def: $vgpr82
                                        ; implicit-def: $vgpr84
	s_cbranch_execz .LBB0_194
; %bb.193:                              ;   in Loop: Header=BB0_148 Depth=1
	s_waitcnt vmcnt(0)
	v_add_co_u32_e32 v81, vcc, v102, v87
	v_addc_co_u32_e32 v82, vcc, 0, v103, vcc
	v_add_co_u32_e32 v83, vcc, v98, v87
	v_addc_co_u32_e32 v84, vcc, 0, v99, vcc
	global_load_dwordx2 v[79:80], v[85:86], off
	s_or_b64 s[4:5], s[4:5], exec
	global_load_dwordx2 v[81:82], v[81:82], off
	s_nop 0
	global_load_dwordx2 v[83:84], v[83:84], off
.LBB0_194:                              ;   in Loop: Header=BB0_148 Depth=1
	v_mov_b32_e32 v85, 0
	v_mov_b32_e32 v86, 0
	s_and_saveexec_b64 s[8:9], s[4:5]
	s_cbranch_execz .LBB0_196
; %bb.195:                              ;   in Loop: Header=BB0_148 Depth=1
	v_add_co_u32_e32 v85, vcc, v94, v87
	v_addc_co_u32_e32 v86, vcc, 0, v95, vcc
	global_load_dwordx2 v[85:86], v[85:86], off
.LBB0_196:                              ;   in Loop: Header=BB0_148 Depth=1
	s_or_b64 exec, exec, s[8:9]
	v_add_f32_e32 v38, 0, v38
	v_add_f32_e32 v39, 0, v39
	v_add_f32_e32 v38, v38, v40
	v_add_f32_e32 v39, v39, v41
	v_add_f32_e32 v34, v38, v34
	v_add_f32_e32 v35, v39, v35
	ds_read_b64 v[38:39], v129
	v_add_f32_e32 v46, 0, v46
	v_add_f32_e32 v47, 0, v47
	;; [unrolled: 1-line block ×7, first 2 shown]
	s_waitcnt vmcnt(0) lgkmcnt(0)
	v_mul_f32_e32 v40, v80, v39
	v_mul_f32_e32 v41, v80, v38
	;; [unrolled: 1-line block ×4, first 2 shown]
	v_add_f32_e32 v23, 0, v23
	v_add_f32_e32 v22, v22, v24
	v_fmac_f32_e32 v40, v79, v38
	v_fma_f32 v41, v79, v39, -v41
	v_fmac_f32_e32 v46, v81, v38
	v_fma_f32 v47, v81, v39, -v47
	v_add_f32_e32 v42, v42, v44
	v_add_f32_e32 v43, v43, v45
	;; [unrolled: 1-line block ×6, first 2 shown]
	ds_read_b128 v[34:37], v127 offset:384
	ds_read_b128 v[22:25], v127 offset:400
	ds_write2_b64 v130, v[40:41], v[46:47] offset1:67
	v_mul_f32_e32 v40, v84, v39
	v_mul_f32_e32 v46, v86, v39
	v_fmac_f32_e32 v40, v83, v38
	v_mul_f32_e32 v41, v84, v38
	v_fmac_f32_e32 v46, v85, v38
	v_mul_f32_e32 v38, v86, v38
	v_fma_f32 v41, v83, v39, -v41
	v_fma_f32 v47, v85, v39, -v38
	ds_write2_b64 v130, v[40:41], v[46:47] offset0:134 offset1:201
	s_waitcnt lgkmcnt(0)
	s_barrier
	ds_read2_b64 v[38:41], v91 offset1:1
	v_add_f32_e32 v11, v48, v11
	v_add_f32_e32 v46, v10, v12
	;; [unrolled: 1-line block ×3, first 2 shown]
	ds_read2_b64 v[10:13], v91 offset0:2 offset1:3
	s_waitcnt lgkmcnt(1)
	v_add_f32_e32 v38, 0, v38
	v_add_f32_e32 v39, 0, v39
	v_cmp_gt_i32_e32 vcc, s16, v0
	v_add_f32_e32 v38, v38, v40
	v_add_f32_e32 v39, v39, v41
	s_or_b64 s[4:5], s[12:13], vcc
	s_waitcnt lgkmcnt(0)
	v_add_f32_e32 v10, v38, v10
	v_add_f32_e32 v11, v39, v11
	s_and_b64 s[8:9], s[2:3], s[4:5]
	v_add_f32_e32 v10, v10, v12
	v_add_f32_e32 v11, v11, v13
	s_barrier
	ds_write2_b64 v128, v[46:47], v[44:45] offset1:16
	ds_write2_b64 v128, v[42:43], v[10:11] offset0:32 offset1:48
	s_waitcnt lgkmcnt(0)
	s_barrier
	s_and_saveexec_b64 s[4:5], s[8:9]
	s_cbranch_execz .LBB0_198
; %bb.197:                              ;   in Loop: Header=BB0_148 Depth=1
	ds_read_b64 v[42:43], v124
	ds_read2_b64 v[10:13], v124 offset0:1 offset1:2
	ds_read2_b64 v[38:41], v124 offset0:3 offset1:4
	s_waitcnt lgkmcnt(1)
	v_add_f32_e32 v10, v10, v42
	v_add_f32_e32 v11, v11, v43
	;; [unrolled: 1-line block ×4, first 2 shown]
	ds_read2_b64 v[10:13], v124 offset0:5 offset1:6
	s_waitcnt lgkmcnt(1)
	v_add_f32_e32 v38, v42, v38
	v_add_f32_e32 v39, v43, v39
	v_add_f32_e32 v38, v38, v40
	v_add_f32_e32 v42, v39, v41
	s_waitcnt lgkmcnt(0)
	v_add_f32_e32 v10, v38, v10
	ds_read2_b64 v[38:41], v124 offset0:7 offset1:8
	v_add_f32_e32 v11, v42, v11
	v_add_f32_e32 v42, v10, v12
	;; [unrolled: 1-line block ×3, first 2 shown]
	ds_read2_b64 v[10:13], v124 offset0:9 offset1:10
	s_waitcnt lgkmcnt(1)
	v_add_f32_e32 v38, v42, v38
	v_add_f32_e32 v39, v43, v39
	;; [unrolled: 1-line block ×4, first 2 shown]
	s_waitcnt lgkmcnt(0)
	v_add_f32_e32 v10, v38, v10
	ds_read2_b64 v[38:41], v124 offset0:11 offset1:12
	v_add_f32_e32 v11, v42, v11
	v_add_f32_e32 v42, v10, v12
	;; [unrolled: 1-line block ×3, first 2 shown]
	ds_read2_b64 v[10:13], v124 offset0:13 offset1:14
	s_waitcnt lgkmcnt(1)
	v_add_f32_e32 v38, v42, v38
	v_add_f32_e32 v39, v43, v39
	;; [unrolled: 1-line block ×4, first 2 shown]
	ds_read_b64 v[38:39], v125
	s_waitcnt lgkmcnt(1)
	v_add_f32_e32 v10, v40, v10
	v_add_f32_e32 v11, v41, v11
	;; [unrolled: 1-line block ×3, first 2 shown]
	v_add_u32_e32 v12, s22, v0
	v_add_f32_e32 v11, v11, v13
	v_ashrrev_i32_e32 v13, 31, v12
	v_lshlrev_b64 v[12:13], 3, v[12:13]
	s_waitcnt lgkmcnt(0)
	v_add_f32_e32 v10, v10, v38
	v_mov_b32_e32 v38, s21
	v_add_co_u32_e32 v12, vcc, s7, v12
	v_add_f32_e32 v11, v11, v39
	v_addc_co_u32_e32 v13, vcc, v38, v13, vcc
	global_store_dwordx2 v[12:13], v[10:11], off
.LBB0_198:                              ;   in Loop: Header=BB0_148 Depth=1
	s_or_b64 exec, exec, s[4:5]
	v_mul_f32_e32 v10, v56, v7
	v_fma_f32 v10, v55, v6, -v10
	v_mul_f32_e32 v11, v58, v9
	v_mul_f32_e32 v7, v55, v7
	v_add_f32_e32 v10, v52, v10
	v_fma_f32 v11, v57, v8, -v11
	v_mul_f32_e32 v9, v57, v9
	v_add_f32_e32 v10, v10, v11
	v_mul_f32_e32 v11, v60, v3
	v_fmac_f32_e32 v7, v56, v6
	v_fma_f32 v11, v59, v2, -v11
	v_mul_f32_e32 v3, v59, v3
	v_add_f32_e32 v6, v53, v7
	v_fmac_f32_e32 v9, v58, v8
	v_add_f32_e32 v10, v10, v11
	v_mul_f32_e32 v11, v62, v5
	v_mul_f32_e32 v5, v61, v5
	v_add_f32_e32 v6, v6, v9
	v_fmac_f32_e32 v3, v60, v2
	v_fma_f32 v11, v61, v4, -v11
	v_add_f32_e32 v2, v6, v3
	v_fmac_f32_e32 v5, v62, v4
	v_mul_f32_e32 v3, v64, v19
	v_add_f32_e32 v10, v10, v11
	v_add_f32_e32 v2, v2, v5
	v_fma_f32 v3, v63, v18, -v3
	v_mul_f32_e32 v5, v66, v21
	v_add_f32_e32 v3, v10, v3
	v_fma_f32 v5, v65, v20, -v5
	v_mul_f32_e32 v4, v63, v19
	v_add_f32_e32 v3, v3, v5
	v_mul_f32_e32 v5, v68, v15
	v_mul_f32_e32 v6, v65, v21
	v_fma_f32 v5, v67, v14, -v5
	v_fmac_f32_e32 v4, v64, v18
	v_mul_f32_e32 v7, v67, v15
	v_add_f32_e32 v3, v3, v5
	v_mul_f32_e32 v5, v70, v17
	v_add_f32_e32 v2, v2, v4
	v_fmac_f32_e32 v6, v66, v20
	v_fma_f32 v5, v69, v16, -v5
	v_mul_f32_e32 v8, v69, v17
	v_add_f32_e32 v2, v2, v6
	v_fmac_f32_e32 v7, v68, v14
	v_add_f32_e32 v3, v3, v5
	v_add_f32_e32 v2, v2, v7
	v_fmac_f32_e32 v8, v70, v16
	v_mul_f32_e32 v5, v71, v31
	v_add_f32_e32 v2, v2, v8
	v_mul_f32_e32 v6, v73, v33
	v_fmac_f32_e32 v5, v72, v30
	v_mul_f32_e32 v7, v75, v27
	v_add_f32_e32 v2, v2, v5
	v_fmac_f32_e32 v6, v74, v32
	v_mul_f32_e32 v8, v77, v29
	v_add_f32_e32 v2, v2, v6
	v_fmac_f32_e32 v7, v76, v26
	v_add_f32_e32 v2, v2, v7
	v_fmac_f32_e32 v8, v78, v28
	v_mul_f32_e32 v5, v79, v35
	v_add_f32_e32 v2, v2, v8
	v_mul_f32_e32 v6, v81, v37
	v_fmac_f32_e32 v5, v80, v34
	v_mul_f32_e32 v7, v83, v23
	v_fmac_f32_e32 v6, v82, v36
	v_add_f32_e32 v2, v2, v5
	v_mul_f32_e32 v8, v85, v25
	v_fmac_f32_e32 v7, v84, v22
	v_add_f32_e32 v2, v2, v6
	v_fmac_f32_e32 v8, v86, v24
	v_add_f32_e32 v2, v2, v7
	v_add_f32_e32 v53, v2, v8
	v_mov_b32_e32 v2, s11
	v_add_co_u32_e32 v92, vcc, s10, v92
	v_addc_co_u32_e32 v93, vcc, v93, v2, vcc
	v_add_co_u32_e32 v94, vcc, s10, v94
	v_addc_co_u32_e32 v95, vcc, v95, v2, vcc
	;; [unrolled: 2-line block ×7, first 2 shown]
	v_add_co_u32_e32 v106, vcc, s10, v106
	v_mul_f32_e32 v4, v72, v31
	v_addc_co_u32_e32 v107, vcc, v107, v2, vcc
	v_fma_f32 v4, v71, v30, -v4
	v_add_co_u32_e32 v108, vcc, s10, v108
	v_add_f32_e32 v3, v3, v4
	v_mul_f32_e32 v4, v74, v33
	v_addc_co_u32_e32 v109, vcc, v109, v2, vcc
	v_fma_f32 v4, v73, v32, -v4
	v_add_co_u32_e32 v110, vcc, s10, v110
	v_add_f32_e32 v3, v3, v4
	;; [unrolled: 5-line block ×7, first 2 shown]
	v_mul_f32_e32 v4, v86, v25
	v_addc_co_u32_e32 v121, vcc, v121, v2, vcc
	v_fma_f32 v4, v85, v24, -v4
	s_add_i32 s4, s6, 1
	s_add_i32 s22, s22, 64
	;; [unrolled: 1-line block ×3, first 2 shown]
	v_add_co_u32_e32 v122, vcc, s10, v122
	v_add_f32_e32 v52, v3, v4
	s_cmp_ge_u32 s5, s33
	v_addc_co_u32_e32 v123, vcc, v123, v2, vcc
	s_waitcnt vmcnt(0)
	s_barrier
	s_cbranch_scc1 .LBB0_200
; %bb.199:                              ;   in Loop: Header=BB0_148 Depth=1
	s_mov_b32 s6, s4
	s_cmp_eq_u32 s23, s6
	s_cselect_b32 s16, s36, 0
	s_and_saveexec_b64 s[4:5], s[0:1]
	s_cbranch_execnz .LBB0_144
	s_branch .LBB0_148
.LBB0_200:
	s_movk_i32 s2, 0x218
	v_cmp_gt_i32_e32 vcc, s20, v0
	v_mad_u32_u24 v1, v1, s2, v87
	s_or_b64 s[2:3], s[18:19], vcc
	s_and_b64 s[0:1], s[0:1], s[2:3]
	ds_write_b64 v1, v[52:53]
	s_waitcnt lgkmcnt(0)
	s_barrier
	s_and_saveexec_b64 s[2:3], s[0:1]
	s_cbranch_execz .LBB0_202
; %bb.201:
	ds_read2_b64 v[0:3], v87 offset1:67
	ds_read2_b64 v[4:7], v87 offset0:134 offset1:201
	s_waitcnt lgkmcnt(1)
	v_add_f32_e32 v0, v2, v0
	v_add_f32_e32 v1, v3, v1
	v_lshlrev_b64 v[2:3], 3, v[50:51]
	s_waitcnt lgkmcnt(0)
	v_add_f32_e32 v0, v4, v0
	v_add_f32_e32 v1, v5, v1
	v_mov_b32_e32 v4, s21
	v_add_co_u32_e32 v2, vcc, s7, v2
	v_add_f32_e32 v0, v0, v6
	v_add_f32_e32 v1, v1, v7
	v_addc_co_u32_e32 v3, vcc, v4, v3, vcc
	global_store_dwordx2 v[2:3], v[0:1], off
.LBB0_202:
	s_endpgm
	.section	.rodata,"a",@progbits
	.p2align	6, 0x0
	.amdhsa_kernel _ZL26rocblas_hemvn_kernel_upperILb1ELi64ELi4ELi33ELi32ELi16ElPK19rocblas_complex_numIfES3_PS1_EviT6_lT7_lT5_lS6_lS7_lS5_lT8_i
		.amdhsa_group_segment_fixed_size 9600
		.amdhsa_private_segment_fixed_size 0
		.amdhsa_kernarg_size 376
		.amdhsa_user_sgpr_count 6
		.amdhsa_user_sgpr_private_segment_buffer 1
		.amdhsa_user_sgpr_dispatch_ptr 0
		.amdhsa_user_sgpr_queue_ptr 0
		.amdhsa_user_sgpr_kernarg_segment_ptr 1
		.amdhsa_user_sgpr_dispatch_id 0
		.amdhsa_user_sgpr_flat_scratch_init 0
		.amdhsa_user_sgpr_private_segment_size 0
		.amdhsa_uses_dynamic_stack 0
		.amdhsa_system_sgpr_private_segment_wavefront_offset 0
		.amdhsa_system_sgpr_workgroup_id_x 1
		.amdhsa_system_sgpr_workgroup_id_y 0
		.amdhsa_system_sgpr_workgroup_id_z 1
		.amdhsa_system_sgpr_workgroup_info 0
		.amdhsa_system_vgpr_workitem_id 1
		.amdhsa_next_free_vgpr 146
		.amdhsa_next_free_sgpr 93
		.amdhsa_reserve_vcc 1
		.amdhsa_reserve_flat_scratch 0
		.amdhsa_float_round_mode_32 0
		.amdhsa_float_round_mode_16_64 0
		.amdhsa_float_denorm_mode_32 3
		.amdhsa_float_denorm_mode_16_64 3
		.amdhsa_dx10_clamp 1
		.amdhsa_ieee_mode 1
		.amdhsa_fp16_overflow 0
		.amdhsa_exception_fp_ieee_invalid_op 0
		.amdhsa_exception_fp_denorm_src 0
		.amdhsa_exception_fp_ieee_div_zero 0
		.amdhsa_exception_fp_ieee_overflow 0
		.amdhsa_exception_fp_ieee_underflow 0
		.amdhsa_exception_fp_ieee_inexact 0
		.amdhsa_exception_int_div_zero 0
	.end_amdhsa_kernel
	.section	.text._ZL26rocblas_hemvn_kernel_upperILb1ELi64ELi4ELi33ELi32ELi16ElPK19rocblas_complex_numIfES3_PS1_EviT6_lT7_lT5_lS6_lS7_lS5_lT8_i,"axG",@progbits,_ZL26rocblas_hemvn_kernel_upperILb1ELi64ELi4ELi33ELi32ELi16ElPK19rocblas_complex_numIfES3_PS1_EviT6_lT7_lT5_lS6_lS7_lS5_lT8_i,comdat
.Lfunc_end0:
	.size	_ZL26rocblas_hemvn_kernel_upperILb1ELi64ELi4ELi33ELi32ELi16ElPK19rocblas_complex_numIfES3_PS1_EviT6_lT7_lT5_lS6_lS7_lS5_lT8_i, .Lfunc_end0-_ZL26rocblas_hemvn_kernel_upperILb1ELi64ELi4ELi33ELi32ELi16ElPK19rocblas_complex_numIfES3_PS1_EviT6_lT7_lT5_lS6_lS7_lS5_lT8_i
                                        ; -- End function
	.set _ZL26rocblas_hemvn_kernel_upperILb1ELi64ELi4ELi33ELi32ELi16ElPK19rocblas_complex_numIfES3_PS1_EviT6_lT7_lT5_lS6_lS7_lS5_lT8_i.num_vgpr, 146
	.set _ZL26rocblas_hemvn_kernel_upperILb1ELi64ELi4ELi33ELi32ELi16ElPK19rocblas_complex_numIfES3_PS1_EviT6_lT7_lT5_lS6_lS7_lS5_lT8_i.num_agpr, 0
	.set _ZL26rocblas_hemvn_kernel_upperILb1ELi64ELi4ELi33ELi32ELi16ElPK19rocblas_complex_numIfES3_PS1_EviT6_lT7_lT5_lS6_lS7_lS5_lT8_i.numbered_sgpr, 42
	.set _ZL26rocblas_hemvn_kernel_upperILb1ELi64ELi4ELi33ELi32ELi16ElPK19rocblas_complex_numIfES3_PS1_EviT6_lT7_lT5_lS6_lS7_lS5_lT8_i.num_named_barrier, 0
	.set _ZL26rocblas_hemvn_kernel_upperILb1ELi64ELi4ELi33ELi32ELi16ElPK19rocblas_complex_numIfES3_PS1_EviT6_lT7_lT5_lS6_lS7_lS5_lT8_i.private_seg_size, 0
	.set _ZL26rocblas_hemvn_kernel_upperILb1ELi64ELi4ELi33ELi32ELi16ElPK19rocblas_complex_numIfES3_PS1_EviT6_lT7_lT5_lS6_lS7_lS5_lT8_i.uses_vcc, 1
	.set _ZL26rocblas_hemvn_kernel_upperILb1ELi64ELi4ELi33ELi32ELi16ElPK19rocblas_complex_numIfES3_PS1_EviT6_lT7_lT5_lS6_lS7_lS5_lT8_i.uses_flat_scratch, 0
	.set _ZL26rocblas_hemvn_kernel_upperILb1ELi64ELi4ELi33ELi32ELi16ElPK19rocblas_complex_numIfES3_PS1_EviT6_lT7_lT5_lS6_lS7_lS5_lT8_i.has_dyn_sized_stack, 0
	.set _ZL26rocblas_hemvn_kernel_upperILb1ELi64ELi4ELi33ELi32ELi16ElPK19rocblas_complex_numIfES3_PS1_EviT6_lT7_lT5_lS6_lS7_lS5_lT8_i.has_recursion, 0
	.set _ZL26rocblas_hemvn_kernel_upperILb1ELi64ELi4ELi33ELi32ELi16ElPK19rocblas_complex_numIfES3_PS1_EviT6_lT7_lT5_lS6_lS7_lS5_lT8_i.has_indirect_call, 0
	.section	.AMDGPU.csdata,"",@progbits
; Kernel info:
; codeLenInByte = 9128
; TotalNumSgprs: 46
; NumVgprs: 146
; ScratchSize: 0
; MemoryBound: 1
; FloatMode: 240
; IeeeMode: 1
; LDSByteSize: 9600 bytes/workgroup (compile time only)
; SGPRBlocks: 12
; VGPRBlocks: 36
; NumSGPRsForWavesPerEU: 97
; NumVGPRsForWavesPerEU: 146
; Occupancy: 1
; WaveLimiterHint : 0
; COMPUTE_PGM_RSRC2:SCRATCH_EN: 0
; COMPUTE_PGM_RSRC2:USER_SGPR: 6
; COMPUTE_PGM_RSRC2:TRAP_HANDLER: 0
; COMPUTE_PGM_RSRC2:TGID_X_EN: 1
; COMPUTE_PGM_RSRC2:TGID_Y_EN: 0
; COMPUTE_PGM_RSRC2:TGID_Z_EN: 1
; COMPUTE_PGM_RSRC2:TIDIG_COMP_CNT: 1
	.section	.text._ZL36rocblas_hemvn_kernel_upper_block_sumILi64ElPK19rocblas_complex_numIfEPS1_S1_EviT1_lS5_lT2_lT0_lPT3_i,"axG",@progbits,_ZL36rocblas_hemvn_kernel_upper_block_sumILi64ElPK19rocblas_complex_numIfEPS1_S1_EviT1_lS5_lT2_lT0_lPT3_i,comdat
	.globl	_ZL36rocblas_hemvn_kernel_upper_block_sumILi64ElPK19rocblas_complex_numIfEPS1_S1_EviT1_lS5_lT2_lT0_lPT3_i ; -- Begin function _ZL36rocblas_hemvn_kernel_upper_block_sumILi64ElPK19rocblas_complex_numIfEPS1_S1_EviT1_lS5_lT2_lT0_lPT3_i
	.p2align	8
	.type	_ZL36rocblas_hemvn_kernel_upper_block_sumILi64ElPK19rocblas_complex_numIfEPS1_S1_EviT1_lS5_lT2_lT0_lPT3_i,@function
_ZL36rocblas_hemvn_kernel_upper_block_sumILi64ElPK19rocblas_complex_numIfEPS1_S1_EviT1_lS5_lT2_lT0_lPT3_i: ; @_ZL36rocblas_hemvn_kernel_upper_block_sumILi64ElPK19rocblas_complex_numIfEPS1_S1_EviT1_lS5_lT2_lT0_lPT3_i
; %bb.0:
	s_load_dwordx8 s[8:15], s[4:5], 0x8
	s_waitcnt lgkmcnt(0)
	s_mul_i32 s0, s11, s7
	s_mul_hi_u32 s1, s10, s7
	s_add_i32 s1, s1, s0
	s_mul_i32 s0, s10, s7
	s_lshl_b64 s[0:1], s[0:1], 3
	s_add_u32 s0, s8, s0
	s_addc_u32 s1, s9, s1
	s_load_dwordx2 s[16:17], s[0:1], 0x0
	s_mul_i32 s0, s15, s7
	s_mul_hi_u32 s1, s14, s7
	s_add_i32 s1, s1, s0
	s_mul_i32 s0, s14, s7
	s_lshl_b64 s[0:1], s[0:1], 3
	s_add_u32 s0, s12, s0
	s_addc_u32 s1, s13, s1
	s_load_dwordx2 s[2:3], s[0:1], 0x0
	s_waitcnt lgkmcnt(0)
	s_or_b32 s0, s16, s17
	s_and_b32 s8, s0, 0x7fffffff
	s_cmp_eq_u32 s8, 0
	s_cselect_b64 s[0:1], -1, 0
	s_cmp_lg_u32 s8, 0
	s_mov_b64 s[8:9], -1
	s_cbranch_scc1 .LBB1_2
; %bb.1:
	v_cmp_neq_f32_e64 s[8:9], s2, 1.0
	v_cmp_neq_f32_e64 s[10:11], s3, 0
	s_or_b64 s[8:9], s[8:9], s[10:11]
.LBB1_2:
	s_andn2_b64 vcc, exec, s[8:9]
	s_cbranch_vccnz .LBB1_19
; %bb.3:
	s_load_dwordx8 s[8:15], s[4:5], 0x30
	s_load_dwordx2 s[20:21], s[4:5], 0x28
	s_load_dword s18, s[4:5], 0x0
	v_lshl_or_b32 v0, s6, 6, v0
	s_waitcnt lgkmcnt(0)
	s_mul_i32 s13, s13, s7
	s_mul_hi_u32 s19, s12, s7
	s_mul_i32 s12, s12, s7
	s_add_i32 s13, s19, s13
	s_lshl_b64 s[12:13], s[12:13], 3
	s_add_u32 s12, s20, s12
	s_addc_u32 s13, s21, s13
	s_lshl_b64 s[8:9], s[8:9], 3
	s_add_u32 s12, s12, s8
	s_addc_u32 s13, s13, s9
	s_mov_b64 s[8:9], -1
	s_andn2_b64 vcc, exec, s[0:1]
	v_cmp_gt_i32_e64 s[0:1], s18, v0
	s_cbranch_vccnz .LBB1_9
; %bb.4:
	s_and_saveexec_b64 s[8:9], s[0:1]
	s_cbranch_execz .LBB1_8
; %bb.5:
	v_ashrrev_i32_e32 v1, 31, v0
	v_mul_lo_u32 v4, s11, v0
	v_mul_lo_u32 v5, s10, v1
	v_mad_u64_u32 v[2:3], s[0:1], s10, v0, 0
	v_cmp_neq_f32_e64 s[0:1], s2, 0
	v_cmp_neq_f32_e64 s[20:21], s3, 0
	v_add3_u32 v3, v3, v5, v4
	s_or_b64 s[0:1], s[0:1], s[20:21]
	v_lshlrev_b64 v[3:4], 3, v[2:3]
	v_mov_b32_e32 v1, 0
	s_andn2_b64 vcc, exec, s[0:1]
	v_mov_b32_e32 v2, 0
	s_cbranch_vccnz .LBB1_7
; %bb.6:
	v_mov_b32_e32 v2, s13
	v_add_co_u32_e32 v1, vcc, s12, v3
	v_addc_co_u32_e32 v2, vcc, v2, v4, vcc
	global_load_dwordx2 v[5:6], v[1:2], off
	s_waitcnt vmcnt(0)
	v_mul_f32_e32 v1, s3, v6
	v_mul_f32_e32 v2, s2, v6
	v_fma_f32 v1, v5, s2, -v1
	v_fmac_f32_e32 v2, s3, v5
.LBB1_7:
	v_mov_b32_e32 v5, s13
	v_add_co_u32_e32 v3, vcc, s12, v3
	v_addc_co_u32_e32 v4, vcc, v5, v4, vcc
	global_store_dwordx2 v[3:4], v[1:2], off
.LBB1_8:
	s_or_b64 exec, exec, s[8:9]
	s_mov_b64 s[8:9], 0
.LBB1_9:
	s_andn2_b64 vcc, exec, s[8:9]
	s_cbranch_vccnz .LBB1_19
; %bb.10:
	v_cmp_gt_i32_e32 vcc, s18, v0
	s_and_saveexec_b64 s[0:1], vcc
	s_cbranch_execz .LBB1_19
; %bb.11:
	v_ashrrev_i32_e32 v1, 31, v0
	v_mov_b32_e32 v4, 0
	s_cmp_lt_i32 s6, 0
	v_mov_b32_e32 v5, 0
	s_cbranch_scc1 .LBB1_14
; %bb.12:
	s_load_dword s0, s[4:5], 0x58
	s_ashr_i32 s19, s18, 31
	s_mul_hi_u32 s1, s18, s7
	s_mul_i32 s5, s19, s7
	s_add_i32 s1, s1, s5
	s_mul_i32 s5, s18, s7
	s_add_i32 s4, s6, 1
	s_waitcnt lgkmcnt(0)
	s_mul_i32 s1, s1, s0
	s_mul_hi_u32 s6, s5, s0
	s_add_i32 s1, s6, s1
	s_mul_i32 s0, s5, s0
	s_lshl_b64 s[0:1], s[0:1], 3
	v_lshlrev_b64 v[2:3], 3, v[0:1]
	s_add_u32 s0, s14, s0
	s_addc_u32 s1, s15, s1
	v_mov_b32_e32 v4, s1
	v_add_co_u32_e32 v2, vcc, s0, v2
	v_addc_co_u32_e32 v3, vcc, v4, v3, vcc
	v_add_co_u32_e32 v2, vcc, 4, v2
	s_lshl_b64 s[0:1], s[18:19], 3
	v_addc_co_u32_e32 v3, vcc, 0, v3, vcc
	v_mov_b32_e32 v4, 0
	v_mov_b32_e32 v6, s1
	v_mov_b32_e32 v5, 0
.LBB1_13:                               ; =>This Inner Loop Header: Depth=1
	global_load_dwordx2 v[7:8], v[2:3], off offset:-4
	s_add_i32 s4, s4, -1
	v_add_co_u32_e32 v2, vcc, s0, v2
	v_addc_co_u32_e32 v3, vcc, v3, v6, vcc
	s_cmp_eq_u32 s4, 0
	s_waitcnt vmcnt(0)
	v_add_f32_e32 v5, v5, v7
	v_add_f32_e32 v4, v4, v8
	s_cbranch_scc0 .LBB1_13
.LBB1_14:
	v_mul_lo_u32 v6, s11, v0
	v_mul_lo_u32 v7, s10, v1
	v_cmp_neq_f32_e64 s[0:1], s2, 0
	v_cmp_neq_f32_e64 s[4:5], s3, 0
	s_or_b64 s[0:1], s[0:1], s[4:5]
	v_mul_f32_e32 v3, s17, v4
	v_mul_f32_e32 v2, s16, v4
	s_andn2_b64 vcc, exec, s[0:1]
	v_fma_f32 v1, v5, s16, -v3
	v_fmac_f32_e32 v2, s17, v5
	s_cbranch_vccz .LBB1_16
; %bb.15:
	v_mad_u64_u32 v[3:4], s[0:1], s10, v0, 0
	v_add3_u32 v4, v4, v7, v6
	s_cbranch_execz .LBB1_17
	s_branch .LBB1_18
.LBB1_16:
                                        ; implicit-def: $vgpr3_vgpr4
.LBB1_17:
	v_mad_u64_u32 v[3:4], s[0:1], s10, v0, 0
	v_mov_b32_e32 v0, s13
	v_add3_u32 v4, v4, v7, v6
	v_lshlrev_b64 v[5:6], 3, v[3:4]
	v_add_co_u32_e32 v5, vcc, s12, v5
	v_addc_co_u32_e32 v6, vcc, v0, v6, vcc
	global_load_dwordx2 v[5:6], v[5:6], off
	s_waitcnt vmcnt(0)
	v_mul_f32_e32 v0, s3, v6
	v_mul_f32_e32 v6, s2, v6
	v_fma_f32 v0, v5, s2, -v0
	v_fmac_f32_e32 v6, s3, v5
	v_add_f32_e32 v1, v1, v0
	v_add_f32_e32 v2, v2, v6
.LBB1_18:
	v_lshlrev_b64 v[3:4], 3, v[3:4]
	v_mov_b32_e32 v0, s13
	v_add_co_u32_e32 v3, vcc, s12, v3
	v_addc_co_u32_e32 v4, vcc, v0, v4, vcc
	global_store_dwordx2 v[3:4], v[1:2], off
.LBB1_19:
	s_endpgm
	.section	.rodata,"a",@progbits
	.p2align	6, 0x0
	.amdhsa_kernel _ZL36rocblas_hemvn_kernel_upper_block_sumILi64ElPK19rocblas_complex_numIfEPS1_S1_EviT1_lS5_lT2_lT0_lPT3_i
		.amdhsa_group_segment_fixed_size 0
		.amdhsa_private_segment_fixed_size 0
		.amdhsa_kernarg_size 344
		.amdhsa_user_sgpr_count 6
		.amdhsa_user_sgpr_private_segment_buffer 1
		.amdhsa_user_sgpr_dispatch_ptr 0
		.amdhsa_user_sgpr_queue_ptr 0
		.amdhsa_user_sgpr_kernarg_segment_ptr 1
		.amdhsa_user_sgpr_dispatch_id 0
		.amdhsa_user_sgpr_flat_scratch_init 0
		.amdhsa_user_sgpr_private_segment_size 0
		.amdhsa_uses_dynamic_stack 0
		.amdhsa_system_sgpr_private_segment_wavefront_offset 0
		.amdhsa_system_sgpr_workgroup_id_x 1
		.amdhsa_system_sgpr_workgroup_id_y 0
		.amdhsa_system_sgpr_workgroup_id_z 1
		.amdhsa_system_sgpr_workgroup_info 0
		.amdhsa_system_vgpr_workitem_id 0
		.amdhsa_next_free_vgpr 9
		.amdhsa_next_free_sgpr 22
		.amdhsa_reserve_vcc 1
		.amdhsa_reserve_flat_scratch 0
		.amdhsa_float_round_mode_32 0
		.amdhsa_float_round_mode_16_64 0
		.amdhsa_float_denorm_mode_32 3
		.amdhsa_float_denorm_mode_16_64 3
		.amdhsa_dx10_clamp 1
		.amdhsa_ieee_mode 1
		.amdhsa_fp16_overflow 0
		.amdhsa_exception_fp_ieee_invalid_op 0
		.amdhsa_exception_fp_denorm_src 0
		.amdhsa_exception_fp_ieee_div_zero 0
		.amdhsa_exception_fp_ieee_overflow 0
		.amdhsa_exception_fp_ieee_underflow 0
		.amdhsa_exception_fp_ieee_inexact 0
		.amdhsa_exception_int_div_zero 0
	.end_amdhsa_kernel
	.section	.text._ZL36rocblas_hemvn_kernel_upper_block_sumILi64ElPK19rocblas_complex_numIfEPS1_S1_EviT1_lS5_lT2_lT0_lPT3_i,"axG",@progbits,_ZL36rocblas_hemvn_kernel_upper_block_sumILi64ElPK19rocblas_complex_numIfEPS1_S1_EviT1_lS5_lT2_lT0_lPT3_i,comdat
.Lfunc_end1:
	.size	_ZL36rocblas_hemvn_kernel_upper_block_sumILi64ElPK19rocblas_complex_numIfEPS1_S1_EviT1_lS5_lT2_lT0_lPT3_i, .Lfunc_end1-_ZL36rocblas_hemvn_kernel_upper_block_sumILi64ElPK19rocblas_complex_numIfEPS1_S1_EviT1_lS5_lT2_lT0_lPT3_i
                                        ; -- End function
	.set _ZL36rocblas_hemvn_kernel_upper_block_sumILi64ElPK19rocblas_complex_numIfEPS1_S1_EviT1_lS5_lT2_lT0_lPT3_i.num_vgpr, 9
	.set _ZL36rocblas_hemvn_kernel_upper_block_sumILi64ElPK19rocblas_complex_numIfEPS1_S1_EviT1_lS5_lT2_lT0_lPT3_i.num_agpr, 0
	.set _ZL36rocblas_hemvn_kernel_upper_block_sumILi64ElPK19rocblas_complex_numIfEPS1_S1_EviT1_lS5_lT2_lT0_lPT3_i.numbered_sgpr, 22
	.set _ZL36rocblas_hemvn_kernel_upper_block_sumILi64ElPK19rocblas_complex_numIfEPS1_S1_EviT1_lS5_lT2_lT0_lPT3_i.num_named_barrier, 0
	.set _ZL36rocblas_hemvn_kernel_upper_block_sumILi64ElPK19rocblas_complex_numIfEPS1_S1_EviT1_lS5_lT2_lT0_lPT3_i.private_seg_size, 0
	.set _ZL36rocblas_hemvn_kernel_upper_block_sumILi64ElPK19rocblas_complex_numIfEPS1_S1_EviT1_lS5_lT2_lT0_lPT3_i.uses_vcc, 1
	.set _ZL36rocblas_hemvn_kernel_upper_block_sumILi64ElPK19rocblas_complex_numIfEPS1_S1_EviT1_lS5_lT2_lT0_lPT3_i.uses_flat_scratch, 0
	.set _ZL36rocblas_hemvn_kernel_upper_block_sumILi64ElPK19rocblas_complex_numIfEPS1_S1_EviT1_lS5_lT2_lT0_lPT3_i.has_dyn_sized_stack, 0
	.set _ZL36rocblas_hemvn_kernel_upper_block_sumILi64ElPK19rocblas_complex_numIfEPS1_S1_EviT1_lS5_lT2_lT0_lPT3_i.has_recursion, 0
	.set _ZL36rocblas_hemvn_kernel_upper_block_sumILi64ElPK19rocblas_complex_numIfEPS1_S1_EviT1_lS5_lT2_lT0_lPT3_i.has_indirect_call, 0
	.section	.AMDGPU.csdata,"",@progbits
; Kernel info:
; codeLenInByte = 788
; TotalNumSgprs: 26
; NumVgprs: 9
; ScratchSize: 0
; MemoryBound: 0
; FloatMode: 240
; IeeeMode: 1
; LDSByteSize: 0 bytes/workgroup (compile time only)
; SGPRBlocks: 3
; VGPRBlocks: 2
; NumSGPRsForWavesPerEU: 26
; NumVGPRsForWavesPerEU: 9
; Occupancy: 10
; WaveLimiterHint : 0
; COMPUTE_PGM_RSRC2:SCRATCH_EN: 0
; COMPUTE_PGM_RSRC2:USER_SGPR: 6
; COMPUTE_PGM_RSRC2:TRAP_HANDLER: 0
; COMPUTE_PGM_RSRC2:TGID_X_EN: 1
; COMPUTE_PGM_RSRC2:TGID_Y_EN: 0
; COMPUTE_PGM_RSRC2:TGID_Z_EN: 1
; COMPUTE_PGM_RSRC2:TIDIG_COMP_CNT: 0
	.section	.text._ZL26rocblas_hemvn_kernel_upperILb1ELi64ELi4ELi33ELi32ELi16EiPK19rocblas_complex_numIfES3_PS1_EviT6_lT7_lT5_lS6_lS7_lS5_lT8_i,"axG",@progbits,_ZL26rocblas_hemvn_kernel_upperILb1ELi64ELi4ELi33ELi32ELi16EiPK19rocblas_complex_numIfES3_PS1_EviT6_lT7_lT5_lS6_lS7_lS5_lT8_i,comdat
	.globl	_ZL26rocblas_hemvn_kernel_upperILb1ELi64ELi4ELi33ELi32ELi16EiPK19rocblas_complex_numIfES3_PS1_EviT6_lT7_lT5_lS6_lS7_lS5_lT8_i ; -- Begin function _ZL26rocblas_hemvn_kernel_upperILb1ELi64ELi4ELi33ELi32ELi16EiPK19rocblas_complex_numIfES3_PS1_EviT6_lT7_lT5_lS6_lS7_lS5_lT8_i
	.p2align	8
	.type	_ZL26rocblas_hemvn_kernel_upperILb1ELi64ELi4ELi33ELi32ELi16EiPK19rocblas_complex_numIfES3_PS1_EviT6_lT7_lT5_lS6_lS7_lS5_lT8_i,@function
_ZL26rocblas_hemvn_kernel_upperILb1ELi64ELi4ELi33ELi32ELi16EiPK19rocblas_complex_numIfES3_PS1_EviT6_lT7_lT5_lS6_lS7_lS5_lT8_i: ; @_ZL26rocblas_hemvn_kernel_upperILb1ELi64ELi4ELi33ELi32ELi16EiPK19rocblas_complex_numIfES3_PS1_EviT6_lT7_lT5_lS6_lS7_lS5_lT8_i
; %bb.0:
	s_load_dwordx2 s[2:3], s[4:5], 0x84
	s_add_u32 s0, s4, 0x78
	s_addc_u32 s1, s5, 0
	s_waitcnt lgkmcnt(0)
	s_lshr_b32 s8, s2, 16
	s_and_b32 s2, s2, 0xffff
	s_and_b32 s3, s3, 0xffff
	s_mul_i32 s2, s8, s2
	s_mul_i32 s2, s2, s3
	s_cmpk_lg_i32 s2, 0x100
	s_cbranch_scc1 .LBB2_202
; %bb.1:
	s_load_dwordx8 s[16:23], s[4:5], 0x8
	s_waitcnt lgkmcnt(0)
	s_mul_i32 s3, s19, s7
	s_mul_hi_u32 s8, s18, s7
	s_mul_i32 s2, s18, s7
	s_add_i32 s3, s8, s3
	s_lshl_b64 s[2:3], s[2:3], 3
	s_add_u32 s2, s16, s2
	s_addc_u32 s3, s17, s3
	s_load_dwordx2 s[8:9], s[2:3], 0x0
	s_load_dwordx8 s[12:19], s[4:5], 0x50
	s_waitcnt lgkmcnt(0)
	s_or_b32 s2, s8, s9
	s_bitset0_b32 s2, 31
	s_cmp_lg_u32 s2, 0
	s_cselect_b64 s[2:3], -1, 0
	s_mov_b64 s[8:9], -1
	s_and_b64 vcc, exec, s[2:3]
	s_cbranch_vccnz .LBB2_3
; %bb.2:
	s_mul_i32 s8, s17, s7
	s_mul_hi_u32 s9, s16, s7
	s_add_i32 s9, s9, s8
	s_mul_i32 s8, s16, s7
	s_lshl_b64 s[8:9], s[8:9], 3
	s_add_u32 s8, s14, s8
	s_addc_u32 s9, s15, s9
	s_load_dwordx2 s[10:11], s[8:9], 0x0
	s_waitcnt lgkmcnt(0)
	v_cmp_neq_f32_e64 s[8:9], s10, 1.0
	v_cmp_neq_f32_e64 s[10:11], s11, 0
	s_or_b64 s[8:9], s[8:9], s[10:11]
.LBB2_3:
	s_andn2_b64 vcc, exec, s[8:9]
	s_cbranch_vccnz .LBB2_202
; %bb.4:
	s_andn2_b64 vcc, exec, s[2:3]
	s_cbranch_vccnz .LBB2_202
; %bb.5:
	s_load_dword s33, s[0:1], 0x0
	s_load_dword s40, s[4:5], 0x0
	s_load_dwordx4 s[8:11], s[4:5], 0x30
	s_load_dwordx2 s[2:3], s[4:5], 0x40
	s_load_dword s39, s[4:5], 0x48
	s_mul_i32 s0, s13, s7
	s_mul_hi_u32 s1, s12, s7
	s_add_i32 s1, s1, s0
	s_mul_i32 s0, s12, s7
	s_lshl_b64 s[0:1], s[0:1], 3
	s_waitcnt lgkmcnt(0)
	s_add_u32 s10, s10, s0
	s_addc_u32 s11, s11, s1
	s_lshl_b64 s[0:1], s[2:3], 3
	s_add_u32 s0, s10, s0
	s_addc_u32 s1, s11, s1
	s_lshl_b32 s24, s6, 6
	v_add_u32_e32 v50, s24, v0
	v_mul_lo_u32 v2, s39, v50
	s_ashr_i32 s41, s40, 31
	s_lshr_b32 s3, s41, 26
	s_add_i32 s3, s40, s3
	v_ashrrev_i32_e32 v3, 31, v2
	s_andn2_b32 s3, s3, 63
	v_lshlrev_b64 v[2:3], 3, v[2:3]
	s_add_i32 s2, s33, -1
	s_sub_i32 s38, s40, s3
	s_cmp_eq_u32 s6, s2
	v_mov_b32_e32 v4, s1
	v_add_co_u32_e32 v16, vcc, s0, v2
	s_cselect_b32 s16, s38, 0
	v_addc_co_u32_e32 v17, vcc, v4, v3, vcc
	v_cmp_eq_u32_e64 s[0:1], 0, v1
	s_and_saveexec_b64 s[2:3], s[0:1]
	s_cbranch_execz .LBB2_10
; %bb.6:
	s_cmp_lg_u32 s16, 0
	s_cselect_b64 s[10:11], -1, 0
	v_cmp_le_i32_e32 vcc, s16, v0
	v_mov_b32_e32 v2, 0x2380
	s_and_b64 s[10:11], s[10:11], vcc
	v_lshl_add_u32 v2, v0, 3, v2
	s_and_saveexec_b64 s[12:13], s[10:11]
	s_xor_b64 s[10:11], exec, s[12:13]
; %bb.7:
	v_mov_b32_e32 v3, 0
	v_mov_b32_e32 v4, v3
	ds_write_b64 v2, v[3:4]
                                        ; implicit-def: $vgpr2
; %bb.8:
	s_andn2_saveexec_b64 s[10:11], s[10:11]
	s_cbranch_execz .LBB2_10
; %bb.9:
	global_load_dwordx2 v[3:4], v[16:17], off
	s_waitcnt vmcnt(0)
	ds_write_b64 v2, v[3:4]
.LBB2_10:
	s_or_b64 exec, exec, s[2:3]
	s_mul_i32 s2, s9, s7
	s_mul_hi_u32 s3, s8, s7
	s_add_i32 s3, s3, s2
	s_mul_i32 s2, s8, s7
	s_lshl_b64 s[2:3], s[2:3], 3
	s_add_u32 s8, s20, s2
	s_addc_u32 s9, s21, s3
	s_lshl_b64 s[2:3], s[22:23], 3
	s_load_dword s22, s[4:5], 0x28
	v_lshl_add_u32 v24, v1, 6, v0
	v_and_b32_e32 v2, 31, v0
	v_lshrrev_b32_e32 v9, 5, v24
	s_add_u32 s4, s8, s2
	s_addc_u32 s5, s9, s3
	s_waitcnt lgkmcnt(0)
	v_mad_u64_u32 v[3:4], s[2:3], s22, v9, v[2:3]
	s_ashr_i32 s25, s24, 31
	s_lshl_b64 s[2:3], s[24:25], 3
	v_ashrrev_i32_e32 v4, 31, v3
	v_lshlrev_b64 v[14:15], 3, v[3:4]
	s_add_u32 s2, s4, s2
	s_addc_u32 s3, s5, s3
	v_add_co_u32_e32 v4, vcc, s2, v14
	s_mul_i32 s2, s22, s24
	v_mov_b32_e32 v3, s3
	s_ashr_i32 s3, s2, 31
	s_lshl_b64 s[2:3], s[2:3], 3
	v_addc_co_u32_e32 v3, vcc, v3, v15, vcc
	s_cmp_eq_u32 s16, 0
	v_mov_b32_e32 v6, s3
	v_add_co_u32_e32 v5, vcc, s2, v4
	s_cselect_b64 s[20:21], -1, 0
	s_cmp_lg_u32 s16, 0
	v_addc_co_u32_e32 v6, vcc, v3, v6, vcc
	s_cselect_b64 s[28:29], -1, 0
	s_and_b64 vcc, exec, s[28:29]
	v_cmp_gt_i32_e64 s[2:3], s16, v2
	v_lshlrev_b32_e32 v10, 3, v2
	s_cbranch_vccz .LBB2_28
; %bb.11:
	v_sub_co_u32_e32 v3, vcc, v5, v10
	s_ashr_i32 s17, s16, 31
	v_subbrev_co_u32_e32 v4, vcc, 0, v6, vcc
	s_lshl_b64 s[4:5], s[16:17], 3
	v_mov_b32_e32 v7, s5
	v_add_co_u32_e32 v3, vcc, s4, v3
	v_addc_co_u32_e32 v4, vcc, v4, v7, vcc
	v_add_co_u32_e32 v3, vcc, -8, v3
	v_addc_co_u32_e32 v4, vcc, -1, v4, vcc
	v_mul_u32_u24_e32 v7, 0x108, v9
	v_cndmask_b32_e64 v4, v4, v6, s[2:3]
	v_cndmask_b32_e64 v3, v3, v5, s[2:3]
	v_cmp_le_i32_e32 vcc, s16, v9
	v_add_u32_e32 v7, v10, v7
	s_and_saveexec_b64 s[8:9], vcc
	s_xor_b64 s[8:9], exec, s[8:9]
; %bb.12:
	v_mov_b32_e32 v11, 0
	v_mov_b32_e32 v12, v11
	ds_write_b64 v7, v[11:12]
; %bb.13:
	s_andn2_saveexec_b64 s[8:9], s[8:9]
	s_cbranch_execz .LBB2_15
; %bb.14:
	global_load_dwordx2 v[11:12], v[3:4], off
	s_waitcnt vmcnt(0)
	ds_write_b64 v7, v[11:12]
.LBB2_15:
	s_or_b64 exec, exec, s[8:9]
	v_add_u32_e32 v8, 8, v9
	v_cmp_le_i32_e32 vcc, s16, v8
	s_and_saveexec_b64 s[8:9], vcc
	s_xor_b64 s[8:9], exec, s[8:9]
; %bb.16:
	v_mov_b32_e32 v11, 0
	v_mov_b32_e32 v12, v11
	ds_write_b64 v7, v[11:12] offset:2112
; %bb.17:
	s_andn2_saveexec_b64 s[8:9], s[8:9]
	s_cbranch_execz .LBB2_19
; %bb.18:
	s_lshl_b32 s10, s22, 3
	s_ashr_i32 s11, s10, 31
	s_lshl_b64 s[10:11], s[10:11], 3
	v_mov_b32_e32 v8, s11
	v_add_co_u32_e32 v11, vcc, s10, v3
	v_addc_co_u32_e32 v12, vcc, v4, v8, vcc
	global_load_dwordx2 v[11:12], v[11:12], off
	s_waitcnt vmcnt(0)
	ds_write_b64 v7, v[11:12] offset:2112
.LBB2_19:
	s_or_b64 exec, exec, s[8:9]
	v_add_u32_e32 v8, 16, v9
	v_cmp_le_i32_e32 vcc, s16, v8
	s_and_saveexec_b64 s[8:9], vcc
	s_xor_b64 s[8:9], exec, s[8:9]
; %bb.20:
	v_mov_b32_e32 v11, 0
	v_mov_b32_e32 v12, v11
	ds_write_b64 v7, v[11:12] offset:4224
; %bb.21:
	s_andn2_saveexec_b64 s[8:9], s[8:9]
	s_cbranch_execz .LBB2_23
; %bb.22:
	s_lshl_b32 s10, s22, 4
	s_ashr_i32 s11, s10, 31
	s_lshl_b64 s[10:11], s[10:11], 3
	v_mov_b32_e32 v8, s11
	v_add_co_u32_e32 v11, vcc, s10, v3
	v_addc_co_u32_e32 v12, vcc, v4, v8, vcc
	global_load_dwordx2 v[11:12], v[11:12], off
	s_waitcnt vmcnt(0)
	ds_write_b64 v7, v[11:12] offset:4224
.LBB2_23:
	s_or_b64 exec, exec, s[8:9]
	v_add_u32_e32 v8, 24, v9
	v_cmp_le_i32_e32 vcc, s16, v8
	s_and_saveexec_b64 s[8:9], vcc
	s_xor_b64 s[8:9], exec, s[8:9]
; %bb.24:
	v_mov_b32_e32 v11, 0
	v_mov_b32_e32 v12, v11
	ds_write_b64 v7, v[11:12] offset:6336
                                        ; implicit-def: $vgpr7
; %bb.25:
	s_andn2_saveexec_b64 s[8:9], s[8:9]
	s_cbranch_execz .LBB2_27
; %bb.26:
	s_mul_i32 s10, s22, 24
	s_ashr_i32 s11, s10, 31
	s_lshl_b64 s[10:11], s[10:11], 3
	v_mov_b32_e32 v8, s11
	v_add_co_u32_e32 v11, vcc, s10, v3
	v_addc_co_u32_e32 v12, vcc, v4, v8, vcc
	global_load_dwordx2 v[11:12], v[11:12], off
	s_waitcnt vmcnt(0)
	ds_write_b64 v7, v[11:12] offset:6336
.LBB2_27:
	s_or_b64 exec, exec, s[8:9]
	v_add_co_u32_e32 v3, vcc, v3, v10
	v_addc_co_u32_e32 v4, vcc, 0, v4, vcc
	v_mov_b32_e32 v7, s5
	v_subrev_co_u32_e32 v3, vcc, s4, v3
	v_subb_co_u32_e32 v4, vcc, v4, v7, vcc
	v_add_co_u32_e32 v3, vcc, 8, v3
	v_addc_co_u32_e32 v4, vcc, 0, v4, vcc
	v_cndmask_b32_e64 v4, v4, v6, s[2:3]
	v_cndmask_b32_e64 v3, v3, v5, s[2:3]
	s_branch .LBB2_30
.LBB2_28:
                                        ; implicit-def: $vgpr3_vgpr4
	s_cbranch_execz .LBB2_30
; %bb.29:
	s_lshl_b32 s2, s22, 3
	s_ashr_i32 s3, s2, 31
	s_lshl_b64 s[2:3], s[2:3], 3
	v_mov_b32_e32 v4, s3
	v_add_co_u32_e32 v3, vcc, s2, v5
	s_ashr_i32 s23, s22, 31
	v_addc_co_u32_e32 v4, vcc, v6, v4, vcc
	s_lshl_b64 s[2:3], s[22:23], 6
	v_mov_b32_e32 v12, s3
	v_add_co_u32_e32 v7, vcc, s2, v3
	v_addc_co_u32_e32 v8, vcc, v4, v12, vcc
	v_add_co_u32_e32 v11, vcc, s2, v7
	v_addc_co_u32_e32 v12, vcc, v8, v12, vcc
	global_load_dwordx2 v[18:19], v[5:6], off
	global_load_dwordx2 v[20:21], v[3:4], off
	;; [unrolled: 1-line block ×4, first 2 shown]
	v_mul_u32_u24_e32 v3, 0x108, v9
	v_lshl_add_u32 v3, v2, 3, v3
	s_waitcnt vmcnt(3)
	ds_write_b64 v3, v[18:19]
	s_waitcnt vmcnt(2)
	ds_write_b64 v3, v[20:21] offset:2112
	s_waitcnt vmcnt(1)
	ds_write_b64 v3, v[22:23] offset:4224
	;; [unrolled: 2-line block ×3, first 2 shown]
	v_mov_b32_e32 v3, v5
	v_mov_b32_e32 v4, v6
.LBB2_30:
	v_lshlrev_b32_e32 v12, 2, v9
	v_mul_u32_u24_e32 v11, 0x108, v2
	v_cmp_le_u32_e64 s[4:5], v12, v2
	s_mov_b64 s[2:3], 0
	s_waitcnt lgkmcnt(0)
	s_barrier
                                        ; implicit-def: $vgpr6
	s_and_saveexec_b64 s[8:9], s[4:5]
	s_xor_b64 s[8:9], exec, s[8:9]
	s_cbranch_execz .LBB2_34
; %bb.31:
	v_cmp_eq_u32_e32 vcc, v12, v2
                                        ; implicit-def: $vgpr6
	s_and_saveexec_b64 s[10:11], vcc
	s_xor_b64 s[10:11], exec, s[10:11]
; %bb.32:
	s_mov_b64 s[2:3], exec
	v_add_u32_e32 v6, v10, v11
; %bb.33:
	s_or_b64 exec, exec, s[10:11]
	s_and_b64 s[2:3], s[2:3], exec
.LBB2_34:
	s_or_saveexec_b64 s[8:9], s[8:9]
	v_lshl_or_b32 v5, v2, 8, v10
	v_mov_b32_e32 v7, 0
	v_lshl_add_u32 v5, v12, 3, v5
	s_xor_b64 exec, exec, s[8:9]
	s_cbranch_execz .LBB2_36
; %bb.35:
	s_movk_i32 s10, 0x420
	v_mad_u32_u24 v6, v9, s10, v10
	ds_read_b64 v[6:7], v6
	s_or_b64 s[2:3], s[2:3], exec
	s_waitcnt lgkmcnt(0)
	v_xor_b32_e32 v7, 0x80000000, v7
	ds_write_b32 v5, v6
	v_mov_b32_e32 v6, v5
.LBB2_36:
	s_or_b64 exec, exec, s[8:9]
	s_and_saveexec_b64 s[8:9], s[2:3]
; %bb.37:
	ds_write_b32 v6, v7 offset:4
; %bb.38:
	s_or_b64 exec, exec, s[8:9]
	v_or_b32_e32 v13, 1, v12
	v_cmp_ge_u32_e64 s[14:15], v12, v2
	s_mov_b64 s[2:3], 0
                                        ; implicit-def: $vgpr7
                                        ; implicit-def: $vgpr6
	s_and_saveexec_b64 s[8:9], s[14:15]
	s_xor_b64 s[8:9], exec, s[8:9]
	s_cbranch_execnz .LBB2_70
; %bb.39:
	s_andn2_saveexec_b64 s[8:9], s[8:9]
	s_cbranch_execnz .LBB2_71
.LBB2_40:
	s_or_b64 exec, exec, s[8:9]
	s_and_saveexec_b64 s[8:9], s[2:3]
.LBB2_41:
	ds_write_b32 v6, v7 offset:4
.LBB2_42:
	s_or_b64 exec, exec, s[8:9]
	v_or_b32_e32 v18, 2, v12
	v_cmp_le_u32_e64 s[8:9], v18, v2
	s_mov_b64 s[2:3], 0
                                        ; implicit-def: $vgpr6
	s_and_saveexec_b64 s[10:11], s[8:9]
	s_xor_b64 s[10:11], exec, s[10:11]
	s_cbranch_execnz .LBB2_74
; %bb.43:
	s_or_saveexec_b64 s[10:11], s[10:11]
	v_mov_b32_e32 v7, 0
	s_xor_b64 exec, exec, s[10:11]
	s_cbranch_execnz .LBB2_77
.LBB2_44:
	s_or_b64 exec, exec, s[10:11]
	s_and_saveexec_b64 s[10:11], s[2:3]
.LBB2_45:
	ds_write_b32 v6, v7 offset:4
.LBB2_46:
	s_or_b64 exec, exec, s[10:11]
	v_or_b32_e32 v19, 3, v12
	v_cmp_le_u32_e64 s[10:11], v19, v2
	s_mov_b64 s[2:3], 0
                                        ; implicit-def: $vgpr6
	s_and_saveexec_b64 s[12:13], s[10:11]
	s_xor_b64 s[12:13], exec, s[12:13]
	s_cbranch_execnz .LBB2_78
; %bb.47:
	s_or_saveexec_b64 s[12:13], s[12:13]
	v_mov_b32_e32 v7, 0
	s_xor_b64 exec, exec, s[12:13]
	s_cbranch_execnz .LBB2_81
.LBB2_48:
	s_or_b64 exec, exec, s[12:13]
	s_and_saveexec_b64 s[12:13], s[2:3]
.LBB2_49:
	ds_write_b32 v6, v7 offset:4
.LBB2_50:
	s_or_b64 exec, exec, s[12:13]
	s_movk_i32 s2, 0x420
	v_mad_u32_u24 v5, v9, s2, v10
	s_waitcnt lgkmcnt(0)
	s_barrier
	v_lshlrev_b32_e32 v22, 3, v12
	ds_read_b64 v[20:21], v5
	ds_read_b128 v[5:8], v22 offset:9088
	ds_read_b128 v[25:28], v22 offset:9104
	s_movk_i32 s2, 0x108
	v_mov_b32_e32 v51, 0
	v_mov_b32_e32 v52, 0
	s_waitcnt lgkmcnt(1)
	v_mul_f32_e32 v23, v6, v21
	v_fma_f32 v23, v5, v20, -v23
	v_mul_f32_e32 v5, v5, v21
	v_mad_u32_u24 v21, v13, s2, v10
	ds_read2_b64 v[29:32], v21 offset1:33
	v_fmac_f32_e32 v5, v6, v20
	v_add_f32_e32 v6, 0, v23
	v_add_f32_e32 v5, 0, v5
	v_cmp_gt_u32_e64 s[2:3], 32, v24
	s_waitcnt lgkmcnt(0)
	v_mul_f32_e32 v20, v8, v30
	v_fma_f32 v20, v7, v29, -v20
	v_mul_f32_e32 v7, v7, v30
	v_fmac_f32_e32 v7, v8, v29
	v_add_f32_e32 v8, v6, v20
	v_add_f32_e32 v7, v5, v7
	ds_read_b64 v[5:6], v21 offset:528
	v_mul_f32_e32 v20, v26, v32
	v_fma_f32 v20, v25, v31, -v20
	v_mul_f32_e32 v21, v25, v32
	v_fmac_f32_e32 v21, v26, v31
	v_add_f32_e32 v8, v8, v20
	s_waitcnt lgkmcnt(0)
	v_mul_f32_e32 v20, v28, v6
	v_mul_f32_e32 v6, v27, v6
	v_add_f32_e32 v7, v7, v21
	v_fmac_f32_e32 v6, v28, v5
	v_add_f32_e32 v6, v7, v6
	v_mul_u32_u24_e32 v7, 33, v2
	v_fma_f32 v20, v27, v5, -v20
	v_lshlrev_b32_e32 v25, 3, v7
	v_add_f32_e32 v5, v8, v20
	v_lshl_add_u32 v26, v9, 3, v25
	s_barrier
	ds_write_b64 v26, v[5:6]
	s_waitcnt lgkmcnt(0)
	s_barrier
	s_and_saveexec_b64 s[12:13], s[2:3]
	s_cbranch_execz .LBB2_52
; %bb.51:
	ds_read2_b64 v[5:8], v25 offset1:7
	ds_read2_b64 v[27:30], v25 offset0:1 offset1:2
	ds_read2_b64 v[31:34], v25 offset0:3 offset1:4
	s_waitcnt lgkmcnt(1)
	v_add_f32_e32 v5, v27, v5
	v_add_f32_e32 v6, v28, v6
	;; [unrolled: 1-line block ×4, first 2 shown]
	ds_read2_b64 v[27:30], v25 offset0:5 offset1:6
	s_waitcnt lgkmcnt(1)
	v_add_f32_e32 v5, v5, v31
	v_add_f32_e32 v6, v6, v32
	;; [unrolled: 1-line block ×4, first 2 shown]
	s_waitcnt lgkmcnt(0)
	v_add_f32_e32 v5, v5, v27
	v_add_f32_e32 v6, v6, v28
	;; [unrolled: 1-line block ×6, first 2 shown]
.LBB2_52:
	s_or_b64 exec, exec, s[12:13]
	s_lshl_b32 s30, s22, 5
	s_ashr_i32 s31, s30, 31
	s_lshl_b64 s[26:27], s[30:31], 3
	v_mov_b32_e32 v5, s27
	v_add_co_u32_e32 v7, vcc, s26, v3
	v_addc_co_u32_e32 v8, vcc, v4, v5, vcc
	v_add_co_u32_e32 v5, vcc, 0x100, v7
	v_addc_co_u32_e32 v6, vcc, 0, v8, vcc
	s_and_b64 vcc, exec, s[28:29]
	s_barrier
	s_cbranch_vccz .LBB2_82
; %bb.53:
	v_sub_co_u32_e32 v4, vcc, v7, v10
	s_ashr_i32 s17, s16, 31
	v_subbrev_co_u32_e32 v20, vcc, 0, v8, vcc
	s_lshl_b64 s[34:35], s[16:17], 3
	v_mov_b32_e32 v21, s35
	v_add_co_u32_e32 v4, vcc, s34, v4
	v_addc_co_u32_e32 v20, vcc, v20, v21, vcc
	v_or_b32_e32 v3, 32, v2
	v_add_co_u32_e32 v21, vcc, -8, v4
	v_addc_co_u32_e32 v4, vcc, -1, v20, vcc
	v_cmp_gt_i32_e64 s[12:13], s16, v3
	s_sub_i32 s17, s16, 32
	v_mul_u32_u24_e32 v20, 0x108, v9
	v_cndmask_b32_e64 v4, v4, v6, s[12:13]
	v_cndmask_b32_e64 v3, v21, v5, s[12:13]
	v_cmp_le_i32_e32 vcc, s17, v9
	v_add_u32_e32 v20, v10, v20
	s_and_saveexec_b64 s[36:37], vcc
	s_xor_b64 s[36:37], exec, s[36:37]
; %bb.54:
	v_mov_b32_e32 v27, 0
	v_mov_b32_e32 v28, v27
	ds_write_b64 v20, v[27:28]
; %bb.55:
	s_andn2_saveexec_b64 s[36:37], s[36:37]
	s_cbranch_execz .LBB2_57
; %bb.56:
	global_load_dwordx2 v[27:28], v[3:4], off
	s_waitcnt vmcnt(0)
	ds_write_b64 v20, v[27:28]
.LBB2_57:
	s_or_b64 exec, exec, s[36:37]
	v_add_u32_e32 v21, 8, v9
	v_cmp_le_i32_e32 vcc, s17, v21
	s_and_saveexec_b64 s[36:37], vcc
	s_xor_b64 s[36:37], exec, s[36:37]
; %bb.58:
	v_mov_b32_e32 v27, 0
	v_mov_b32_e32 v28, v27
	ds_write_b64 v20, v[27:28] offset:2112
; %bb.59:
	s_andn2_saveexec_b64 s[36:37], s[36:37]
	s_cbranch_execz .LBB2_61
; %bb.60:
	s_lshl_b32 s42, s22, 3
	s_ashr_i32 s43, s42, 31
	s_lshl_b64 s[42:43], s[42:43], 3
	v_mov_b32_e32 v21, s43
	v_add_co_u32_e32 v27, vcc, s42, v3
	v_addc_co_u32_e32 v28, vcc, v4, v21, vcc
	global_load_dwordx2 v[27:28], v[27:28], off
	s_waitcnt vmcnt(0)
	ds_write_b64 v20, v[27:28] offset:2112
.LBB2_61:
	s_or_b64 exec, exec, s[36:37]
	v_add_u32_e32 v21, 16, v9
	v_cmp_le_i32_e32 vcc, s17, v21
	s_and_saveexec_b64 s[36:37], vcc
	s_xor_b64 s[36:37], exec, s[36:37]
; %bb.62:
	v_mov_b32_e32 v27, 0
	v_mov_b32_e32 v28, v27
	ds_write_b64 v20, v[27:28] offset:4224
; %bb.63:
	s_andn2_saveexec_b64 s[36:37], s[36:37]
	s_cbranch_execz .LBB2_65
; %bb.64:
	s_lshl_b32 s42, s22, 4
	s_ashr_i32 s43, s42, 31
	s_lshl_b64 s[42:43], s[42:43], 3
	v_mov_b32_e32 v21, s43
	v_add_co_u32_e32 v27, vcc, s42, v3
	v_addc_co_u32_e32 v28, vcc, v4, v21, vcc
	global_load_dwordx2 v[27:28], v[27:28], off
	s_waitcnt vmcnt(0)
	ds_write_b64 v20, v[27:28] offset:4224
.LBB2_65:
	s_or_b64 exec, exec, s[36:37]
	v_add_u32_e32 v21, 24, v9
	v_cmp_le_i32_e32 vcc, s17, v21
	s_and_saveexec_b64 s[36:37], vcc
	s_xor_b64 s[36:37], exec, s[36:37]
; %bb.66:
	v_mov_b32_e32 v27, 0
	v_mov_b32_e32 v28, v27
	ds_write_b64 v20, v[27:28] offset:6336
                                        ; implicit-def: $vgpr20
; %bb.67:
	s_andn2_saveexec_b64 s[36:37], s[36:37]
	s_cbranch_execz .LBB2_69
; %bb.68:
	s_mul_i32 s42, s22, 24
	s_ashr_i32 s43, s42, 31
	s_lshl_b64 s[42:43], s[42:43], 3
	v_mov_b32_e32 v21, s43
	v_add_co_u32_e32 v27, vcc, s42, v3
	v_addc_co_u32_e32 v28, vcc, v4, v21, vcc
	global_load_dwordx2 v[27:28], v[27:28], off
	s_waitcnt vmcnt(0)
	ds_write_b64 v20, v[27:28] offset:6336
.LBB2_69:
	s_or_b64 exec, exec, s[36:37]
	v_add_co_u32_e32 v3, vcc, v3, v10
	v_addc_co_u32_e32 v4, vcc, 0, v4, vcc
	v_mov_b32_e32 v20, s35
	v_subrev_co_u32_e32 v3, vcc, s34, v3
	v_subb_co_u32_e32 v4, vcc, v4, v20, vcc
	v_add_co_u32_e32 v3, vcc, 0x108, v3
	v_addc_co_u32_e32 v4, vcc, 0, v4, vcc
	v_cndmask_b32_e64 v4, v4, v6, s[12:13]
	v_cndmask_b32_e64 v3, v3, v5, s[12:13]
	s_branch .LBB2_84
.LBB2_70:
	s_movk_i32 s10, 0x108
	v_mad_u32_u24 v6, v13, s10, v10
	ds_read_b64 v[18:19], v6
	s_mov_b64 s[2:3], exec
	v_add_u32_e32 v6, 8, v5
	s_waitcnt lgkmcnt(0)
	v_xor_b32_e32 v7, 0x80000000, v19
	ds_write_b32 v5, v18 offset:8
	s_andn2_saveexec_b64 s[8:9], s[8:9]
	s_cbranch_execz .LBB2_40
.LBB2_71:
	v_cmp_eq_u32_e32 vcc, v13, v2
	s_mov_b64 s[10:11], s[2:3]
                                        ; implicit-def: $vgpr6
	s_and_saveexec_b64 s[12:13], vcc
; %bb.72:
	v_add_u32_e32 v6, v10, v11
	s_or_b64 s[10:11], s[2:3], exec
; %bb.73:
	s_or_b64 exec, exec, s[12:13]
	s_andn2_b64 s[2:3], s[2:3], exec
	s_and_b64 s[10:11], s[10:11], exec
	v_mov_b32_e32 v7, 0
	s_or_b64 s[2:3], s[2:3], s[10:11]
	s_or_b64 exec, exec, s[8:9]
	s_and_saveexec_b64 s[8:9], s[2:3]
	s_cbranch_execnz .LBB2_41
	s_branch .LBB2_42
.LBB2_74:
	v_cmp_eq_u32_e32 vcc, v18, v2
                                        ; implicit-def: $vgpr6
	s_and_saveexec_b64 s[12:13], vcc
; %bb.75:
	s_mov_b64 s[2:3], exec
	v_add_u32_e32 v6, v10, v11
; %bb.76:
	s_or_b64 exec, exec, s[12:13]
	s_and_b64 s[2:3], s[2:3], exec
	s_or_saveexec_b64 s[10:11], s[10:11]
	v_mov_b32_e32 v7, 0
	s_xor_b64 exec, exec, s[10:11]
	s_cbranch_execz .LBB2_44
.LBB2_77:
	s_movk_i32 s12, 0x108
	v_mad_u32_u24 v6, v18, s12, v10
	ds_read_b64 v[19:20], v6
	v_add_u32_e32 v6, 16, v5
	s_or_b64 s[2:3], s[2:3], exec
	s_waitcnt lgkmcnt(0)
	v_xor_b32_e32 v7, 0x80000000, v20
	ds_write_b32 v5, v19 offset:16
	s_or_b64 exec, exec, s[10:11]
	s_and_saveexec_b64 s[10:11], s[2:3]
	s_cbranch_execnz .LBB2_45
	s_branch .LBB2_46
.LBB2_78:
	v_cmp_eq_u32_e32 vcc, v19, v2
                                        ; implicit-def: $vgpr6
	s_and_saveexec_b64 s[26:27], vcc
; %bb.79:
	s_mov_b64 s[2:3], exec
	v_add_u32_e32 v6, v10, v11
; %bb.80:
	s_or_b64 exec, exec, s[26:27]
	s_and_b64 s[2:3], s[2:3], exec
                                        ; implicit-def: $vgpr5
	s_or_saveexec_b64 s[12:13], s[12:13]
	v_mov_b32_e32 v7, 0
	s_xor_b64 exec, exec, s[12:13]
	s_cbranch_execz .LBB2_48
.LBB2_81:
	s_movk_i32 s17, 0x108
	v_mad_u32_u24 v6, v19, s17, v10
	ds_read_b64 v[20:21], v6
	v_add_u32_e32 v6, 24, v5
	s_or_b64 s[2:3], s[2:3], exec
	s_waitcnt lgkmcnt(0)
	v_xor_b32_e32 v7, 0x80000000, v21
	ds_write_b32 v5, v20 offset:24
	s_or_b64 exec, exec, s[12:13]
	s_and_saveexec_b64 s[12:13], s[2:3]
	s_cbranch_execnz .LBB2_49
	s_branch .LBB2_50
.LBB2_82:
                                        ; implicit-def: $vgpr3_vgpr4
	s_cbranch_execz .LBB2_84
; %bb.83:
	s_lshl_b32 s12, s22, 3
	s_ashr_i32 s13, s12, 31
	s_lshl_b64 s[12:13], s[12:13], 3
	v_mov_b32_e32 v4, s13
	v_add_co_u32_e32 v3, vcc, s12, v7
	s_ashr_i32 s23, s22, 31
	v_addc_co_u32_e32 v4, vcc, v8, v4, vcc
	s_lshl_b64 s[12:13], s[22:23], 6
	v_mov_b32_e32 v23, s13
	v_add_co_u32_e32 v20, vcc, s12, v3
	v_addc_co_u32_e32 v21, vcc, v4, v23, vcc
	v_add_co_u32_e32 v27, vcc, s12, v20
	v_addc_co_u32_e32 v28, vcc, v21, v23, vcc
	global_load_dwordx2 v[29:30], v[7:8], off offset:256
	global_load_dwordx2 v[31:32], v[3:4], off offset:256
	;; [unrolled: 1-line block ×4, first 2 shown]
	s_movk_i32 s12, 0x108
	v_mad_u32_u24 v3, v9, s12, v10
	s_waitcnt vmcnt(3)
	ds_write_b64 v3, v[29:30]
	s_waitcnt vmcnt(2)
	ds_write_b64 v3, v[31:32] offset:2112
	s_waitcnt vmcnt(1)
	ds_write_b64 v3, v[33:34] offset:4224
	;; [unrolled: 2-line block ×3, first 2 shown]
	v_mov_b32_e32 v3, v5
	v_mov_b32_e32 v4, v6
.LBB2_84:
	v_mul_u32_u24_e32 v5, 0x420, v9
	s_mov_b64 s[12:13], 0
	s_waitcnt lgkmcnt(0)
	s_barrier
                                        ; implicit-def: $vgpr6
	s_and_saveexec_b64 s[34:35], s[4:5]
	s_xor_b64 s[4:5], exec, s[34:35]
	s_cbranch_execz .LBB2_88
; %bb.85:
	v_cmp_eq_u32_e32 vcc, v12, v2
                                        ; implicit-def: $vgpr6
	s_and_saveexec_b64 s[34:35], vcc
	s_xor_b64 s[34:35], exec, s[34:35]
; %bb.86:
	s_mov_b64 s[12:13], exec
	v_add_u32_e32 v6, v10, v11
; %bb.87:
	s_or_b64 exec, exec, s[34:35]
	s_and_b64 s[12:13], s[12:13], exec
.LBB2_88:
	s_or_saveexec_b64 s[4:5], s[4:5]
	v_mov_b32_e32 v7, 0
	v_add_u32_e32 v20, v10, v5
	v_lshl_add_u32 v5, v12, 3, v25
	s_xor_b64 exec, exec, s[4:5]
	s_cbranch_execz .LBB2_90
; %bb.89:
	ds_read_b64 v[6:7], v20
	s_or_b64 s[12:13], s[12:13], exec
	s_waitcnt lgkmcnt(0)
	v_xor_b32_e32 v7, 0x80000000, v7
	ds_write_b32 v5, v6
	v_mov_b32_e32 v6, v5
.LBB2_90:
	s_or_b64 exec, exec, s[4:5]
	v_mul_u32_u24_e32 v8, 0x108, v13
	s_and_saveexec_b64 s[4:5], s[12:13]
; %bb.91:
	ds_write_b32 v6, v7 offset:4
; %bb.92:
	s_or_b64 exec, exec, s[4:5]
	s_mov_b64 s[4:5], 0
	v_add_u32_e32 v21, v10, v8
                                        ; implicit-def: $vgpr7
                                        ; implicit-def: $vgpr6
	s_and_saveexec_b64 s[12:13], s[14:15]
	s_xor_b64 s[12:13], exec, s[12:13]
	s_cbranch_execnz .LBB2_124
; %bb.93:
	s_andn2_saveexec_b64 s[12:13], s[12:13]
	s_cbranch_execnz .LBB2_125
.LBB2_94:
	s_or_b64 exec, exec, s[12:13]
	s_and_saveexec_b64 s[12:13], s[4:5]
.LBB2_95:
	ds_write_b32 v6, v7 offset:4
.LBB2_96:
	s_or_b64 exec, exec, s[12:13]
	s_mov_b64 s[4:5], 0
                                        ; implicit-def: $vgpr6
	s_and_saveexec_b64 s[12:13], s[8:9]
	s_xor_b64 s[8:9], exec, s[12:13]
	s_cbranch_execnz .LBB2_128
; %bb.97:
	s_or_saveexec_b64 s[8:9], s[8:9]
	v_mov_b32_e32 v7, 0
	s_xor_b64 exec, exec, s[8:9]
	s_cbranch_execnz .LBB2_131
.LBB2_98:
	s_or_b64 exec, exec, s[8:9]
	s_and_saveexec_b64 s[8:9], s[4:5]
.LBB2_99:
	ds_write_b32 v6, v7 offset:4
.LBB2_100:
	s_or_b64 exec, exec, s[8:9]
	s_mov_b64 s[4:5], 0
                                        ; implicit-def: $vgpr6
	s_and_saveexec_b64 s[8:9], s[10:11]
	s_xor_b64 s[8:9], exec, s[8:9]
	s_cbranch_execnz .LBB2_132
; %bb.101:
	s_or_saveexec_b64 s[8:9], s[8:9]
	v_mov_b32_e32 v7, 0
	s_xor_b64 exec, exec, s[8:9]
	s_cbranch_execnz .LBB2_135
.LBB2_102:
	s_or_b64 exec, exec, s[8:9]
	v_add_u32_e32 v11, 0x2380, v22
	s_and_saveexec_b64 s[8:9], s[4:5]
.LBB2_103:
	ds_write_b32 v6, v7 offset:4
.LBB2_104:
	s_or_b64 exec, exec, s[8:9]
	s_waitcnt lgkmcnt(0)
	s_barrier
	ds_read_b64 v[12:13], v20
	ds_read_b128 v[5:8], v11 offset:256
	ds_read_b128 v[27:30], v11 offset:272
	ds_read_b64 v[18:19], v21 offset:528
	ds_read2_b64 v[31:34], v21 offset1:33
	v_cmp_eq_u32_e64 s[4:5], 1, v9
	s_waitcnt lgkmcnt(3)
	v_mul_f32_e32 v22, v6, v13
	v_fma_f32 v22, v5, v12, -v22
	v_mul_f32_e32 v5, v5, v13
	v_fmac_f32_e32 v5, v6, v12
	s_waitcnt lgkmcnt(0)
	v_mul_f32_e32 v12, v8, v32
	v_fma_f32 v12, v7, v31, -v12
	v_mul_f32_e32 v7, v7, v32
	v_add_f32_e32 v5, 0, v5
	v_fmac_f32_e32 v7, v8, v31
	v_add_f32_e32 v6, 0, v22
	v_add_f32_e32 v5, v5, v7
	v_mul_f32_e32 v7, v28, v34
	v_mul_f32_e32 v8, v27, v34
	v_add_f32_e32 v6, v6, v12
	v_fma_f32 v7, v27, v33, -v7
	v_fmac_f32_e32 v8, v28, v33
	v_add_f32_e32 v6, v6, v7
	v_add_f32_e32 v7, v5, v8
	v_mul_f32_e32 v5, v30, v19
	v_mul_f32_e32 v8, v29, v19
	v_fma_f32 v5, v29, v18, -v5
	v_fmac_f32_e32 v8, v30, v18
	v_add_f32_e32 v5, v6, v5
	v_add_f32_e32 v6, v7, v8
	s_barrier
	ds_write_b64 v26, v[5:6]
	s_waitcnt lgkmcnt(0)
	s_barrier
	s_and_saveexec_b64 s[8:9], s[4:5]
	s_cbranch_execz .LBB2_106
; %bb.105:
	ds_read2_b64 v[5:8], v25 offset1:7
	ds_read2_b64 v[27:30], v25 offset0:1 offset1:2
	ds_read2_b64 v[31:34], v25 offset0:3 offset1:4
	s_waitcnt lgkmcnt(1)
	v_add_f32_e32 v5, v27, v5
	v_add_f32_e32 v6, v28, v6
	;; [unrolled: 1-line block ×4, first 2 shown]
	ds_read2_b64 v[27:30], v25 offset0:5 offset1:6
	s_waitcnt lgkmcnt(1)
	v_add_f32_e32 v5, v5, v31
	v_add_f32_e32 v6, v6, v32
	v_add_f32_e32 v5, v5, v33
	v_add_f32_e32 v6, v6, v34
	s_waitcnt lgkmcnt(0)
	v_add_f32_e32 v5, v5, v27
	v_add_f32_e32 v6, v6, v28
	;; [unrolled: 1-line block ×6, first 2 shown]
.LBB2_106:
	s_or_b64 exec, exec, s[8:9]
	v_add_co_u32_e32 v5, vcc, 0xffffff00, v3
	v_addc_co_u32_e32 v6, vcc, -1, v4, vcc
	s_and_b64 vcc, exec, s[28:29]
	s_barrier
	s_cbranch_vccz .LBB2_136
; %bb.107:
	v_sub_co_u32_e32 v7, vcc, v3, v10
	s_ashr_i32 s17, s16, 31
	v_subbrev_co_u32_e32 v8, vcc, 0, v4, vcc
	s_lshl_b64 s[10:11], s[16:17], 3
	v_mov_b32_e32 v12, s11
	v_add_co_u32_e32 v7, vcc, s10, v7
	v_addc_co_u32_e32 v8, vcc, v8, v12, vcc
	v_add_co_u32_e32 v7, vcc, 0xfffffef8, v7
	v_addc_co_u32_e32 v8, vcc, -1, v8, vcc
	v_cmp_gt_i32_e32 vcc, s16, v2
	s_sub_i32 s14, s16, 32
	v_mul_u32_u24_e32 v2, 0x108, v9
	v_cndmask_b32_e32 v8, v8, v6, vcc
	v_cndmask_b32_e32 v7, v7, v5, vcc
	v_cmp_le_i32_e64 s[8:9], s14, v9
	v_add_u32_e32 v18, v10, v2
	s_and_saveexec_b64 s[12:13], s[8:9]
	s_xor_b64 s[8:9], exec, s[12:13]
; %bb.108:
	v_mov_b32_e32 v12, 0
	v_mov_b32_e32 v13, v12
	ds_write_b64 v18, v[12:13]
; %bb.109:
	s_andn2_saveexec_b64 s[8:9], s[8:9]
	s_cbranch_execz .LBB2_111
; %bb.110:
	global_load_dwordx2 v[12:13], v[7:8], off
	s_waitcnt vmcnt(0)
	ds_write_b64 v18, v[12:13]
.LBB2_111:
	s_or_b64 exec, exec, s[8:9]
	v_add_u32_e32 v2, 8, v9
	v_cmp_le_i32_e64 s[8:9], s14, v2
	s_and_saveexec_b64 s[12:13], s[8:9]
	s_xor_b64 s[8:9], exec, s[12:13]
; %bb.112:
	v_mov_b32_e32 v12, 0
	v_mov_b32_e32 v13, v12
	ds_write_b64 v18, v[12:13] offset:2112
; %bb.113:
	s_andn2_saveexec_b64 s[12:13], s[8:9]
	s_cbranch_execz .LBB2_115
; %bb.114:
	s_lshl_b32 s8, s22, 3
	s_ashr_i32 s9, s8, 31
	s_lshl_b64 s[8:9], s[8:9], 3
	v_mov_b32_e32 v13, s9
	v_add_co_u32_e64 v12, s[8:9], s8, v7
	v_addc_co_u32_e64 v13, s[8:9], v8, v13, s[8:9]
	global_load_dwordx2 v[12:13], v[12:13], off
	s_waitcnt vmcnt(0)
	ds_write_b64 v18, v[12:13] offset:2112
.LBB2_115:
	s_or_b64 exec, exec, s[12:13]
	v_add_u32_e32 v12, 16, v9
	v_cmp_le_i32_e64 s[8:9], s14, v12
	s_and_saveexec_b64 s[12:13], s[8:9]
	s_xor_b64 s[8:9], exec, s[12:13]
; %bb.116:
	v_mov_b32_e32 v22, 0
	v_mov_b32_e32 v23, v22
	ds_write_b64 v18, v[22:23] offset:4224
; %bb.117:
	s_andn2_saveexec_b64 s[12:13], s[8:9]
	s_cbranch_execz .LBB2_119
; %bb.118:
	s_lshl_b32 s8, s22, 4
	s_ashr_i32 s9, s8, 31
	s_lshl_b64 s[8:9], s[8:9], 3
	v_mov_b32_e32 v13, s9
	v_add_co_u32_e64 v22, s[8:9], s8, v7
	v_addc_co_u32_e64 v23, s[8:9], v8, v13, s[8:9]
	global_load_dwordx2 v[22:23], v[22:23], off
	s_waitcnt vmcnt(0)
	ds_write_b64 v18, v[22:23] offset:4224
.LBB2_119:
	s_or_b64 exec, exec, s[12:13]
	v_add_u32_e32 v13, 24, v9
	v_cmp_le_i32_e64 s[8:9], s14, v13
	s_and_saveexec_b64 s[12:13], s[8:9]
	s_xor_b64 s[8:9], exec, s[12:13]
; %bb.120:
	v_mov_b32_e32 v22, 0
	v_mov_b32_e32 v23, v22
	ds_write_b64 v18, v[22:23] offset:6336
                                        ; implicit-def: $vgpr18
; %bb.121:
	s_andn2_saveexec_b64 s[12:13], s[8:9]
	s_cbranch_execz .LBB2_123
; %bb.122:
	s_mul_i32 s8, s22, 24
	s_ashr_i32 s9, s8, 31
	s_lshl_b64 s[8:9], s[8:9], 3
	v_mov_b32_e32 v19, s9
	v_add_co_u32_e64 v22, s[8:9], s8, v7
	v_addc_co_u32_e64 v23, s[8:9], v8, v19, s[8:9]
	global_load_dwordx2 v[22:23], v[22:23], off
	s_waitcnt vmcnt(0)
	ds_write_b64 v18, v[22:23] offset:6336
.LBB2_123:
	s_or_b64 exec, exec, s[12:13]
	v_add_co_u32_e64 v7, s[8:9], v7, v10
	v_addc_co_u32_e64 v8, s[8:9], 0, v8, s[8:9]
	v_mov_b32_e32 v18, s11
	v_subrev_co_u32_e64 v7, s[8:9], s10, v7
	v_subb_co_u32_e64 v8, s[8:9], v8, v18, s[8:9]
	v_add_co_u32_e64 v7, s[8:9], 8, v7
	v_addc_co_u32_e64 v8, s[8:9], 0, v8, s[8:9]
	v_cndmask_b32_e32 v19, v8, v6, vcc
	v_cndmask_b32_e32 v18, v7, v5, vcc
	s_branch .LBB2_138
.LBB2_124:
	ds_read_b64 v[12:13], v21
	s_mov_b64 s[4:5], exec
	v_add_u32_e32 v6, 8, v5
	s_waitcnt lgkmcnt(0)
	v_xor_b32_e32 v7, 0x80000000, v13
	ds_write_b32 v5, v12 offset:8
                                        ; implicit-def: $vgpr13
	s_andn2_saveexec_b64 s[12:13], s[12:13]
	s_cbranch_execz .LBB2_94
.LBB2_125:
	v_cmp_eq_u32_e32 vcc, v13, v2
	s_mov_b64 s[14:15], s[4:5]
                                        ; implicit-def: $vgpr6
	s_and_saveexec_b64 s[34:35], vcc
; %bb.126:
	v_add_u32_e32 v6, v10, v11
	s_or_b64 s[14:15], s[4:5], exec
; %bb.127:
	s_or_b64 exec, exec, s[34:35]
	s_andn2_b64 s[4:5], s[4:5], exec
	s_and_b64 s[14:15], s[14:15], exec
	v_mov_b32_e32 v7, 0
	s_or_b64 s[4:5], s[4:5], s[14:15]
	s_or_b64 exec, exec, s[12:13]
	s_and_saveexec_b64 s[12:13], s[4:5]
	s_cbranch_execnz .LBB2_95
	s_branch .LBB2_96
.LBB2_128:
	v_cmp_eq_u32_e32 vcc, v18, v2
                                        ; implicit-def: $vgpr6
	s_and_saveexec_b64 s[12:13], vcc
; %bb.129:
	s_mov_b64 s[4:5], exec
	v_add_u32_e32 v6, v10, v11
; %bb.130:
	s_or_b64 exec, exec, s[12:13]
	s_and_b64 s[4:5], s[4:5], exec
	s_or_saveexec_b64 s[8:9], s[8:9]
	v_mov_b32_e32 v7, 0
	s_xor_b64 exec, exec, s[8:9]
	s_cbranch_execz .LBB2_98
.LBB2_131:
	ds_read_b64 v[12:13], v21 offset:264
	v_add_u32_e32 v6, 16, v5
	s_or_b64 s[4:5], s[4:5], exec
	s_waitcnt lgkmcnt(0)
	v_xor_b32_e32 v7, 0x80000000, v13
	ds_write_b32 v5, v12 offset:16
	s_or_b64 exec, exec, s[8:9]
	s_and_saveexec_b64 s[8:9], s[4:5]
	s_cbranch_execnz .LBB2_99
	s_branch .LBB2_100
.LBB2_132:
	v_cmp_eq_u32_e32 vcc, v19, v2
                                        ; implicit-def: $vgpr6
	s_and_saveexec_b64 s[10:11], vcc
; %bb.133:
	s_mov_b64 s[4:5], exec
	v_add_u32_e32 v6, v10, v11
; %bb.134:
	s_or_b64 exec, exec, s[10:11]
	s_and_b64 s[4:5], s[4:5], exec
                                        ; implicit-def: $vgpr5
	s_or_saveexec_b64 s[8:9], s[8:9]
	v_mov_b32_e32 v7, 0
	s_xor_b64 exec, exec, s[8:9]
	s_cbranch_execz .LBB2_102
.LBB2_135:
	ds_read_b64 v[11:12], v21 offset:528
	v_add_u32_e32 v6, 24, v5
	s_or_b64 s[4:5], s[4:5], exec
	s_waitcnt lgkmcnt(0)
	v_xor_b32_e32 v7, 0x80000000, v12
	ds_write_b32 v5, v11 offset:24
	s_or_b64 exec, exec, s[8:9]
	v_add_u32_e32 v11, 0x2380, v22
	s_and_saveexec_b64 s[8:9], s[4:5]
	s_cbranch_execnz .LBB2_103
	s_branch .LBB2_104
.LBB2_136:
                                        ; implicit-def: $vgpr18_vgpr19
                                        ; implicit-def: $vgpr2
                                        ; implicit-def: $vgpr12
                                        ; implicit-def: $vgpr13
	s_cbranch_execz .LBB2_138
; %bb.137:
	s_lshl_b32 s8, s22, 3
	s_ashr_i32 s9, s8, 31
	s_lshl_b64 s[8:9], s[8:9], 3
	v_mov_b32_e32 v2, s9
	v_add_co_u32_e32 v7, vcc, s8, v3
	s_ashr_i32 s23, s22, 31
	v_addc_co_u32_e32 v8, vcc, v4, v2, vcc
	s_lshl_b64 s[8:9], s[22:23], 6
	v_mov_b32_e32 v2, s9
	v_add_co_u32_e32 v12, vcc, s8, v7
	v_addc_co_u32_e32 v13, vcc, v8, v2, vcc
	v_add_co_u32_e32 v18, vcc, s8, v12
	v_addc_co_u32_e32 v19, vcc, v13, v2, vcc
	global_load_dwordx2 v[22:23], v[3:4], off offset:-256
	global_load_dwordx2 v[27:28], v[7:8], off offset:-256
	;; [unrolled: 1-line block ×4, first 2 shown]
	s_movk_i32 s8, 0x108
	v_mov_b32_e32 v19, v6
	v_add_u32_e32 v2, 8, v9
	v_add_u32_e32 v12, 16, v9
	;; [unrolled: 1-line block ×3, first 2 shown]
	v_mad_u32_u24 v3, v9, s8, v10
	v_mov_b32_e32 v18, v5
	s_waitcnt vmcnt(3)
	ds_write_b64 v3, v[22:23]
	s_waitcnt vmcnt(2)
	ds_write_b64 v3, v[27:28] offset:2112
	s_waitcnt vmcnt(1)
	ds_write_b64 v3, v[29:30] offset:4224
	s_waitcnt vmcnt(0)
	ds_write_b64 v3, v[31:32] offset:6336
.LBB2_138:
	v_lshlrev_b32_e32 v3, 3, v9
	v_add_u32_e32 v4, v25, v3
	v_lshlrev_b32_e32 v2, 3, v2
	s_waitcnt lgkmcnt(0)
	s_barrier
	v_add_u32_e32 v5, v25, v2
	ds_read_b64 v[22:23], v4
	ds_read_b64 v[27:28], v2 offset:9088
	ds_read_b64 v[29:30], v5
	ds_read_b64 v[9:10], v3 offset:9088
	v_lshlrev_b32_e32 v3, 3, v12
	v_add_u32_e32 v4, v25, v3
	v_lshlrev_b32_e32 v5, 3, v13
	v_add_u32_e32 v6, v25, v5
	ds_read_b64 v[31:32], v4
	ds_read_b64 v[33:34], v6
	ds_read_b64 v[35:36], v5 offset:9088
	ds_read_b64 v[37:38], v3 offset:9088
	s_waitcnt lgkmcnt(4)
	v_mul_f32_e32 v2, v23, v10
	v_fmac_f32_e32 v2, v22, v9
	v_mul_f32_e32 v3, v30, v28
	v_add_f32_e32 v2, 0, v2
	v_fmac_f32_e32 v3, v29, v27
	v_add_f32_e32 v2, v2, v3
	s_waitcnt lgkmcnt(0)
	v_mul_f32_e32 v3, v32, v38
	v_fmac_f32_e32 v3, v31, v37
	v_add_f32_e32 v2, v2, v3
	v_mul_f32_e32 v3, v34, v36
	v_mul_f32_e32 v23, v23, v9
	v_fmac_f32_e32 v3, v33, v35
	v_mul_f32_e32 v30, v30, v27
	v_mul_f32_e32 v34, v34, v35
	v_add_f32_e32 v27, v2, v3
	ds_read_b128 v[6:9], v11 offset:256
	ds_read_b128 v[2:5], v11 offset:272
	v_fma_f32 v35, v22, v10, -v23
	ds_read2_b64 v[10:13], v21 offset1:33
	ds_read_b64 v[22:23], v20
	ds_read_b64 v[20:21], v21 offset:528
	v_mul_f32_e32 v32, v32, v37
	v_add_f32_e32 v35, 0, v35
	v_fma_f32 v28, v29, v28, -v30
	v_add_f32_e32 v28, v35, v28
	v_fma_f32 v29, v31, v38, -v32
	;; [unrolled: 2-line block ×3, first 2 shown]
	v_add_f32_e32 v28, v28, v29
	s_waitcnt lgkmcnt(0)
	s_barrier
	ds_write_b64 v26, v[27:28]
	s_waitcnt lgkmcnt(0)
	s_barrier
	s_and_saveexec_b64 s[8:9], s[4:5]
	s_cbranch_execz .LBB2_140
; %bb.139:
	ds_read2_b64 v[27:30], v25 offset1:1
	ds_read2_b64 v[31:34], v25 offset0:2 offset1:3
	ds_read2_b64 v[35:38], v25 offset0:4 offset1:5
	s_waitcnt lgkmcnt(2)
	v_add_f32_e32 v27, v51, v27
	v_add_f32_e32 v28, v52, v28
	;; [unrolled: 1-line block ×4, first 2 shown]
	s_waitcnt lgkmcnt(1)
	v_add_f32_e32 v27, v27, v31
	v_add_f32_e32 v28, v28, v32
	;; [unrolled: 1-line block ×4, first 2 shown]
	ds_read2_b64 v[27:30], v25 offset0:6 offset1:7
	s_waitcnt lgkmcnt(1)
	v_add_f32_e32 v31, v31, v35
	v_add_f32_e32 v32, v32, v36
	;; [unrolled: 1-line block ×4, first 2 shown]
	s_waitcnt lgkmcnt(0)
	v_add_f32_e32 v27, v31, v27
	v_add_f32_e32 v28, v32, v28
	;; [unrolled: 1-line block ×4, first 2 shown]
.LBB2_140:
	s_or_b64 exec, exec, s[8:9]
	v_mul_f32_e32 v27, v7, v23
	v_fma_f32 v27, v6, v22, -v27
	v_mul_f32_e32 v6, v6, v23
	v_fmac_f32_e32 v6, v7, v22
	v_mul_f32_e32 v22, v9, v11
	v_fma_f32 v22, v8, v10, -v22
	v_mul_f32_e32 v8, v8, v11
	v_add_f32_e32 v6, 0, v6
	v_fmac_f32_e32 v8, v9, v10
	v_add_f32_e32 v6, v6, v8
	v_mul_f32_e32 v8, v3, v13
	v_fma_f32 v8, v2, v12, -v8
	v_mul_f32_e32 v2, v2, v13
	v_fmac_f32_e32 v2, v3, v12
	v_add_f32_e32 v7, 0, v27
	v_add_f32_e32 v6, v6, v2
	v_mul_f32_e32 v2, v5, v21
	v_add_f32_e32 v7, v7, v22
	v_fma_f32 v2, v4, v20, -v2
	v_mul_f32_e32 v4, v4, v21
	v_add_f32_e32 v3, v7, v8
	v_fmac_f32_e32 v4, v5, v20
	v_add_f32_e32 v2, v3, v2
	v_add_f32_e32 v3, v6, v4
	s_barrier
	ds_write_b64 v26, v[2:3]
	s_waitcnt lgkmcnt(0)
	s_barrier
	s_and_saveexec_b64 s[4:5], s[2:3]
	s_cbranch_execz .LBB2_142
; %bb.141:
	ds_read2_b64 v[2:5], v25 offset1:1
	ds_read2_b64 v[6:9], v25 offset0:2 offset1:3
	ds_read2_b64 v[10:13], v25 offset0:4 offset1:5
	s_waitcnt lgkmcnt(2)
	v_add_f32_e32 v2, v51, v2
	v_add_f32_e32 v3, v52, v3
	;; [unrolled: 1-line block ×4, first 2 shown]
	s_waitcnt lgkmcnt(1)
	v_add_f32_e32 v2, v2, v6
	v_add_f32_e32 v3, v3, v7
	;; [unrolled: 1-line block ×4, first 2 shown]
	ds_read2_b64 v[2:5], v25 offset0:6 offset1:7
	s_waitcnt lgkmcnt(1)
	v_add_f32_e32 v6, v6, v10
	v_add_f32_e32 v7, v7, v11
	;; [unrolled: 1-line block ×4, first 2 shown]
	s_waitcnt lgkmcnt(0)
	v_add_f32_e32 v2, v6, v2
	v_add_f32_e32 v3, v7, v3
	;; [unrolled: 1-line block ×4, first 2 shown]
.LBB2_142:
	s_or_b64 exec, exec, s[4:5]
	s_mul_hi_u32 s2, s40, s7
	s_mul_i32 s41, s41, s7
	s_add_i32 s2, s2, s41
	s_mul_i32 s4, s40, s7
	s_mul_i32 s2, s2, s33
	s_mul_hi_u32 s3, s4, s33
	s_add_i32 s3, s3, s2
	s_mul_i32 s2, s4, s33
	s_lshl_b64 s[2:3], s[2:3], 3
	s_add_u32 s4, s18, s2
	s_addc_u32 s5, s19, s3
	s_mul_hi_i32 s3, s40, s6
	s_mul_i32 s2, s40, s6
	s_lshl_b64 s[2:3], s[2:3], 3
	s_add_u32 s7, s4, s2
	s_addc_u32 s17, s5, s3
	s_add_i32 s8, s6, 1
	s_cmp_ge_u32 s8, s33
	v_lshlrev_b32_e32 v88, 3, v0
	s_barrier
	s_cbranch_scc1 .LBB2_200
; %bb.143:
	v_lshlrev_b32_e32 v89, 2, v1
	v_mad_u64_u32 v[2:3], s[4:5], s22, v89, v[0:1]
	s_mul_i32 s2, s39, s24
	s_ashr_i32 s3, s2, 31
	s_lshl_b64 s[2:3], s[2:3], 3
	v_mov_b32_e32 v4, s3
	v_subrev_co_u32_e32 v90, vcc, s2, v16
	v_ashrrev_i32_e32 v3, 31, v2
	v_subb_co_u32_e32 v91, vcc, v17, v4, vcc
	s_lshl_b32 s2, s22, 4
	s_mul_i32 s18, s22, 3
	v_lshlrev_b64 v[4:5], 3, v[2:3]
	s_lshl_b32 s25, s39, 6
	s_ashr_i32 s3, s2, 31
	s_ashr_i32 s23, s22, 31
	s_lshl_b32 s14, s22, 1
	s_ashr_i32 s19, s18, 31
	s_mul_i32 s39, s39, s8
	s_add_i32 s24, s33, -2
	s_ashr_i32 s15, s14, 31
	s_lshl_b64 s[4:5], s[22:23], 3
	s_lshl_b32 s10, s39, 6
	v_mov_b32_e32 v6, s27
	v_add_co_u32_e32 v7, vcc, s26, v4
	s_lshl_b64 s[12:13], s[2:3], 5
	s_lshl_b64 s[8:9], s[18:19], 3
	;; [unrolled: 1-line block ×3, first 2 shown]
	v_addc_co_u32_e32 v6, vcc, v6, v5, vcc
	s_add_u32 s29, s18, s26
	s_mul_i32 s11, s22, 0x180
	v_add_co_u32_e32 v2, vcc, s30, v2
	s_addc_u32 s30, s19, s27
	s_mul_hi_i32 s28, s2, 24
	v_mov_b32_e32 v8, s31
	s_add_u32 s11, s11, s18
	v_addc_co_u32_e32 v3, vcc, v8, v3, vcc
	s_addc_u32 s28, s28, s19
	v_mov_b32_e32 v8, s30
	v_add_co_u32_e32 v9, vcc, s29, v4
	s_add_u32 s31, s4, s26
	v_addc_co_u32_e32 v8, vcc, v8, v5, vcc
	s_addc_u32 s34, s5, s27
	s_lshl_b64 s[14:15], s[14:15], 3
	v_mov_b32_e32 v10, s34
	v_add_co_u32_e32 v11, vcc, s31, v4
	s_add_u32 s18, s26, s14
	v_addc_co_u32_e32 v10, vcc, v10, v5, vcc
	s_addc_u32 s19, s27, s15
	v_mov_b32_e32 v12, s19
	v_add_co_u32_e32 v13, vcc, s18, v4
	s_add_u32 s18, s26, s8
	v_addc_co_u32_e32 v12, vcc, v12, v5, vcc
	s_addc_u32 s19, s27, s9
	v_mov_b32_e32 v16, s19
	v_add_co_u32_e32 v17, vcc, s18, v4
	s_lshl_b64 s[18:19], s[2:3], 3
	s_add_u32 s35, s26, s18
	s_addc_u32 s36, s27, s19
	s_lshl_b64 s[22:23], s[2:3], 4
	s_add_u32 s3, s22, s26
	v_addc_co_u32_e32 v16, vcc, v16, v5, vcc
	s_addc_u32 s26, s23, s27
	v_mov_b32_e32 v20, s36
	v_add_co_u32_e32 v21, vcc, s35, v4
	s_add_u32 s27, s3, s8
	v_addc_co_u32_e32 v20, vcc, v20, v5, vcc
	s_addc_u32 s37, s26, s9
	v_mov_b32_e32 v22, s37
	v_add_co_u32_e32 v23, vcc, s27, v4
	;; [unrolled: 5-line block ×9, first 2 shown]
	v_addc_co_u32_e32 v37, vcc, v37, v5, vcc
	v_lshlrev_b64 v[2:3], 3, v[2:3]
	v_mov_b32_e32 v39, s26
	v_add_co_u32_e32 v40, vcc, s3, v4
	v_addc_co_u32_e32 v39, vcc, v39, v5, vcc
	v_mad_i64_i32 v[4:5], s[2:3], s2, 24, v[2:3]
	v_mov_b32_e32 v41, s28
	v_add_co_u32_e32 v2, vcc, s11, v2
	v_addc_co_u32_e32 v3, vcc, v41, v3, vcc
	v_mov_b32_e32 v41, s9
	v_add_co_u32_e32 v42, vcc, s8, v4
	v_addc_co_u32_e32 v41, vcc, v5, v41, vcc
	;; [unrolled: 3-line block ×4, first 2 shown]
	v_add_co_u32_e32 v92, vcc, v18, v4
	v_addc_co_u32_e32 v93, vcc, v19, v5, vcc
	v_add_co_u32_e32 v4, vcc, v18, v7
	v_addc_co_u32_e32 v5, vcc, v19, v6, vcc
	;; [unrolled: 2-line block ×20, first 2 shown]
	v_sub_co_u32_e32 v113, vcc, 0, v14
	v_subb_co_u32_e32 v114, vcc, 0, v15, vcc
	v_add_co_u32_e32 v116, vcc, 4, v4
	v_addc_co_u32_e32 v117, vcc, 0, v5, vcc
	v_add_co_u32_e32 v118, vcc, 4, v2
	v_addc_co_u32_e32 v119, vcc, 0, v3, vcc
	;; [unrolled: 2-line block ×7, first 2 shown]
	v_add_co_u32_e32 v130, vcc, 4, v20
	v_cmp_gt_u32_e64 s[2:3], 64, v24
	v_lshrrev_b32_e32 v24, 4, v24
	v_addc_co_u32_e32 v131, vcc, 0, v21, vcc
	s_movk_i32 s4, 0x218
	v_and_b32_e32 v27, 15, v0
	v_lshlrev_b32_e32 v28, 5, v24
	v_add_co_u32_e32 v132, vcc, 4, v22
	v_mad_u32_u24 v110, v27, s4, v28
	v_and_b32_e32 v28, 48, v0
	v_addc_co_u32_e32 v133, vcc, 0, v23, vcc
	v_lshlrev_b32_e32 v28, 3, v28
	v_add_co_u32_e32 v134, vcc, 4, v25
	v_mad_u32_u24 v111, v27, s4, v28
	v_or_b32_e32 v28, 0x78, v88
	v_mov_b32_e32 v14, 0x2180
	v_addc_co_u32_e32 v135, vcc, 0, v26, vcc
	v_mad_u32_u24 v112, v27, s4, v28
	v_lshl_add_u32 v115, v1, 5, v14
	s_movk_i32 s4, 0x860
	v_mul_i32_i24_e32 v14, 0xffffffe8, v24
	v_add_co_u32_e32 v136, vcc, 4, v18
	v_addc_co_u32_e32 v137, vcc, 0, v19, vcc
	v_add_u32_e32 v138, v110, v14
	v_add_u32_e32 v139, 0x2180, v88
	;; [unrolled: 1-line block ×3, first 2 shown]
	v_mad_u32_u24 v141, v1, s4, v88
	v_or_b32_e32 v142, 1, v89
	v_or_b32_e32 v143, 2, v89
	;; [unrolled: 1-line block ×3, first 2 shown]
	v_add_u32_e32 v145, 16, v89
	v_add_u32_e32 v146, 17, v89
	;; [unrolled: 1-line block ×13, first 2 shown]
	v_mov_b32_e32 v55, 0
	s_cmp_eq_u32 s24, s6
	s_cselect_b32 s22, s38, 0
	s_and_saveexec_b64 s[4:5], s[0:1]
	s_cbranch_execz .LBB2_148
.LBB2_144:
	s_cmp_lg_u32 s22, 0
	s_cselect_b64 s[8:9], -1, 0
	v_cmp_le_i32_e32 vcc, s22, v0
	s_and_b64 s[8:9], s[8:9], vcc
	s_and_saveexec_b64 s[14:15], s[8:9]
	s_xor_b64 s[8:9], exec, s[14:15]
; %bb.145:
	v_mov_b32_e32 v56, v55
	ds_write_b64 v139, v[55:56]
; %bb.146:
	s_andn2_saveexec_b64 s[8:9], s[8:9]
	s_cbranch_execz .LBB2_148
; %bb.147:
	s_ashr_i32 s11, s10, 31
	s_lshl_b64 s[8:9], s[10:11], 3
	v_mov_b32_e32 v3, s9
	v_add_co_u32_e32 v2, vcc, s8, v90
	v_addc_co_u32_e32 v3, vcc, v91, v3, vcc
	global_load_dwordx2 v[2:3], v[2:3], off
	s_waitcnt vmcnt(0)
	ds_write_b64 v139, v[2:3]
.LBB2_148:                              ; =>This Inner Loop Header: Depth=1
	s_or_b64 exec, exec, s[4:5]
	s_cmp_eq_u32 s22, 0
	v_add_co_u32_e32 v2, vcc, v116, v113
	s_cselect_b64 s[14:15], -1, 0
	s_cmp_lg_u32 s22, 0
	v_addc_co_u32_e32 v3, vcc, v117, v114, vcc
	s_cselect_b64 s[8:9], -1, 0
	s_and_b64 vcc, exec, s[8:9]
	s_waitcnt lgkmcnt(0)
	s_barrier
	s_cbranch_vccz .LBB2_156
; %bb.149:                              ;   in Loop: Header=BB2_148 Depth=1
	v_cmp_gt_i32_e32 vcc, s22, v89
	v_mov_b32_e32 v58, 0
	v_mov_b32_e32 v56, 0
	;; [unrolled: 1-line block ×3, first 2 shown]
	s_and_saveexec_b64 s[4:5], vcc
	s_cbranch_execz .LBB2_151
; %bb.150:                              ;   in Loop: Header=BB2_148 Depth=1
	global_load_dwordx2 v[56:57], v[2:3], off offset:-4
.LBB2_151:                              ;   in Loop: Header=BB2_148 Depth=1
	s_or_b64 exec, exec, s[4:5]
	v_cmp_gt_i32_e32 vcc, s22, v142
	v_mov_b32_e32 v59, 0
	s_and_saveexec_b64 s[4:5], vcc
	s_cbranch_execz .LBB2_153
; %bb.152:                              ;   in Loop: Header=BB2_148 Depth=1
	v_add_co_u32_e32 v4, vcc, v120, v113
	v_addc_co_u32_e32 v5, vcc, v121, v114, vcc
	global_load_dwordx2 v[58:59], v[4:5], off offset:-4
.LBB2_153:                              ;   in Loop: Header=BB2_148 Depth=1
	s_or_b64 exec, exec, s[4:5]
	v_cmp_gt_i32_e32 vcc, s22, v143
	v_mov_b32_e32 v60, 0
	v_mov_b32_e32 v61, 0
	s_and_saveexec_b64 s[4:5], vcc
	s_cbranch_execz .LBB2_155
; %bb.154:                              ;   in Loop: Header=BB2_148 Depth=1
	v_add_co_u32_e32 v4, vcc, v122, v113
	v_addc_co_u32_e32 v5, vcc, v123, v114, vcc
	global_load_dwordx2 v[60:61], v[4:5], off offset:-4
.LBB2_155:                              ;   in Loop: Header=BB2_148 Depth=1
	s_or_b64 exec, exec, s[4:5]
	v_cmp_gt_i32_e64 s[4:5], s22, v144
	s_branch .LBB2_158
.LBB2_156:                              ;   in Loop: Header=BB2_148 Depth=1
	s_mov_b64 s[4:5], 0
                                        ; implicit-def: $vgpr57
                                        ; implicit-def: $vgpr59
                                        ; implicit-def: $vgpr61
	s_cbranch_execz .LBB2_158
; %bb.157:                              ;   in Loop: Header=BB2_148 Depth=1
	global_load_dwordx2 v[56:57], v[2:3], off offset:-4
	v_add_co_u32_e32 v2, vcc, v120, v113
	v_addc_co_u32_e32 v3, vcc, v121, v114, vcc
	global_load_dwordx2 v[58:59], v[2:3], off offset:-4
	v_add_co_u32_e32 v2, vcc, v96, v113
	v_addc_co_u32_e32 v3, vcc, v97, v114, vcc
	global_load_dwordx2 v[60:61], v[2:3], off
	s_or_b64 s[4:5], s[4:5], exec
.LBB2_158:                              ;   in Loop: Header=BB2_148 Depth=1
	v_mov_b32_e32 v62, 0
	v_mov_b32_e32 v63, 0
	s_and_saveexec_b64 s[18:19], s[4:5]
	s_cbranch_execz .LBB2_160
; %bb.159:                              ;   in Loop: Header=BB2_148 Depth=1
	v_add_co_u32_e32 v2, vcc, v124, v113
	v_addc_co_u32_e32 v3, vcc, v125, v114, vcc
	global_load_dwordx2 v[62:63], v[2:3], off offset:-4
.LBB2_160:                              ;   in Loop: Header=BB2_148 Depth=1
	s_or_b64 exec, exec, s[18:19]
	ds_read_b64 v[10:11], v140
	ds_read_b128 v[6:9], v115
	ds_read_b128 v[2:5], v115 offset:16
	s_andn2_b64 vcc, exec, s[8:9]
	s_waitcnt vmcnt(0) lgkmcnt(2)
	v_mul_f32_e32 v12, v57, v11
	v_mul_f32_e32 v13, v57, v10
	;; [unrolled: 1-line block ×4, first 2 shown]
	v_fmac_f32_e32 v12, v56, v10
	v_fma_f32 v13, v56, v11, -v13
	v_fmac_f32_e32 v14, v58, v10
	v_fma_f32 v15, v58, v11, -v15
	ds_write2_b64 v141, v[12:13], v[14:15] offset1:67
	v_mul_f32_e32 v12, v61, v11
	v_mul_f32_e32 v14, v63, v11
	v_fmac_f32_e32 v12, v60, v10
	v_mul_f32_e32 v13, v61, v10
	v_fmac_f32_e32 v14, v62, v10
	v_mul_f32_e32 v10, v63, v10
	v_fma_f32 v13, v60, v11, -v13
	v_fma_f32 v15, v62, v11, -v10
	ds_write2_b64 v141, v[12:13], v[14:15] offset0:134 offset1:201
	s_waitcnt lgkmcnt(0)
	s_barrier
	ds_read2_b64 v[22:25], v110 offset1:1
	ds_read2_b64 v[10:13], v110 offset0:2 offset1:3
	v_cndmask_b32_e64 v14, 0, 1, s[8:9]
	v_cmp_ne_u32_e64 s[4:5], 1, v14
	v_add_co_u32_e64 v14, s[8:9], v126, v113
	v_addc_co_u32_e64 v15, s[8:9], v127, v114, s[8:9]
	s_waitcnt lgkmcnt(0)
	s_barrier
	s_cbranch_vccnz .LBB2_168
; %bb.161:                              ;   in Loop: Header=BB2_148 Depth=1
	v_cmp_gt_i32_e32 vcc, s22, v145
	v_mov_b32_e32 v66, 0
	v_mov_b32_e32 v64, 0
	;; [unrolled: 1-line block ×3, first 2 shown]
	s_and_saveexec_b64 s[8:9], vcc
	s_cbranch_execz .LBB2_163
; %bb.162:                              ;   in Loop: Header=BB2_148 Depth=1
	global_load_dwordx2 v[64:65], v[14:15], off offset:-4
.LBB2_163:                              ;   in Loop: Header=BB2_148 Depth=1
	s_or_b64 exec, exec, s[8:9]
	v_cmp_gt_i32_e32 vcc, s22, v146
	v_mov_b32_e32 v67, 0
	s_and_saveexec_b64 s[8:9], vcc
	s_cbranch_execz .LBB2_165
; %bb.164:                              ;   in Loop: Header=BB2_148 Depth=1
	v_add_co_u32_e32 v16, vcc, v128, v113
	v_addc_co_u32_e32 v17, vcc, v129, v114, vcc
	global_load_dwordx2 v[66:67], v[16:17], off offset:-4
.LBB2_165:                              ;   in Loop: Header=BB2_148 Depth=1
	s_or_b64 exec, exec, s[8:9]
	v_cmp_gt_i32_e32 vcc, s22, v147
	v_mov_b32_e32 v68, 0
	v_mov_b32_e32 v69, 0
	s_and_saveexec_b64 s[8:9], vcc
	s_cbranch_execz .LBB2_167
; %bb.166:                              ;   in Loop: Header=BB2_148 Depth=1
	v_add_co_u32_e32 v16, vcc, v132, v113
	v_addc_co_u32_e32 v17, vcc, v133, v114, vcc
	global_load_dwordx2 v[68:69], v[16:17], off offset:-4
.LBB2_167:                              ;   in Loop: Header=BB2_148 Depth=1
	s_or_b64 exec, exec, s[8:9]
	v_cmp_gt_i32_e64 s[8:9], s22, v148
	s_branch .LBB2_170
.LBB2_168:                              ;   in Loop: Header=BB2_148 Depth=1
	s_mov_b64 s[8:9], 0
                                        ; implicit-def: $vgpr65
                                        ; implicit-def: $vgpr67
                                        ; implicit-def: $vgpr69
	s_cbranch_execz .LBB2_170
; %bb.169:                              ;   in Loop: Header=BB2_148 Depth=1
	global_load_dwordx2 v[64:65], v[14:15], off offset:-4
	v_add_co_u32_e32 v14, vcc, v128, v113
	v_addc_co_u32_e32 v15, vcc, v129, v114, vcc
	global_load_dwordx2 v[66:67], v[14:15], off offset:-4
	v_add_co_u32_e32 v14, vcc, v106, v113
	v_addc_co_u32_e32 v15, vcc, v107, v114, vcc
	global_load_dwordx2 v[68:69], v[14:15], off
	s_or_b64 s[8:9], s[8:9], exec
.LBB2_170:                              ;   in Loop: Header=BB2_148 Depth=1
	v_mov_b32_e32 v70, 0
	v_mov_b32_e32 v71, 0
	s_and_saveexec_b64 s[18:19], s[8:9]
	s_cbranch_execz .LBB2_172
; %bb.171:                              ;   in Loop: Header=BB2_148 Depth=1
	v_add_co_u32_e32 v14, vcc, v134, v113
	v_addc_co_u32_e32 v15, vcc, v135, v114, vcc
	global_load_dwordx2 v[70:71], v[14:15], off offset:-4
.LBB2_172:                              ;   in Loop: Header=BB2_148 Depth=1
	s_or_b64 exec, exec, s[18:19]
	ds_read_b64 v[26:27], v140
	ds_read_b128 v[18:21], v115 offset:128
	ds_read_b128 v[14:17], v115 offset:144
	s_and_b64 vcc, exec, s[4:5]
	s_waitcnt vmcnt(0) lgkmcnt(2)
	v_mul_f32_e32 v28, v65, v27
	v_mul_f32_e32 v29, v65, v26
	;; [unrolled: 1-line block ×4, first 2 shown]
	v_fmac_f32_e32 v28, v64, v26
	v_fma_f32 v29, v64, v27, -v29
	v_fmac_f32_e32 v30, v66, v26
	v_fma_f32 v31, v66, v27, -v31
	ds_write2_b64 v141, v[28:29], v[30:31] offset1:67
	v_mul_f32_e32 v28, v69, v27
	v_mul_f32_e32 v30, v71, v27
	v_fmac_f32_e32 v28, v68, v26
	v_mul_f32_e32 v29, v69, v26
	v_fmac_f32_e32 v30, v70, v26
	v_mul_f32_e32 v26, v71, v26
	v_fma_f32 v29, v68, v27, -v29
	v_fma_f32 v31, v70, v27, -v26
	ds_write2_b64 v141, v[28:29], v[30:31] offset0:134 offset1:201
	s_waitcnt lgkmcnt(0)
	s_barrier
	ds_read2_b64 v[38:41], v110 offset1:1
	ds_read2_b64 v[34:37], v110 offset0:2 offset1:3
	v_add_co_u32_e64 v26, s[8:9], v136, v113
	v_addc_co_u32_e64 v27, s[8:9], v137, v114, s[8:9]
	s_waitcnt lgkmcnt(0)
	s_barrier
	s_cbranch_vccnz .LBB2_180
; %bb.173:                              ;   in Loop: Header=BB2_148 Depth=1
	v_cmp_gt_i32_e32 vcc, s22, v149
	v_mov_b32_e32 v74, 0
	v_mov_b32_e32 v72, 0
	;; [unrolled: 1-line block ×3, first 2 shown]
	s_and_saveexec_b64 s[8:9], vcc
	s_cbranch_execz .LBB2_175
; %bb.174:                              ;   in Loop: Header=BB2_148 Depth=1
	global_load_dwordx2 v[72:73], v[26:27], off offset:-4
.LBB2_175:                              ;   in Loop: Header=BB2_148 Depth=1
	s_or_b64 exec, exec, s[8:9]
	v_cmp_gt_i32_e32 vcc, s22, v150
	v_mov_b32_e32 v75, 0
	s_and_saveexec_b64 s[8:9], vcc
	s_cbranch_execz .LBB2_177
; %bb.176:                              ;   in Loop: Header=BB2_148 Depth=1
	v_add_co_u32_e32 v28, vcc, v108, v113
	v_addc_co_u32_e32 v29, vcc, v109, v114, vcc
	global_load_dwordx2 v[74:75], v[28:29], off
.LBB2_177:                              ;   in Loop: Header=BB2_148 Depth=1
	s_or_b64 exec, exec, s[8:9]
	v_cmp_gt_i32_e32 vcc, s22, v151
	v_mov_b32_e32 v76, 0
	v_mov_b32_e32 v77, 0
	s_and_saveexec_b64 s[8:9], vcc
	s_cbranch_execz .LBB2_179
; %bb.178:                              ;   in Loop: Header=BB2_148 Depth=1
	v_add_co_u32_e32 v28, vcc, v104, v113
	v_addc_co_u32_e32 v29, vcc, v105, v114, vcc
	global_load_dwordx2 v[76:77], v[28:29], off
.LBB2_179:                              ;   in Loop: Header=BB2_148 Depth=1
	s_or_b64 exec, exec, s[8:9]
	v_cmp_gt_i32_e64 s[8:9], s22, v152
	s_branch .LBB2_182
.LBB2_180:                              ;   in Loop: Header=BB2_148 Depth=1
	s_mov_b64 s[8:9], 0
                                        ; implicit-def: $vgpr73
                                        ; implicit-def: $vgpr75
                                        ; implicit-def: $vgpr77
	s_cbranch_execz .LBB2_182
; %bb.181:                              ;   in Loop: Header=BB2_148 Depth=1
	global_load_dwordx2 v[72:73], v[26:27], off offset:-4
	v_add_co_u32_e32 v26, vcc, v108, v113
	v_addc_co_u32_e32 v27, vcc, v109, v114, vcc
	global_load_dwordx2 v[74:75], v[26:27], off
	v_add_co_u32_e32 v26, vcc, v130, v113
	v_addc_co_u32_e32 v27, vcc, v131, v114, vcc
	global_load_dwordx2 v[76:77], v[26:27], off offset:-4
	s_or_b64 s[8:9], s[8:9], exec
.LBB2_182:                              ;   in Loop: Header=BB2_148 Depth=1
	v_mov_b32_e32 v78, 0
	v_mov_b32_e32 v79, 0
	s_and_saveexec_b64 s[18:19], s[8:9]
	s_cbranch_execz .LBB2_184
; %bb.183:                              ;   in Loop: Header=BB2_148 Depth=1
	v_add_co_u32_e32 v26, vcc, v102, v113
	v_addc_co_u32_e32 v27, vcc, v103, v114, vcc
	global_load_dwordx2 v[78:79], v[26:27], off
.LBB2_184:                              ;   in Loop: Header=BB2_148 Depth=1
	s_or_b64 exec, exec, s[18:19]
	ds_read_b64 v[42:43], v140
	ds_read_b128 v[30:33], v115 offset:256
	ds_read_b128 v[26:29], v115 offset:272
	s_and_b64 vcc, exec, s[4:5]
	v_add_co_u32_e64 v86, s[4:5], v92, v113
	s_waitcnt vmcnt(0) lgkmcnt(2)
	v_mul_f32_e32 v44, v73, v43
	v_mul_f32_e32 v45, v73, v42
	;; [unrolled: 1-line block ×4, first 2 shown]
	v_fmac_f32_e32 v44, v72, v42
	v_fma_f32 v45, v72, v43, -v45
	v_fmac_f32_e32 v46, v74, v42
	v_fma_f32 v47, v74, v43, -v47
	ds_write2_b64 v141, v[44:45], v[46:47] offset1:67
	v_mul_f32_e32 v44, v77, v43
	v_mul_f32_e32 v46, v79, v43
	v_fmac_f32_e32 v44, v76, v42
	v_mul_f32_e32 v45, v77, v42
	v_fmac_f32_e32 v46, v78, v42
	v_mul_f32_e32 v42, v79, v42
	v_fma_f32 v45, v76, v43, -v45
	v_fma_f32 v47, v78, v43, -v42
	ds_write2_b64 v141, v[44:45], v[46:47] offset0:134 offset1:201
	s_waitcnt lgkmcnt(0)
	s_barrier
	ds_read2_b64 v[46:49], v110 offset1:1
	ds_read2_b64 v[42:45], v110 offset0:2 offset1:3
	v_addc_co_u32_e64 v87, s[4:5], v93, v114, s[4:5]
	s_waitcnt lgkmcnt(0)
	s_barrier
	s_cbranch_vccnz .LBB2_192
; %bb.185:                              ;   in Loop: Header=BB2_148 Depth=1
	v_cmp_gt_i32_e32 vcc, s22, v153
	v_mov_b32_e32 v82, 0
	v_mov_b32_e32 v80, 0
	v_mov_b32_e32 v81, 0
	s_and_saveexec_b64 s[4:5], vcc
	s_cbranch_execz .LBB2_187
; %bb.186:                              ;   in Loop: Header=BB2_148 Depth=1
	global_load_dwordx2 v[80:81], v[86:87], off
.LBB2_187:                              ;   in Loop: Header=BB2_148 Depth=1
	s_or_b64 exec, exec, s[4:5]
	v_cmp_gt_i32_e32 vcc, s22, v154
	v_mov_b32_e32 v83, 0
	s_and_saveexec_b64 s[4:5], vcc
	s_cbranch_execz .LBB2_189
; %bb.188:                              ;   in Loop: Header=BB2_148 Depth=1
	v_add_co_u32_e32 v82, vcc, v100, v113
	v_addc_co_u32_e32 v83, vcc, v101, v114, vcc
	global_load_dwordx2 v[82:83], v[82:83], off
.LBB2_189:                              ;   in Loop: Header=BB2_148 Depth=1
	s_or_b64 exec, exec, s[4:5]
	v_cmp_gt_i32_e32 vcc, s22, v155
	v_mov_b32_e32 v84, 0
	v_mov_b32_e32 v85, 0
	s_and_saveexec_b64 s[4:5], vcc
	s_cbranch_execz .LBB2_191
; %bb.190:                              ;   in Loop: Header=BB2_148 Depth=1
	v_add_co_u32_e32 v84, vcc, v98, v113
	v_addc_co_u32_e32 v85, vcc, v99, v114, vcc
	global_load_dwordx2 v[84:85], v[84:85], off
.LBB2_191:                              ;   in Loop: Header=BB2_148 Depth=1
	s_or_b64 exec, exec, s[4:5]
	v_cmp_gt_i32_e64 s[4:5], s22, v156
	s_branch .LBB2_194
.LBB2_192:                              ;   in Loop: Header=BB2_148 Depth=1
	s_mov_b64 s[4:5], 0
                                        ; implicit-def: $vgpr81
                                        ; implicit-def: $vgpr83
                                        ; implicit-def: $vgpr85
	s_cbranch_execz .LBB2_194
; %bb.193:                              ;   in Loop: Header=BB2_148 Depth=1
	s_waitcnt vmcnt(0)
	v_add_co_u32_e32 v82, vcc, v100, v113
	v_addc_co_u32_e32 v83, vcc, v101, v114, vcc
	v_add_co_u32_e32 v84, vcc, v118, v113
	v_addc_co_u32_e32 v85, vcc, v119, v114, vcc
	global_load_dwordx2 v[80:81], v[86:87], off
	s_or_b64 s[4:5], s[4:5], exec
	global_load_dwordx2 v[82:83], v[82:83], off
	s_nop 0
	global_load_dwordx2 v[84:85], v[84:85], off offset:-4
.LBB2_194:                              ;   in Loop: Header=BB2_148 Depth=1
	v_mov_b32_e32 v86, 0
	v_mov_b32_e32 v87, 0
	s_and_saveexec_b64 s[8:9], s[4:5]
	s_cbranch_execz .LBB2_196
; %bb.195:                              ;   in Loop: Header=BB2_148 Depth=1
	v_add_co_u32_e32 v86, vcc, v94, v113
	v_addc_co_u32_e32 v87, vcc, v95, v114, vcc
	global_load_dwordx2 v[86:87], v[86:87], off
.LBB2_196:                              ;   in Loop: Header=BB2_148 Depth=1
	s_or_b64 exec, exec, s[8:9]
	v_add_f32_e32 v38, 0, v38
	v_add_f32_e32 v39, 0, v39
	;; [unrolled: 1-line block ×6, first 2 shown]
	ds_read_b64 v[38:39], v140
	v_add_f32_e32 v46, 0, v46
	v_add_f32_e32 v47, 0, v47
	;; [unrolled: 1-line block ×7, first 2 shown]
	s_waitcnt vmcnt(0) lgkmcnt(0)
	v_mul_f32_e32 v40, v81, v39
	v_mul_f32_e32 v41, v81, v38
	v_mul_f32_e32 v46, v83, v39
	v_mul_f32_e32 v47, v83, v38
	v_add_f32_e32 v23, 0, v23
	v_add_f32_e32 v22, v22, v24
	v_fmac_f32_e32 v40, v80, v38
	v_fma_f32 v41, v80, v39, -v41
	v_fmac_f32_e32 v46, v82, v38
	v_fma_f32 v47, v82, v39, -v47
	v_add_f32_e32 v42, v42, v44
	v_add_f32_e32 v43, v43, v45
	;; [unrolled: 1-line block ×6, first 2 shown]
	ds_read_b128 v[34:37], v115 offset:384
	ds_read_b128 v[22:25], v115 offset:400
	ds_write2_b64 v141, v[40:41], v[46:47] offset1:67
	v_mul_f32_e32 v40, v85, v39
	v_mul_f32_e32 v46, v87, v39
	v_fmac_f32_e32 v40, v84, v38
	v_mul_f32_e32 v41, v85, v38
	v_fmac_f32_e32 v46, v86, v38
	v_mul_f32_e32 v38, v87, v38
	v_fma_f32 v41, v84, v39, -v41
	v_fma_f32 v47, v86, v39, -v38
	ds_write2_b64 v141, v[40:41], v[46:47] offset0:134 offset1:201
	s_waitcnt lgkmcnt(0)
	s_barrier
	ds_read2_b64 v[38:41], v110 offset1:1
	v_add_f32_e32 v11, v48, v11
	v_add_f32_e32 v46, v10, v12
	;; [unrolled: 1-line block ×3, first 2 shown]
	ds_read2_b64 v[10:13], v110 offset0:2 offset1:3
	s_waitcnt lgkmcnt(1)
	v_add_f32_e32 v38, 0, v38
	v_add_f32_e32 v39, 0, v39
	v_cmp_gt_i32_e32 vcc, s22, v0
	v_add_f32_e32 v38, v38, v40
	v_add_f32_e32 v39, v39, v41
	s_or_b64 s[4:5], s[14:15], vcc
	s_waitcnt lgkmcnt(0)
	v_add_f32_e32 v10, v38, v10
	v_add_f32_e32 v11, v39, v11
	s_and_b64 s[8:9], s[2:3], s[4:5]
	v_add_f32_e32 v10, v10, v12
	v_add_f32_e32 v11, v11, v13
	s_barrier
	ds_write2_b64 v138, v[46:47], v[44:45] offset1:16
	ds_write2_b64 v138, v[42:43], v[10:11] offset0:32 offset1:48
	s_waitcnt lgkmcnt(0)
	s_barrier
	s_and_saveexec_b64 s[4:5], s[8:9]
	s_cbranch_execz .LBB2_198
; %bb.197:                              ;   in Loop: Header=BB2_148 Depth=1
	ds_read_b64 v[42:43], v111
	ds_read2_b64 v[10:13], v111 offset0:1 offset1:2
	ds_read2_b64 v[38:41], v111 offset0:3 offset1:4
	v_ashrrev_i32_e32 v54, 31, v53
	s_waitcnt lgkmcnt(1)
	v_add_f32_e32 v10, v10, v42
	v_add_f32_e32 v11, v11, v43
	;; [unrolled: 1-line block ×4, first 2 shown]
	ds_read2_b64 v[10:13], v111 offset0:5 offset1:6
	s_waitcnt lgkmcnt(1)
	v_add_f32_e32 v38, v42, v38
	v_add_f32_e32 v39, v43, v39
	;; [unrolled: 1-line block ×4, first 2 shown]
	s_waitcnt lgkmcnt(0)
	v_add_f32_e32 v10, v38, v10
	ds_read2_b64 v[38:41], v111 offset0:7 offset1:8
	v_add_f32_e32 v11, v42, v11
	v_add_f32_e32 v42, v10, v12
	v_add_f32_e32 v43, v11, v13
	ds_read2_b64 v[10:13], v111 offset0:9 offset1:10
	s_waitcnt lgkmcnt(1)
	v_add_f32_e32 v38, v42, v38
	v_add_f32_e32 v39, v43, v39
	;; [unrolled: 1-line block ×4, first 2 shown]
	s_waitcnt lgkmcnt(0)
	v_add_f32_e32 v10, v38, v10
	ds_read2_b64 v[38:41], v111 offset0:11 offset1:12
	v_add_f32_e32 v11, v42, v11
	v_add_f32_e32 v42, v10, v12
	;; [unrolled: 1-line block ×3, first 2 shown]
	ds_read2_b64 v[10:13], v111 offset0:13 offset1:14
	s_waitcnt lgkmcnt(1)
	v_add_f32_e32 v38, v42, v38
	v_add_f32_e32 v39, v43, v39
	;; [unrolled: 1-line block ×4, first 2 shown]
	ds_read_b64 v[38:39], v112
	s_waitcnt lgkmcnt(1)
	v_add_f32_e32 v10, v40, v10
	v_add_f32_e32 v11, v41, v11
	v_add_f32_e32 v10, v10, v12
	v_add_f32_e32 v11, v11, v13
	v_lshlrev_b64 v[12:13], 3, v[53:54]
	s_waitcnt lgkmcnt(0)
	v_add_f32_e32 v10, v10, v38
	v_mov_b32_e32 v38, s17
	v_add_co_u32_e32 v12, vcc, s7, v12
	v_add_f32_e32 v11, v11, v39
	v_addc_co_u32_e32 v13, vcc, v38, v13, vcc
	global_store_dwordx2 v[12:13], v[10:11], off
.LBB2_198:                              ;   in Loop: Header=BB2_148 Depth=1
	s_or_b64 exec, exec, s[4:5]
	v_mul_f32_e32 v10, v57, v7
	v_fma_f32 v10, v56, v6, -v10
	v_mul_f32_e32 v11, v59, v9
	v_mul_f32_e32 v7, v56, v7
	v_add_f32_e32 v10, v51, v10
	v_fma_f32 v11, v58, v8, -v11
	v_mul_f32_e32 v9, v58, v9
	v_add_f32_e32 v10, v10, v11
	v_mul_f32_e32 v11, v61, v3
	v_fmac_f32_e32 v7, v57, v6
	v_fma_f32 v11, v60, v2, -v11
	v_mul_f32_e32 v3, v60, v3
	v_add_f32_e32 v6, v52, v7
	v_fmac_f32_e32 v9, v59, v8
	v_add_f32_e32 v10, v10, v11
	v_mul_f32_e32 v11, v63, v5
	v_mul_f32_e32 v5, v62, v5
	v_add_f32_e32 v6, v6, v9
	v_fmac_f32_e32 v3, v61, v2
	v_fma_f32 v11, v62, v4, -v11
	v_add_f32_e32 v2, v6, v3
	v_fmac_f32_e32 v5, v63, v4
	v_mul_f32_e32 v3, v65, v19
	v_add_f32_e32 v10, v10, v11
	v_add_f32_e32 v2, v2, v5
	v_fma_f32 v3, v64, v18, -v3
	v_mul_f32_e32 v5, v67, v21
	v_add_f32_e32 v3, v10, v3
	v_fma_f32 v5, v66, v20, -v5
	v_mul_f32_e32 v4, v64, v19
	v_add_f32_e32 v3, v3, v5
	v_mul_f32_e32 v5, v69, v15
	v_mul_f32_e32 v6, v66, v21
	v_fma_f32 v5, v68, v14, -v5
	v_fmac_f32_e32 v4, v65, v18
	v_mul_f32_e32 v7, v68, v15
	v_add_f32_e32 v3, v3, v5
	v_mul_f32_e32 v5, v71, v17
	v_add_f32_e32 v2, v2, v4
	v_fmac_f32_e32 v6, v67, v20
	v_fma_f32 v5, v70, v16, -v5
	v_mul_f32_e32 v8, v70, v17
	v_add_f32_e32 v2, v2, v6
	v_fmac_f32_e32 v7, v69, v14
	v_add_f32_e32 v3, v3, v5
	v_add_f32_e32 v2, v2, v7
	v_fmac_f32_e32 v8, v71, v16
	v_mul_f32_e32 v5, v72, v31
	v_add_f32_e32 v2, v2, v8
	v_mul_f32_e32 v6, v74, v33
	v_fmac_f32_e32 v5, v73, v30
	v_mul_f32_e32 v7, v76, v27
	v_add_f32_e32 v2, v2, v5
	v_fmac_f32_e32 v6, v75, v32
	v_mul_f32_e32 v8, v78, v29
	v_add_f32_e32 v2, v2, v6
	v_fmac_f32_e32 v7, v77, v26
	v_add_f32_e32 v2, v2, v7
	v_fmac_f32_e32 v8, v79, v28
	v_mul_f32_e32 v5, v80, v35
	v_add_f32_e32 v2, v2, v8
	v_mul_f32_e32 v6, v82, v37
	v_fmac_f32_e32 v5, v81, v34
	v_mul_f32_e32 v7, v84, v23
	v_fmac_f32_e32 v6, v83, v36
	v_add_f32_e32 v2, v2, v5
	v_mul_f32_e32 v8, v86, v25
	v_fmac_f32_e32 v7, v85, v22
	v_add_f32_e32 v2, v2, v6
	v_fmac_f32_e32 v8, v87, v24
	v_add_f32_e32 v2, v2, v7
	v_add_f32_e32 v52, v2, v8
	v_mov_b32_e32 v2, s13
	v_add_co_u32_e32 v116, vcc, s12, v116
	v_addc_co_u32_e32 v117, vcc, v117, v2, vcc
	v_add_co_u32_e32 v94, vcc, s12, v94
	v_addc_co_u32_e32 v95, vcc, v95, v2, vcc
	;; [unrolled: 2-line block ×11, first 2 shown]
	v_add_co_u32_e32 v102, vcc, s12, v102
	v_mul_f32_e32 v4, v73, v31
	v_addc_co_u32_e32 v103, vcc, v103, v2, vcc
	v_fma_f32 v4, v72, v30, -v4
	v_add_co_u32_e32 v128, vcc, s12, v128
	v_add_f32_e32 v3, v3, v4
	v_mul_f32_e32 v4, v75, v33
	v_addc_co_u32_e32 v129, vcc, v129, v2, vcc
	v_fma_f32 v4, v74, v32, -v4
	v_add_co_u32_e32 v130, vcc, s12, v130
	v_add_f32_e32 v3, v3, v4
	;; [unrolled: 5-line block ×7, first 2 shown]
	v_mul_f32_e32 v4, v87, v25
	v_addc_co_u32_e32 v135, vcc, v135, v2, vcc
	v_fma_f32 v4, v86, v24, -v4
	s_add_i32 s4, s6, 1
	s_add_i32 s10, s10, s25
	;; [unrolled: 1-line block ×3, first 2 shown]
	v_add_co_u32_e32 v136, vcc, s12, v136
	v_add_f32_e32 v51, v3, v4
	v_add_u32_e32 v53, 64, v53
	s_cmp_ge_u32 s5, s33
	v_addc_co_u32_e32 v137, vcc, v137, v2, vcc
	s_waitcnt vmcnt(0)
	s_barrier
	s_cbranch_scc1 .LBB2_200
; %bb.199:                              ;   in Loop: Header=BB2_148 Depth=1
	s_mov_b32 s6, s4
	s_cmp_eq_u32 s24, s6
	s_cselect_b32 s22, s38, 0
	s_and_saveexec_b64 s[4:5], s[0:1]
	s_cbranch_execnz .LBB2_144
	s_branch .LBB2_148
.LBB2_200:
	s_movk_i32 s2, 0x218
	v_cmp_gt_i32_e32 vcc, s16, v0
	v_mad_u32_u24 v1, v1, s2, v88
	s_or_b64 s[2:3], s[20:21], vcc
	s_and_b64 s[0:1], s[0:1], s[2:3]
	ds_write_b64 v1, v[51:52]
	s_waitcnt lgkmcnt(0)
	s_barrier
	s_and_saveexec_b64 s[2:3], s[0:1]
	s_cbranch_execz .LBB2_202
; %bb.201:
	ds_read2_b64 v[0:3], v88 offset1:67
	ds_read2_b64 v[4:7], v88 offset0:134 offset1:201
	v_ashrrev_i32_e32 v51, 31, v50
	s_waitcnt lgkmcnt(1)
	v_add_f32_e32 v0, v2, v0
	v_add_f32_e32 v1, v3, v1
	v_lshlrev_b64 v[2:3], 3, v[50:51]
	s_waitcnt lgkmcnt(0)
	v_add_f32_e32 v0, v4, v0
	v_add_f32_e32 v1, v5, v1
	v_mov_b32_e32 v4, s17
	v_add_co_u32_e32 v2, vcc, s7, v2
	v_add_f32_e32 v0, v0, v6
	v_add_f32_e32 v1, v1, v7
	v_addc_co_u32_e32 v3, vcc, v4, v3, vcc
	global_store_dwordx2 v[2:3], v[0:1], off
.LBB2_202:
	s_endpgm
	.section	.rodata,"a",@progbits
	.p2align	6, 0x0
	.amdhsa_kernel _ZL26rocblas_hemvn_kernel_upperILb1ELi64ELi4ELi33ELi32ELi16EiPK19rocblas_complex_numIfES3_PS1_EviT6_lT7_lT5_lS6_lS7_lS5_lT8_i
		.amdhsa_group_segment_fixed_size 9600
		.amdhsa_private_segment_fixed_size 0
		.amdhsa_kernarg_size 376
		.amdhsa_user_sgpr_count 6
		.amdhsa_user_sgpr_private_segment_buffer 1
		.amdhsa_user_sgpr_dispatch_ptr 0
		.amdhsa_user_sgpr_queue_ptr 0
		.amdhsa_user_sgpr_kernarg_segment_ptr 1
		.amdhsa_user_sgpr_dispatch_id 0
		.amdhsa_user_sgpr_flat_scratch_init 0
		.amdhsa_user_sgpr_private_segment_size 0
		.amdhsa_uses_dynamic_stack 0
		.amdhsa_system_sgpr_private_segment_wavefront_offset 0
		.amdhsa_system_sgpr_workgroup_id_x 1
		.amdhsa_system_sgpr_workgroup_id_y 0
		.amdhsa_system_sgpr_workgroup_id_z 1
		.amdhsa_system_sgpr_workgroup_info 0
		.amdhsa_system_vgpr_workitem_id 1
		.amdhsa_next_free_vgpr 157
		.amdhsa_next_free_sgpr 93
		.amdhsa_reserve_vcc 1
		.amdhsa_reserve_flat_scratch 0
		.amdhsa_float_round_mode_32 0
		.amdhsa_float_round_mode_16_64 0
		.amdhsa_float_denorm_mode_32 3
		.amdhsa_float_denorm_mode_16_64 3
		.amdhsa_dx10_clamp 1
		.amdhsa_ieee_mode 1
		.amdhsa_fp16_overflow 0
		.amdhsa_exception_fp_ieee_invalid_op 0
		.amdhsa_exception_fp_denorm_src 0
		.amdhsa_exception_fp_ieee_div_zero 0
		.amdhsa_exception_fp_ieee_overflow 0
		.amdhsa_exception_fp_ieee_underflow 0
		.amdhsa_exception_fp_ieee_inexact 0
		.amdhsa_exception_int_div_zero 0
	.end_amdhsa_kernel
	.section	.text._ZL26rocblas_hemvn_kernel_upperILb1ELi64ELi4ELi33ELi32ELi16EiPK19rocblas_complex_numIfES3_PS1_EviT6_lT7_lT5_lS6_lS7_lS5_lT8_i,"axG",@progbits,_ZL26rocblas_hemvn_kernel_upperILb1ELi64ELi4ELi33ELi32ELi16EiPK19rocblas_complex_numIfES3_PS1_EviT6_lT7_lT5_lS6_lS7_lS5_lT8_i,comdat
.Lfunc_end2:
	.size	_ZL26rocblas_hemvn_kernel_upperILb1ELi64ELi4ELi33ELi32ELi16EiPK19rocblas_complex_numIfES3_PS1_EviT6_lT7_lT5_lS6_lS7_lS5_lT8_i, .Lfunc_end2-_ZL26rocblas_hemvn_kernel_upperILb1ELi64ELi4ELi33ELi32ELi16EiPK19rocblas_complex_numIfES3_PS1_EviT6_lT7_lT5_lS6_lS7_lS5_lT8_i
                                        ; -- End function
	.set _ZL26rocblas_hemvn_kernel_upperILb1ELi64ELi4ELi33ELi32ELi16EiPK19rocblas_complex_numIfES3_PS1_EviT6_lT7_lT5_lS6_lS7_lS5_lT8_i.num_vgpr, 157
	.set _ZL26rocblas_hemvn_kernel_upperILb1ELi64ELi4ELi33ELi32ELi16EiPK19rocblas_complex_numIfES3_PS1_EviT6_lT7_lT5_lS6_lS7_lS5_lT8_i.num_agpr, 0
	.set _ZL26rocblas_hemvn_kernel_upperILb1ELi64ELi4ELi33ELi32ELi16EiPK19rocblas_complex_numIfES3_PS1_EviT6_lT7_lT5_lS6_lS7_lS5_lT8_i.numbered_sgpr, 44
	.set _ZL26rocblas_hemvn_kernel_upperILb1ELi64ELi4ELi33ELi32ELi16EiPK19rocblas_complex_numIfES3_PS1_EviT6_lT7_lT5_lS6_lS7_lS5_lT8_i.num_named_barrier, 0
	.set _ZL26rocblas_hemvn_kernel_upperILb1ELi64ELi4ELi33ELi32ELi16EiPK19rocblas_complex_numIfES3_PS1_EviT6_lT7_lT5_lS6_lS7_lS5_lT8_i.private_seg_size, 0
	.set _ZL26rocblas_hemvn_kernel_upperILb1ELi64ELi4ELi33ELi32ELi16EiPK19rocblas_complex_numIfES3_PS1_EviT6_lT7_lT5_lS6_lS7_lS5_lT8_i.uses_vcc, 1
	.set _ZL26rocblas_hemvn_kernel_upperILb1ELi64ELi4ELi33ELi32ELi16EiPK19rocblas_complex_numIfES3_PS1_EviT6_lT7_lT5_lS6_lS7_lS5_lT8_i.uses_flat_scratch, 0
	.set _ZL26rocblas_hemvn_kernel_upperILb1ELi64ELi4ELi33ELi32ELi16EiPK19rocblas_complex_numIfES3_PS1_EviT6_lT7_lT5_lS6_lS7_lS5_lT8_i.has_dyn_sized_stack, 0
	.set _ZL26rocblas_hemvn_kernel_upperILb1ELi64ELi4ELi33ELi32ELi16EiPK19rocblas_complex_numIfES3_PS1_EviT6_lT7_lT5_lS6_lS7_lS5_lT8_i.has_recursion, 0
	.set _ZL26rocblas_hemvn_kernel_upperILb1ELi64ELi4ELi33ELi32ELi16EiPK19rocblas_complex_numIfES3_PS1_EviT6_lT7_lT5_lS6_lS7_lS5_lT8_i.has_indirect_call, 0
	.section	.AMDGPU.csdata,"",@progbits
; Kernel info:
; codeLenInByte = 9208
; TotalNumSgprs: 48
; NumVgprs: 157
; ScratchSize: 0
; MemoryBound: 1
; FloatMode: 240
; IeeeMode: 1
; LDSByteSize: 9600 bytes/workgroup (compile time only)
; SGPRBlocks: 12
; VGPRBlocks: 39
; NumSGPRsForWavesPerEU: 97
; NumVGPRsForWavesPerEU: 157
; Occupancy: 1
; WaveLimiterHint : 1
; COMPUTE_PGM_RSRC2:SCRATCH_EN: 0
; COMPUTE_PGM_RSRC2:USER_SGPR: 6
; COMPUTE_PGM_RSRC2:TRAP_HANDLER: 0
; COMPUTE_PGM_RSRC2:TGID_X_EN: 1
; COMPUTE_PGM_RSRC2:TGID_Y_EN: 0
; COMPUTE_PGM_RSRC2:TGID_Z_EN: 1
; COMPUTE_PGM_RSRC2:TIDIG_COMP_CNT: 1
	.section	.text._ZL36rocblas_hemvn_kernel_upper_block_sumILi64EiPK19rocblas_complex_numIfEPS1_S1_EviT1_lS5_lT2_lT0_lPT3_i,"axG",@progbits,_ZL36rocblas_hemvn_kernel_upper_block_sumILi64EiPK19rocblas_complex_numIfEPS1_S1_EviT1_lS5_lT2_lT0_lPT3_i,comdat
	.globl	_ZL36rocblas_hemvn_kernel_upper_block_sumILi64EiPK19rocblas_complex_numIfEPS1_S1_EviT1_lS5_lT2_lT0_lPT3_i ; -- Begin function _ZL36rocblas_hemvn_kernel_upper_block_sumILi64EiPK19rocblas_complex_numIfEPS1_S1_EviT1_lS5_lT2_lT0_lPT3_i
	.p2align	8
	.type	_ZL36rocblas_hemvn_kernel_upper_block_sumILi64EiPK19rocblas_complex_numIfEPS1_S1_EviT1_lS5_lT2_lT0_lPT3_i,@function
_ZL36rocblas_hemvn_kernel_upper_block_sumILi64EiPK19rocblas_complex_numIfEPS1_S1_EviT1_lS5_lT2_lT0_lPT3_i: ; @_ZL36rocblas_hemvn_kernel_upper_block_sumILi64EiPK19rocblas_complex_numIfEPS1_S1_EviT1_lS5_lT2_lT0_lPT3_i
; %bb.0:
	s_load_dwordx8 s[8:15], s[4:5], 0x8
	s_waitcnt lgkmcnt(0)
	s_mul_i32 s0, s11, s7
	s_mul_hi_u32 s1, s10, s7
	s_add_i32 s1, s1, s0
	s_mul_i32 s0, s10, s7
	s_lshl_b64 s[0:1], s[0:1], 3
	s_add_u32 s0, s8, s0
	s_addc_u32 s1, s9, s1
	s_load_dwordx2 s[10:11], s[0:1], 0x0
	s_mul_i32 s0, s15, s7
	s_mul_hi_u32 s1, s14, s7
	s_add_i32 s1, s1, s0
	s_mul_i32 s0, s14, s7
	s_lshl_b64 s[0:1], s[0:1], 3
	s_add_u32 s0, s12, s0
	s_addc_u32 s1, s13, s1
	s_load_dwordx2 s[8:9], s[0:1], 0x0
	s_waitcnt lgkmcnt(0)
	s_or_b32 s0, s10, s11
	s_bitset0_b32 s0, 31
	s_cmp_eq_u32 s0, 0
	s_cselect_b64 s[14:15], -1, 0
	s_cmp_lg_u32 s0, 0
	s_mov_b64 s[0:1], -1
	s_cbranch_scc1 .LBB3_2
; %bb.1:
	v_cmp_neq_f32_e64 s[0:1], s8, 1.0
	v_cmp_neq_f32_e64 s[2:3], s9, 0
	s_or_b64 s[0:1], s[0:1], s[2:3]
.LBB3_2:
	s_andn2_b64 vcc, exec, s[0:1]
	s_cbranch_vccnz .LBB3_19
; %bb.3:
	s_load_dwordx4 s[0:3], s[4:5], 0x40
	s_load_dwordx4 s[16:19], s[4:5], 0x28
	s_load_dword s20, s[4:5], 0x38
	s_load_dword s12, s[4:5], 0x0
	v_lshl_or_b32 v0, s6, 6, v0
	s_waitcnt lgkmcnt(0)
	s_mul_i32 s1, s1, s7
	s_mul_hi_u32 s13, s0, s7
	s_add_i32 s1, s13, s1
	s_mul_i32 s0, s0, s7
	s_lshl_b64 s[0:1], s[0:1], 3
	s_add_u32 s13, s16, s0
	s_addc_u32 s16, s17, s1
	s_lshl_b64 s[0:1], s[18:19], 3
	s_add_u32 s18, s13, s0
	s_addc_u32 s19, s16, s1
	s_mov_b64 s[16:17], -1
	s_andn2_b64 vcc, exec, s[14:15]
	v_cmp_gt_i32_e64 s[0:1], s12, v0
	s_cbranch_vccnz .LBB3_9
; %bb.4:
	s_and_saveexec_b64 s[14:15], s[0:1]
	s_cbranch_execz .LBB3_8
; %bb.5:
	v_mul_lo_u32 v2, s20, v0
	v_cmp_neq_f32_e64 s[0:1], s8, 0
	v_cmp_neq_f32_e64 s[16:17], s9, 0
	s_or_b64 s[0:1], s[0:1], s[16:17]
	v_ashrrev_i32_e32 v3, 31, v2
	v_lshlrev_b64 v[3:4], 3, v[2:3]
	v_mov_b32_e32 v1, 0
	s_andn2_b64 vcc, exec, s[0:1]
	v_mov_b32_e32 v2, 0
	s_cbranch_vccnz .LBB3_7
; %bb.6:
	v_mov_b32_e32 v2, s19
	v_add_co_u32_e32 v1, vcc, s18, v3
	v_addc_co_u32_e32 v2, vcc, v2, v4, vcc
	global_load_dwordx2 v[5:6], v[1:2], off
	s_waitcnt vmcnt(0)
	v_mul_f32_e32 v1, s9, v6
	v_mul_f32_e32 v2, s8, v6
	v_fma_f32 v1, v5, s8, -v1
	v_fmac_f32_e32 v2, s9, v5
.LBB3_7:
	v_mov_b32_e32 v5, s19
	v_add_co_u32_e32 v3, vcc, s18, v3
	v_addc_co_u32_e32 v4, vcc, v5, v4, vcc
	global_store_dwordx2 v[3:4], v[1:2], off
.LBB3_8:
	s_or_b64 exec, exec, s[14:15]
	s_mov_b64 s[16:17], 0
.LBB3_9:
	s_andn2_b64 vcc, exec, s[16:17]
	s_cbranch_vccnz .LBB3_19
; %bb.10:
	v_cmp_gt_i32_e32 vcc, s12, v0
	s_and_saveexec_b64 s[0:1], vcc
	s_cbranch_execz .LBB3_19
; %bb.11:
	v_mov_b32_e32 v1, 0
	s_cmp_lt_i32 s6, 0
	v_mov_b32_e32 v4, 0
	s_cbranch_scc1 .LBB3_14
; %bb.12:
	s_load_dword s0, s[4:5], 0x58
	s_ashr_i32 s13, s12, 31
	s_mul_hi_u32 s1, s12, s7
	s_mul_i32 s5, s13, s7
	s_add_i32 s1, s1, s5
	s_mul_i32 s5, s12, s7
	s_add_i32 s4, s6, 1
	s_waitcnt lgkmcnt(0)
	s_mul_i32 s1, s1, s0
	s_mul_hi_u32 s6, s5, s0
	s_add_i32 s1, s6, s1
	s_mul_i32 s0, s5, s0
	v_mov_b32_e32 v1, 0
	s_lshl_b64 s[0:1], s[0:1], 3
	v_lshlrev_b64 v[2:3], 3, v[0:1]
	s_add_u32 s0, s2, s0
	s_addc_u32 s1, s3, s1
	v_mov_b32_e32 v4, s1
	v_add_co_u32_e32 v2, vcc, s0, v2
	v_addc_co_u32_e32 v3, vcc, v4, v3, vcc
	v_add_co_u32_e32 v2, vcc, 4, v2
	s_lshl_b64 s[0:1], s[12:13], 3
	v_addc_co_u32_e32 v3, vcc, 0, v3, vcc
	v_mov_b32_e32 v5, s1
	v_mov_b32_e32 v4, v1
.LBB3_13:                               ; =>This Inner Loop Header: Depth=1
	global_load_dwordx2 v[6:7], v[2:3], off offset:-4
	s_add_i32 s4, s4, -1
	v_add_co_u32_e32 v2, vcc, s0, v2
	v_addc_co_u32_e32 v3, vcc, v3, v5, vcc
	s_cmp_eq_u32 s4, 0
	s_waitcnt vmcnt(0)
	v_add_f32_e32 v4, v4, v6
	v_add_f32_e32 v1, v1, v7
	s_cbranch_scc0 .LBB3_13
.LBB3_14:
	v_mul_lo_u32 v2, s20, v0
	v_cmp_neq_f32_e64 s[0:1], s8, 0
	v_cmp_neq_f32_e64 s[2:3], s9, 0
	s_or_b64 s[0:1], s[0:1], s[2:3]
	v_mul_f32_e32 v3, s11, v1
	v_mul_f32_e32 v1, s10, v1
	s_andn2_b64 vcc, exec, s[0:1]
	v_fma_f32 v0, v4, s10, -v3
	v_fmac_f32_e32 v1, s11, v4
	v_ashrrev_i32_e32 v3, 31, v2
	s_cbranch_vccz .LBB3_16
; %bb.15:
	s_cbranch_execz .LBB3_17
	s_branch .LBB3_18
.LBB3_16:
.LBB3_17:
	v_lshlrev_b64 v[4:5], 3, v[2:3]
	v_mov_b32_e32 v6, s19
	v_add_co_u32_e32 v4, vcc, s18, v4
	v_addc_co_u32_e32 v5, vcc, v6, v5, vcc
	global_load_dwordx2 v[4:5], v[4:5], off
	s_waitcnt vmcnt(0)
	v_mul_f32_e32 v6, s9, v5
	v_mul_f32_e32 v5, s8, v5
	v_fma_f32 v6, v4, s8, -v6
	v_fmac_f32_e32 v5, s9, v4
	v_add_f32_e32 v0, v0, v6
	v_add_f32_e32 v1, v1, v5
.LBB3_18:
	v_lshlrev_b64 v[2:3], 3, v[2:3]
	v_mov_b32_e32 v4, s19
	v_add_co_u32_e32 v2, vcc, s18, v2
	v_addc_co_u32_e32 v3, vcc, v4, v3, vcc
	global_store_dwordx2 v[2:3], v[0:1], off
.LBB3_19:
	s_endpgm
	.section	.rodata,"a",@progbits
	.p2align	6, 0x0
	.amdhsa_kernel _ZL36rocblas_hemvn_kernel_upper_block_sumILi64EiPK19rocblas_complex_numIfEPS1_S1_EviT1_lS5_lT2_lT0_lPT3_i
		.amdhsa_group_segment_fixed_size 0
		.amdhsa_private_segment_fixed_size 0
		.amdhsa_kernarg_size 344
		.amdhsa_user_sgpr_count 6
		.amdhsa_user_sgpr_private_segment_buffer 1
		.amdhsa_user_sgpr_dispatch_ptr 0
		.amdhsa_user_sgpr_queue_ptr 0
		.amdhsa_user_sgpr_kernarg_segment_ptr 1
		.amdhsa_user_sgpr_dispatch_id 0
		.amdhsa_user_sgpr_flat_scratch_init 0
		.amdhsa_user_sgpr_private_segment_size 0
		.amdhsa_uses_dynamic_stack 0
		.amdhsa_system_sgpr_private_segment_wavefront_offset 0
		.amdhsa_system_sgpr_workgroup_id_x 1
		.amdhsa_system_sgpr_workgroup_id_y 0
		.amdhsa_system_sgpr_workgroup_id_z 1
		.amdhsa_system_sgpr_workgroup_info 0
		.amdhsa_system_vgpr_workitem_id 0
		.amdhsa_next_free_vgpr 8
		.amdhsa_next_free_sgpr 21
		.amdhsa_reserve_vcc 1
		.amdhsa_reserve_flat_scratch 0
		.amdhsa_float_round_mode_32 0
		.amdhsa_float_round_mode_16_64 0
		.amdhsa_float_denorm_mode_32 3
		.amdhsa_float_denorm_mode_16_64 3
		.amdhsa_dx10_clamp 1
		.amdhsa_ieee_mode 1
		.amdhsa_fp16_overflow 0
		.amdhsa_exception_fp_ieee_invalid_op 0
		.amdhsa_exception_fp_denorm_src 0
		.amdhsa_exception_fp_ieee_div_zero 0
		.amdhsa_exception_fp_ieee_overflow 0
		.amdhsa_exception_fp_ieee_underflow 0
		.amdhsa_exception_fp_ieee_inexact 0
		.amdhsa_exception_int_div_zero 0
	.end_amdhsa_kernel
	.section	.text._ZL36rocblas_hemvn_kernel_upper_block_sumILi64EiPK19rocblas_complex_numIfEPS1_S1_EviT1_lS5_lT2_lT0_lPT3_i,"axG",@progbits,_ZL36rocblas_hemvn_kernel_upper_block_sumILi64EiPK19rocblas_complex_numIfEPS1_S1_EviT1_lS5_lT2_lT0_lPT3_i,comdat
.Lfunc_end3:
	.size	_ZL36rocblas_hemvn_kernel_upper_block_sumILi64EiPK19rocblas_complex_numIfEPS1_S1_EviT1_lS5_lT2_lT0_lPT3_i, .Lfunc_end3-_ZL36rocblas_hemvn_kernel_upper_block_sumILi64EiPK19rocblas_complex_numIfEPS1_S1_EviT1_lS5_lT2_lT0_lPT3_i
                                        ; -- End function
	.set _ZL36rocblas_hemvn_kernel_upper_block_sumILi64EiPK19rocblas_complex_numIfEPS1_S1_EviT1_lS5_lT2_lT0_lPT3_i.num_vgpr, 8
	.set _ZL36rocblas_hemvn_kernel_upper_block_sumILi64EiPK19rocblas_complex_numIfEPS1_S1_EviT1_lS5_lT2_lT0_lPT3_i.num_agpr, 0
	.set _ZL36rocblas_hemvn_kernel_upper_block_sumILi64EiPK19rocblas_complex_numIfEPS1_S1_EviT1_lS5_lT2_lT0_lPT3_i.numbered_sgpr, 21
	.set _ZL36rocblas_hemvn_kernel_upper_block_sumILi64EiPK19rocblas_complex_numIfEPS1_S1_EviT1_lS5_lT2_lT0_lPT3_i.num_named_barrier, 0
	.set _ZL36rocblas_hemvn_kernel_upper_block_sumILi64EiPK19rocblas_complex_numIfEPS1_S1_EviT1_lS5_lT2_lT0_lPT3_i.private_seg_size, 0
	.set _ZL36rocblas_hemvn_kernel_upper_block_sumILi64EiPK19rocblas_complex_numIfEPS1_S1_EviT1_lS5_lT2_lT0_lPT3_i.uses_vcc, 1
	.set _ZL36rocblas_hemvn_kernel_upper_block_sumILi64EiPK19rocblas_complex_numIfEPS1_S1_EviT1_lS5_lT2_lT0_lPT3_i.uses_flat_scratch, 0
	.set _ZL36rocblas_hemvn_kernel_upper_block_sumILi64EiPK19rocblas_complex_numIfEPS1_S1_EviT1_lS5_lT2_lT0_lPT3_i.has_dyn_sized_stack, 0
	.set _ZL36rocblas_hemvn_kernel_upper_block_sumILi64EiPK19rocblas_complex_numIfEPS1_S1_EviT1_lS5_lT2_lT0_lPT3_i.has_recursion, 0
	.set _ZL36rocblas_hemvn_kernel_upper_block_sumILi64EiPK19rocblas_complex_numIfEPS1_S1_EviT1_lS5_lT2_lT0_lPT3_i.has_indirect_call, 0
	.section	.AMDGPU.csdata,"",@progbits
; Kernel info:
; codeLenInByte = 728
; TotalNumSgprs: 25
; NumVgprs: 8
; ScratchSize: 0
; MemoryBound: 0
; FloatMode: 240
; IeeeMode: 1
; LDSByteSize: 0 bytes/workgroup (compile time only)
; SGPRBlocks: 3
; VGPRBlocks: 1
; NumSGPRsForWavesPerEU: 25
; NumVGPRsForWavesPerEU: 8
; Occupancy: 10
; WaveLimiterHint : 0
; COMPUTE_PGM_RSRC2:SCRATCH_EN: 0
; COMPUTE_PGM_RSRC2:USER_SGPR: 6
; COMPUTE_PGM_RSRC2:TRAP_HANDLER: 0
; COMPUTE_PGM_RSRC2:TGID_X_EN: 1
; COMPUTE_PGM_RSRC2:TGID_Y_EN: 0
; COMPUTE_PGM_RSRC2:TGID_Z_EN: 1
; COMPUTE_PGM_RSRC2:TIDIG_COMP_CNT: 0
	.section	.text._ZL26rocblas_hemvn_kernel_upperILb1ELi64ELi4ELi33ELi32ELi16El19rocblas_complex_numIfEPKS1_PS1_EviT6_lT7_lT5_lS6_lS7_lS5_lT8_i,"axG",@progbits,_ZL26rocblas_hemvn_kernel_upperILb1ELi64ELi4ELi33ELi32ELi16El19rocblas_complex_numIfEPKS1_PS1_EviT6_lT7_lT5_lS6_lS7_lS5_lT8_i,comdat
	.globl	_ZL26rocblas_hemvn_kernel_upperILb1ELi64ELi4ELi33ELi32ELi16El19rocblas_complex_numIfEPKS1_PS1_EviT6_lT7_lT5_lS6_lS7_lS5_lT8_i ; -- Begin function _ZL26rocblas_hemvn_kernel_upperILb1ELi64ELi4ELi33ELi32ELi16El19rocblas_complex_numIfEPKS1_PS1_EviT6_lT7_lT5_lS6_lS7_lS5_lT8_i
	.p2align	8
	.type	_ZL26rocblas_hemvn_kernel_upperILb1ELi64ELi4ELi33ELi32ELi16El19rocblas_complex_numIfEPKS1_PS1_EviT6_lT7_lT5_lS6_lS7_lS5_lT8_i,@function
_ZL26rocblas_hemvn_kernel_upperILb1ELi64ELi4ELi33ELi32ELi16El19rocblas_complex_numIfEPKS1_PS1_EviT6_lT7_lT5_lS6_lS7_lS5_lT8_i: ; @_ZL26rocblas_hemvn_kernel_upperILb1ELi64ELi4ELi33ELi32ELi16El19rocblas_complex_numIfEPKS1_PS1_EviT6_lT7_lT5_lS6_lS7_lS5_lT8_i
; %bb.0:
	s_load_dwordx2 s[2:3], s[4:5], 0x84
	s_add_u32 s0, s4, 0x78
	s_addc_u32 s1, s5, 0
	s_waitcnt lgkmcnt(0)
	s_lshr_b32 s8, s2, 16
	s_and_b32 s2, s2, 0xffff
	s_and_b32 s3, s3, 0xffff
	s_mul_i32 s2, s8, s2
	s_mul_i32 s2, s2, s3
	s_cmpk_lg_i32 s2, 0x100
	s_cbranch_scc1 .LBB4_202
; %bb.1:
	s_load_dwordx2 s[2:3], s[4:5], 0x4
	s_mov_b64 s[8:9], -1
	s_waitcnt lgkmcnt(0)
	s_or_b32 s2, s2, s3
	s_bitset0_b32 s2, 31
	s_cmp_lg_u32 s2, 0
	s_cselect_b64 s[2:3], -1, 0
	s_and_b64 vcc, exec, s[2:3]
	s_cbranch_vccnz .LBB4_3
; %bb.2:
	s_load_dwordx2 s[8:9], s[4:5], 0x58
	s_waitcnt lgkmcnt(0)
	v_cmp_neq_f32_e64 s[10:11], s8, 1.0
	v_cmp_neq_f32_e64 s[8:9], s9, 0
	s_or_b64 s[8:9], s[10:11], s[8:9]
.LBB4_3:
	s_andn2_b64 vcc, exec, s[8:9]
	s_cbranch_vccnz .LBB4_202
; %bb.4:
	s_andn2_b64 vcc, exec, s[2:3]
	s_cbranch_vccnz .LBB4_202
; %bb.5:
	s_load_dwordx16 s[16:31], s[4:5], 0x18
	s_load_dword s33, s[0:1], 0x0
	s_load_dword s37, s[4:5], 0x0
	s_waitcnt lgkmcnt(0)
	s_mul_i32 s1, s31, s7
	s_mul_hi_u32 s2, s30, s7
	s_mul_i32 s0, s30, s7
	s_add_i32 s1, s2, s1
	s_lshl_b64 s[0:1], s[0:1], 3
	s_add_u32 s2, s24, s0
	s_addc_u32 s3, s25, s1
	s_lshl_b64 s[0:1], s[26:27], 3
	s_add_u32 s2, s2, s0
	s_addc_u32 s3, s3, s1
	s_lshl_b32 s26, s6, 6
	s_ashr_i32 s38, s37, 31
	s_lshr_b32 s0, s38, 26
	v_add_u32_e32 v50, s26, v0
	s_add_i32 s0, s37, s0
	v_ashrrev_i32_e32 v51, 31, v50
	s_and_b32 s9, s0, 0xffffffc0
	v_mul_lo_u32 v4, s28, v51
	v_mul_lo_u32 v5, s29, v50
	v_mad_u64_u32 v[2:3], s[0:1], s28, v50, 0
	s_add_i32 s8, s33, -1
	s_sub_i32 s36, s37, s9
	v_add3_u32 v3, v3, v4, v5
	v_lshlrev_b64 v[2:3], 3, v[2:3]
	s_cmp_eq_u32 s6, s8
	v_mov_b32_e32 v4, s3
	v_add_co_u32_e32 v14, vcc, s2, v2
	s_cselect_b32 s24, s36, 0
	v_addc_co_u32_e32 v15, vcc, v4, v3, vcc
	v_cmp_eq_u32_e64 s[0:1], 0, v1
	s_and_saveexec_b64 s[2:3], s[0:1]
	s_cbranch_execz .LBB4_10
; %bb.6:
	s_cmp_lg_u32 s24, 0
	s_cselect_b64 s[8:9], -1, 0
	v_cmp_le_i32_e32 vcc, s24, v0
	v_mov_b32_e32 v2, 0x2380
	s_and_b64 s[8:9], s[8:9], vcc
	v_lshl_add_u32 v2, v0, 3, v2
	s_and_saveexec_b64 s[10:11], s[8:9]
	s_xor_b64 s[8:9], exec, s[10:11]
; %bb.7:
	v_mov_b32_e32 v3, 0
	v_mov_b32_e32 v4, v3
	ds_write_b64 v2, v[3:4]
                                        ; implicit-def: $vgpr2
; %bb.8:
	s_andn2_saveexec_b64 s[8:9], s[8:9]
	s_cbranch_execz .LBB4_10
; %bb.9:
	global_load_dwordx2 v[3:4], v[14:15], off
	s_waitcnt vmcnt(0)
	ds_write_b64 v2, v[3:4]
.LBB4_10:
	s_or_b64 exec, exec, s[2:3]
	v_lshl_add_u32 v24, v1, 6, v0
	s_mul_i32 s2, s23, s7
	s_mul_hi_u32 s3, s22, s7
	v_and_b32_e32 v2, 31, v0
	v_lshrrev_b32_e32 v9, 5, v24
	s_add_i32 s3, s3, s2
	s_mul_i32 s2, s22, s7
	v_mov_b32_e32 v3, 0
	s_lshl_b64 s[2:3], s[2:3], 3
	v_mad_u64_u32 v[3:4], s[8:9], s20, v9, v[2:3]
	s_add_u32 s10, s16, s2
	s_addc_u32 s11, s17, s3
	s_lshl_b64 s[2:3], s[18:19], 3
	s_add_u32 s8, s10, s2
	s_addc_u32 s9, s11, s3
	v_mad_u64_u32 v[4:5], s[2:3], s21, v9, v[4:5]
	s_ashr_i32 s27, s26, 31
	s_lshl_b64 s[2:3], s[26:27], 3
	s_add_u32 s2, s8, s2
	v_lshlrev_b64 v[16:17], 3, v[3:4]
	s_addc_u32 s3, s9, s3
	v_mov_b32_e32 v3, s3
	v_add_co_u32_e32 v4, vcc, s2, v16
	s_mul_hi_u32 s2, s20, s26
	s_mul_i32 s3, s20, s27
	s_add_i32 s2, s2, s3
	s_mul_i32 s3, s21, s26
	s_add_i32 s3, s2, s3
	s_mul_i32 s2, s20, s26
	s_lshl_b64 s[2:3], s[2:3], 3
	v_addc_co_u32_e32 v3, vcc, v3, v17, vcc
	s_cmp_eq_u32 s24, 0
	v_mov_b32_e32 v6, s3
	v_add_co_u32_e32 v5, vcc, s2, v4
	s_cselect_b64 s[18:19], -1, 0
	s_cmp_lg_u32 s24, 0
	v_addc_co_u32_e32 v6, vcc, v3, v6, vcc
	s_cselect_b64 s[22:23], -1, 0
	s_and_b64 vcc, exec, s[22:23]
	v_cmp_gt_i32_e64 s[2:3], s24, v2
	v_lshlrev_b32_e32 v11, 3, v2
	v_lshlrev_b32_e32 v10, 3, v2
	s_cbranch_vccz .LBB4_28
; %bb.11:
	v_sub_co_u32_e32 v3, vcc, v5, v11
	s_ashr_i32 s25, s24, 31
	v_subbrev_co_u32_e32 v4, vcc, 0, v6, vcc
	s_lshl_b64 s[8:9], s[24:25], 3
	v_mov_b32_e32 v7, s9
	v_add_co_u32_e32 v3, vcc, s8, v3
	v_addc_co_u32_e32 v4, vcc, v4, v7, vcc
	v_add_co_u32_e32 v3, vcc, -8, v3
	v_addc_co_u32_e32 v4, vcc, -1, v4, vcc
	v_mul_u32_u24_e32 v7, 0x108, v9
	v_cndmask_b32_e64 v4, v4, v6, s[2:3]
	v_cndmask_b32_e64 v3, v3, v5, s[2:3]
	v_cmp_le_i32_e32 vcc, s24, v9
	v_add_u32_e32 v7, v10, v7
	s_and_saveexec_b64 s[10:11], vcc
	s_xor_b64 s[10:11], exec, s[10:11]
; %bb.12:
	v_mov_b32_e32 v12, 0
	v_mov_b32_e32 v13, v12
	ds_write_b64 v7, v[12:13]
; %bb.13:
	s_andn2_saveexec_b64 s[10:11], s[10:11]
	s_cbranch_execz .LBB4_15
; %bb.14:
	global_load_dwordx2 v[12:13], v[3:4], off
	s_waitcnt vmcnt(0)
	ds_write_b64 v7, v[12:13]
.LBB4_15:
	s_or_b64 exec, exec, s[10:11]
	v_add_u32_e32 v8, 8, v9
	v_cmp_le_i32_e32 vcc, s24, v8
	s_and_saveexec_b64 s[10:11], vcc
	s_xor_b64 s[10:11], exec, s[10:11]
; %bb.16:
	v_mov_b32_e32 v12, 0
	v_mov_b32_e32 v13, v12
	ds_write_b64 v7, v[12:13] offset:2112
; %bb.17:
	s_andn2_saveexec_b64 s[10:11], s[10:11]
	s_cbranch_execz .LBB4_19
; %bb.18:
	s_lshl_b64 s[12:13], s[20:21], 6
	v_mov_b32_e32 v8, s13
	v_add_co_u32_e32 v12, vcc, s12, v3
	v_addc_co_u32_e32 v13, vcc, v4, v8, vcc
	global_load_dwordx2 v[12:13], v[12:13], off
	s_waitcnt vmcnt(0)
	ds_write_b64 v7, v[12:13] offset:2112
.LBB4_19:
	s_or_b64 exec, exec, s[10:11]
	v_add_u32_e32 v8, 16, v9
	v_cmp_le_i32_e32 vcc, s24, v8
	s_and_saveexec_b64 s[10:11], vcc
	s_xor_b64 s[10:11], exec, s[10:11]
; %bb.20:
	v_mov_b32_e32 v12, 0
	v_mov_b32_e32 v13, v12
	ds_write_b64 v7, v[12:13] offset:4224
; %bb.21:
	s_andn2_saveexec_b64 s[10:11], s[10:11]
	s_cbranch_execz .LBB4_23
; %bb.22:
	s_lshl_b64 s[12:13], s[20:21], 7
	v_mov_b32_e32 v8, s13
	v_add_co_u32_e32 v12, vcc, s12, v3
	v_addc_co_u32_e32 v13, vcc, v4, v8, vcc
	global_load_dwordx2 v[12:13], v[12:13], off
	s_waitcnt vmcnt(0)
	ds_write_b64 v7, v[12:13] offset:4224
.LBB4_23:
	s_or_b64 exec, exec, s[10:11]
	v_add_u32_e32 v8, 24, v9
	v_cmp_le_i32_e32 vcc, s24, v8
	s_and_saveexec_b64 s[10:11], vcc
	s_xor_b64 s[10:11], exec, s[10:11]
; %bb.24:
	v_mov_b32_e32 v12, 0
	v_mov_b32_e32 v13, v12
	ds_write_b64 v7, v[12:13] offset:6336
                                        ; implicit-def: $vgpr7
; %bb.25:
	s_andn2_saveexec_b64 s[10:11], s[10:11]
	s_cbranch_execz .LBB4_27
; %bb.26:
	v_mov_b32_e32 v8, 0xc0
	v_mad_u64_u32 v[12:13], s[12:13], s20, v8, v[3:4]
	s_mul_i32 s12, s21, 0xc0
	v_add_u32_e32 v13, s12, v13
	global_load_dwordx2 v[12:13], v[12:13], off
	s_waitcnt vmcnt(0)
	ds_write_b64 v7, v[12:13] offset:6336
.LBB4_27:
	s_or_b64 exec, exec, s[10:11]
	v_add_co_u32_e32 v3, vcc, v3, v11
	v_addc_co_u32_e32 v4, vcc, 0, v4, vcc
	v_mov_b32_e32 v7, s9
	v_subrev_co_u32_e32 v3, vcc, s8, v3
	v_subb_co_u32_e32 v4, vcc, v4, v7, vcc
	v_add_co_u32_e32 v3, vcc, 8, v3
	v_addc_co_u32_e32 v4, vcc, 0, v4, vcc
	v_cndmask_b32_e64 v4, v4, v6, s[2:3]
	v_cndmask_b32_e64 v3, v3, v5, s[2:3]
	s_branch .LBB4_30
.LBB4_28:
                                        ; implicit-def: $vgpr3_vgpr4
	s_cbranch_execz .LBB4_30
; %bb.29:
	s_lshl_b64 s[2:3], s[20:21], 6
	v_mov_b32_e32 v13, s3
	v_add_co_u32_e32 v3, vcc, s2, v5
	v_addc_co_u32_e32 v4, vcc, v6, v13, vcc
	v_add_co_u32_e32 v7, vcc, s2, v3
	v_addc_co_u32_e32 v8, vcc, v4, v13, vcc
	;; [unrolled: 2-line block ×3, first 2 shown]
	global_load_dwordx2 v[18:19], v[5:6], off
	global_load_dwordx2 v[20:21], v[3:4], off
	;; [unrolled: 1-line block ×4, first 2 shown]
	v_mul_u32_u24_e32 v3, 0x108, v9
	v_lshl_add_u32 v3, v2, 3, v3
	s_waitcnt vmcnt(3)
	ds_write_b64 v3, v[18:19]
	s_waitcnt vmcnt(2)
	ds_write_b64 v3, v[20:21] offset:2112
	s_waitcnt vmcnt(1)
	ds_write_b64 v3, v[22:23] offset:4224
	;; [unrolled: 2-line block ×3, first 2 shown]
	v_mov_b32_e32 v3, v5
	v_mov_b32_e32 v4, v6
.LBB4_30:
	v_lshlrev_b32_e32 v13, 2, v9
	v_mul_u32_u24_e32 v12, 0x108, v2
	v_cmp_le_u32_e64 s[16:17], v13, v2
	s_mov_b64 s[2:3], 0
	s_waitcnt lgkmcnt(0)
	s_barrier
                                        ; implicit-def: $vgpr6
	s_and_saveexec_b64 s[8:9], s[16:17]
	s_xor_b64 s[8:9], exec, s[8:9]
	s_cbranch_execz .LBB4_34
; %bb.31:
	v_cmp_eq_u32_e32 vcc, v13, v2
                                        ; implicit-def: $vgpr6
	s_and_saveexec_b64 s[10:11], vcc
	s_xor_b64 s[10:11], exec, s[10:11]
; %bb.32:
	s_mov_b64 s[2:3], exec
	v_add_u32_e32 v6, v10, v12
; %bb.33:
	s_or_b64 exec, exec, s[10:11]
	s_and_b64 s[2:3], s[2:3], exec
.LBB4_34:
	s_or_saveexec_b64 s[8:9], s[8:9]
	v_lshl_or_b32 v5, v2, 8, v10
	v_mov_b32_e32 v7, 0
	v_lshl_add_u32 v5, v13, 3, v5
	s_xor_b64 exec, exec, s[8:9]
	s_cbranch_execz .LBB4_36
; %bb.35:
	s_movk_i32 s10, 0x420
	v_mad_u32_u24 v6, v9, s10, v10
	ds_read_b64 v[6:7], v6
	s_or_b64 s[2:3], s[2:3], exec
	s_waitcnt lgkmcnt(0)
	v_xor_b32_e32 v7, 0x80000000, v7
	ds_write_b32 v5, v6
	v_mov_b32_e32 v6, v5
.LBB4_36:
	s_or_b64 exec, exec, s[8:9]
	s_and_saveexec_b64 s[8:9], s[2:3]
; %bb.37:
	ds_write_b32 v6, v7 offset:4
; %bb.38:
	s_or_b64 exec, exec, s[8:9]
	v_or_b32_e32 v18, 1, v13
	v_cmp_ge_u32_e64 s[8:9], v13, v2
	s_mov_b64 s[2:3], 0
                                        ; implicit-def: $vgpr7
                                        ; implicit-def: $vgpr6
	s_and_saveexec_b64 s[10:11], s[8:9]
	s_xor_b64 s[10:11], exec, s[10:11]
	s_cbranch_execnz .LBB4_70
; %bb.39:
	s_andn2_saveexec_b64 s[10:11], s[10:11]
	s_cbranch_execnz .LBB4_71
.LBB4_40:
	s_or_b64 exec, exec, s[10:11]
	s_and_saveexec_b64 s[10:11], s[2:3]
.LBB4_41:
	ds_write_b32 v6, v7 offset:4
.LBB4_42:
	s_or_b64 exec, exec, s[10:11]
	v_or_b32_e32 v19, 2, v13
	v_cmp_le_u32_e64 s[10:11], v19, v2
	s_mov_b64 s[2:3], 0
                                        ; implicit-def: $vgpr6
	s_and_saveexec_b64 s[12:13], s[10:11]
	s_xor_b64 s[12:13], exec, s[12:13]
	s_cbranch_execnz .LBB4_74
; %bb.43:
	s_or_saveexec_b64 s[12:13], s[12:13]
	v_mov_b32_e32 v7, 0
	s_xor_b64 exec, exec, s[12:13]
	s_cbranch_execnz .LBB4_77
.LBB4_44:
	s_or_b64 exec, exec, s[12:13]
	s_and_saveexec_b64 s[12:13], s[2:3]
.LBB4_45:
	ds_write_b32 v6, v7 offset:4
.LBB4_46:
	s_or_b64 exec, exec, s[12:13]
	v_or_b32_e32 v21, 3, v13
	v_cmp_le_u32_e64 s[12:13], v21, v2
	s_mov_b64 s[2:3], 0
                                        ; implicit-def: $vgpr6
	s_and_saveexec_b64 s[14:15], s[12:13]
	s_xor_b64 s[14:15], exec, s[14:15]
	s_cbranch_execnz .LBB4_78
; %bb.47:
	s_or_saveexec_b64 s[14:15], s[14:15]
	v_mov_b32_e32 v7, 0
	s_xor_b64 exec, exec, s[14:15]
	s_cbranch_execnz .LBB4_81
.LBB4_48:
	s_or_b64 exec, exec, s[14:15]
	s_and_saveexec_b64 s[14:15], s[2:3]
.LBB4_49:
	ds_write_b32 v6, v7 offset:4
.LBB4_50:
	s_or_b64 exec, exec, s[14:15]
	s_movk_i32 s2, 0x420
	v_mad_u32_u24 v5, v9, s2, v10
	s_movk_i32 s2, 0x108
	s_waitcnt lgkmcnt(0)
	s_barrier
	v_lshlrev_b32_e32 v22, 3, v13
	ds_read_b64 v[33:34], v5
	ds_read_b128 v[5:8], v22 offset:9088
	ds_read_b128 v[25:28], v22 offset:9104
	v_mad_u32_u24 v23, v18, s2, v10
	ds_read2_b64 v[29:32], v23 offset1:33
	v_mov_b32_e32 v52, 0
	s_waitcnt lgkmcnt(2)
	v_mul_f32_e32 v20, v6, v34
	v_fma_f32 v20, v5, v33, -v20
	v_mul_f32_e32 v5, v5, v34
	v_fmac_f32_e32 v5, v6, v33
	v_add_f32_e32 v6, 0, v20
	s_waitcnt lgkmcnt(0)
	v_mul_f32_e32 v20, v8, v30
	v_fma_f32 v20, v7, v29, -v20
	v_mul_f32_e32 v7, v7, v30
	v_add_f32_e32 v5, 0, v5
	v_fmac_f32_e32 v7, v8, v29
	v_add_f32_e32 v8, v6, v20
	v_add_f32_e32 v7, v5, v7
	ds_read_b64 v[5:6], v23 offset:528
	v_mul_f32_e32 v20, v26, v32
	v_fma_f32 v20, v25, v31, -v20
	v_mul_f32_e32 v23, v25, v32
	v_fmac_f32_e32 v23, v26, v31
	v_add_f32_e32 v8, v8, v20
	s_waitcnt lgkmcnt(0)
	v_mul_f32_e32 v20, v28, v6
	v_mul_f32_e32 v6, v27, v6
	v_add_f32_e32 v7, v7, v23
	v_fmac_f32_e32 v6, v28, v5
	v_add_f32_e32 v6, v7, v6
	v_mul_u32_u24_e32 v7, 33, v2
	v_fma_f32 v20, v27, v5, -v20
	v_lshlrev_b32_e32 v25, 3, v7
	v_add_f32_e32 v5, v8, v20
	v_lshl_add_u32 v26, v9, 3, v25
	v_cmp_gt_u32_e64 s[2:3], 32, v24
	v_mov_b32_e32 v53, 0
	s_barrier
	ds_write_b64 v26, v[5:6]
	s_waitcnt lgkmcnt(0)
	s_barrier
	s_and_saveexec_b64 s[14:15], s[2:3]
	s_cbranch_execz .LBB4_52
; %bb.51:
	ds_read2_b64 v[5:8], v25 offset1:7
	ds_read2_b64 v[27:30], v25 offset0:1 offset1:2
	ds_read2_b64 v[31:34], v25 offset0:3 offset1:4
	s_waitcnt lgkmcnt(1)
	v_add_f32_e32 v5, v27, v5
	v_add_f32_e32 v6, v28, v6
	v_add_f32_e32 v5, v29, v5
	v_add_f32_e32 v6, v30, v6
	ds_read2_b64 v[27:30], v25 offset0:5 offset1:6
	s_waitcnt lgkmcnt(1)
	v_add_f32_e32 v5, v5, v31
	v_add_f32_e32 v6, v6, v32
	v_add_f32_e32 v5, v5, v33
	v_add_f32_e32 v6, v6, v34
	s_waitcnt lgkmcnt(0)
	v_add_f32_e32 v5, v5, v27
	v_add_f32_e32 v6, v6, v28
	v_add_f32_e32 v5, v5, v29
	v_add_f32_e32 v6, v6, v30
	v_add_f32_e32 v52, v5, v7
	v_add_f32_e32 v53, v6, v8
.LBB4_52:
	s_or_b64 exec, exec, s[14:15]
	s_lshl_b64 s[14:15], s[20:21], 8
	v_mov_b32_e32 v5, s15
	v_add_co_u32_e32 v7, vcc, s14, v3
	v_addc_co_u32_e32 v8, vcc, v4, v5, vcc
	v_add_co_u32_e32 v5, vcc, 0x100, v7
	v_addc_co_u32_e32 v6, vcc, 0, v8, vcc
	s_and_b64 vcc, exec, s[22:23]
	s_barrier
	s_cbranch_vccz .LBB4_82
; %bb.53:
	v_sub_co_u32_e32 v4, vcc, v7, v11
	s_ashr_i32 s25, s24, 31
	v_subbrev_co_u32_e32 v20, vcc, 0, v8, vcc
	s_lshl_b64 s[30:31], s[24:25], 3
	v_mov_b32_e32 v23, s31
	v_add_co_u32_e32 v4, vcc, s30, v4
	v_addc_co_u32_e32 v20, vcc, v20, v23, vcc
	v_or_b32_e32 v3, 32, v2
	v_add_co_u32_e32 v23, vcc, -8, v4
	v_addc_co_u32_e32 v4, vcc, -1, v20, vcc
	v_cmp_gt_i32_e64 s[14:15], s24, v3
	s_sub_i32 s25, s24, 32
	v_mul_u32_u24_e32 v20, 0x108, v9
	v_cndmask_b32_e64 v4, v4, v6, s[14:15]
	v_cndmask_b32_e64 v3, v23, v5, s[14:15]
	v_cmp_le_i32_e32 vcc, s25, v9
	v_add_u32_e32 v20, v10, v20
	s_and_saveexec_b64 s[34:35], vcc
	s_xor_b64 s[34:35], exec, s[34:35]
; %bb.54:
	v_mov_b32_e32 v27, 0
	v_mov_b32_e32 v28, v27
	ds_write_b64 v20, v[27:28]
; %bb.55:
	s_andn2_saveexec_b64 s[34:35], s[34:35]
	s_cbranch_execz .LBB4_57
; %bb.56:
	global_load_dwordx2 v[27:28], v[3:4], off
	s_waitcnt vmcnt(0)
	ds_write_b64 v20, v[27:28]
.LBB4_57:
	s_or_b64 exec, exec, s[34:35]
	v_add_u32_e32 v23, 8, v9
	v_cmp_le_i32_e32 vcc, s25, v23
	s_and_saveexec_b64 s[34:35], vcc
	s_xor_b64 s[34:35], exec, s[34:35]
; %bb.58:
	v_mov_b32_e32 v27, 0
	v_mov_b32_e32 v28, v27
	ds_write_b64 v20, v[27:28] offset:2112
; %bb.59:
	s_andn2_saveexec_b64 s[34:35], s[34:35]
	s_cbranch_execz .LBB4_61
; %bb.60:
	s_lshl_b64 s[40:41], s[20:21], 6
	v_mov_b32_e32 v23, s41
	v_add_co_u32_e32 v27, vcc, s40, v3
	v_addc_co_u32_e32 v28, vcc, v4, v23, vcc
	global_load_dwordx2 v[27:28], v[27:28], off
	s_waitcnt vmcnt(0)
	ds_write_b64 v20, v[27:28] offset:2112
.LBB4_61:
	s_or_b64 exec, exec, s[34:35]
	v_add_u32_e32 v23, 16, v9
	v_cmp_le_i32_e32 vcc, s25, v23
	s_and_saveexec_b64 s[34:35], vcc
	s_xor_b64 s[34:35], exec, s[34:35]
; %bb.62:
	v_mov_b32_e32 v27, 0
	v_mov_b32_e32 v28, v27
	ds_write_b64 v20, v[27:28] offset:4224
; %bb.63:
	s_andn2_saveexec_b64 s[34:35], s[34:35]
	s_cbranch_execz .LBB4_65
; %bb.64:
	s_lshl_b64 s[40:41], s[20:21], 7
	v_mov_b32_e32 v23, s41
	v_add_co_u32_e32 v27, vcc, s40, v3
	v_addc_co_u32_e32 v28, vcc, v4, v23, vcc
	global_load_dwordx2 v[27:28], v[27:28], off
	s_waitcnt vmcnt(0)
	ds_write_b64 v20, v[27:28] offset:4224
.LBB4_65:
	s_or_b64 exec, exec, s[34:35]
	v_add_u32_e32 v23, 24, v9
	v_cmp_le_i32_e32 vcc, s25, v23
	s_and_saveexec_b64 s[34:35], vcc
	s_xor_b64 s[34:35], exec, s[34:35]
; %bb.66:
	v_mov_b32_e32 v27, 0
	v_mov_b32_e32 v28, v27
	ds_write_b64 v20, v[27:28] offset:6336
                                        ; implicit-def: $vgpr20
; %bb.67:
	s_andn2_saveexec_b64 s[34:35], s[34:35]
	s_cbranch_execz .LBB4_69
; %bb.68:
	v_mov_b32_e32 v23, 0xc0
	v_mad_u64_u32 v[27:28], s[40:41], s20, v23, v[3:4]
	s_mul_i32 s25, s21, 0xc0
	v_add_u32_e32 v28, s25, v28
	global_load_dwordx2 v[27:28], v[27:28], off
	s_waitcnt vmcnt(0)
	ds_write_b64 v20, v[27:28] offset:6336
.LBB4_69:
	s_or_b64 exec, exec, s[34:35]
	v_add_co_u32_e32 v3, vcc, v3, v11
	v_addc_co_u32_e32 v4, vcc, 0, v4, vcc
	v_mov_b32_e32 v20, s31
	v_subrev_co_u32_e32 v3, vcc, s30, v3
	v_subb_co_u32_e32 v4, vcc, v4, v20, vcc
	v_add_co_u32_e32 v3, vcc, 0x108, v3
	v_addc_co_u32_e32 v4, vcc, 0, v4, vcc
	v_cndmask_b32_e64 v4, v4, v6, s[14:15]
	v_cndmask_b32_e64 v3, v3, v5, s[14:15]
	s_branch .LBB4_84
.LBB4_70:
	s_movk_i32 s12, 0x108
	v_mad_u32_u24 v6, v18, s12, v10
	ds_read_b64 v[19:20], v6
	s_mov_b64 s[2:3], exec
	v_add_u32_e32 v6, 8, v5
	s_waitcnt lgkmcnt(0)
	v_xor_b32_e32 v7, 0x80000000, v20
	ds_write_b32 v5, v19 offset:8
	s_andn2_saveexec_b64 s[10:11], s[10:11]
	s_cbranch_execz .LBB4_40
.LBB4_71:
	v_cmp_eq_u32_e32 vcc, v18, v2
	s_mov_b64 s[12:13], s[2:3]
                                        ; implicit-def: $vgpr6
	s_and_saveexec_b64 s[14:15], vcc
; %bb.72:
	v_add_u32_e32 v6, v10, v12
	s_or_b64 s[12:13], s[2:3], exec
; %bb.73:
	s_or_b64 exec, exec, s[14:15]
	s_andn2_b64 s[2:3], s[2:3], exec
	s_and_b64 s[12:13], s[12:13], exec
	v_mov_b32_e32 v7, 0
	s_or_b64 s[2:3], s[2:3], s[12:13]
	s_or_b64 exec, exec, s[10:11]
	s_and_saveexec_b64 s[10:11], s[2:3]
	s_cbranch_execnz .LBB4_41
	s_branch .LBB4_42
.LBB4_74:
	v_cmp_eq_u32_e32 vcc, v19, v2
                                        ; implicit-def: $vgpr6
	s_and_saveexec_b64 s[14:15], vcc
; %bb.75:
	s_mov_b64 s[2:3], exec
	v_add_u32_e32 v6, v10, v12
; %bb.76:
	s_or_b64 exec, exec, s[14:15]
	s_and_b64 s[2:3], s[2:3], exec
	s_or_saveexec_b64 s[12:13], s[12:13]
	v_mov_b32_e32 v7, 0
	s_xor_b64 exec, exec, s[12:13]
	s_cbranch_execz .LBB4_44
.LBB4_77:
	s_movk_i32 s14, 0x108
	v_mad_u32_u24 v6, v19, s14, v10
	ds_read_b64 v[20:21], v6
	v_add_u32_e32 v6, 16, v5
	s_or_b64 s[2:3], s[2:3], exec
	s_waitcnt lgkmcnt(0)
	v_xor_b32_e32 v7, 0x80000000, v21
	ds_write_b32 v5, v20 offset:16
	s_or_b64 exec, exec, s[12:13]
	s_and_saveexec_b64 s[12:13], s[2:3]
	s_cbranch_execnz .LBB4_45
	s_branch .LBB4_46
.LBB4_78:
	v_cmp_eq_u32_e32 vcc, v21, v2
                                        ; implicit-def: $vgpr6
	s_and_saveexec_b64 s[30:31], vcc
; %bb.79:
	s_mov_b64 s[2:3], exec
	v_add_u32_e32 v6, v10, v12
; %bb.80:
	s_or_b64 exec, exec, s[30:31]
	s_and_b64 s[2:3], s[2:3], exec
                                        ; implicit-def: $vgpr5
	s_or_saveexec_b64 s[14:15], s[14:15]
	v_mov_b32_e32 v7, 0
	s_xor_b64 exec, exec, s[14:15]
	s_cbranch_execz .LBB4_48
.LBB4_81:
	s_movk_i32 s25, 0x108
	v_mad_u32_u24 v6, v21, s25, v10
	ds_read_b64 v[22:23], v6
	v_add_u32_e32 v6, 24, v5
	s_or_b64 s[2:3], s[2:3], exec
	s_waitcnt lgkmcnt(0)
	v_xor_b32_e32 v7, 0x80000000, v23
	ds_write_b32 v5, v22 offset:24
	s_or_b64 exec, exec, s[14:15]
	s_and_saveexec_b64 s[14:15], s[2:3]
	s_cbranch_execnz .LBB4_49
	s_branch .LBB4_50
.LBB4_82:
                                        ; implicit-def: $vgpr3_vgpr4
	s_cbranch_execz .LBB4_84
; %bb.83:
	s_lshl_b64 s[14:15], s[20:21], 6
	v_mov_b32_e32 v20, s15
	v_add_co_u32_e32 v3, vcc, s14, v7
	v_addc_co_u32_e32 v4, vcc, v8, v20, vcc
	v_add_co_u32_e32 v27, vcc, s14, v3
	v_addc_co_u32_e32 v28, vcc, v4, v20, vcc
	;; [unrolled: 2-line block ×3, first 2 shown]
	global_load_dwordx2 v[31:32], v[7:8], off offset:256
	global_load_dwordx2 v[33:34], v[3:4], off offset:256
	;; [unrolled: 1-line block ×4, first 2 shown]
	s_movk_i32 s14, 0x108
	v_mad_u32_u24 v3, v9, s14, v10
	s_waitcnt vmcnt(3)
	ds_write_b64 v3, v[31:32]
	s_waitcnt vmcnt(2)
	ds_write_b64 v3, v[33:34] offset:2112
	s_waitcnt vmcnt(1)
	ds_write_b64 v3, v[35:36] offset:4224
	;; [unrolled: 2-line block ×3, first 2 shown]
	v_mov_b32_e32 v3, v5
	v_mov_b32_e32 v4, v6
.LBB4_84:
	v_mul_u32_u24_e32 v5, 0x420, v9
	s_mov_b64 s[14:15], 0
	s_waitcnt lgkmcnt(0)
	s_barrier
                                        ; implicit-def: $vgpr6
	s_and_saveexec_b64 s[30:31], s[16:17]
	s_xor_b64 s[16:17], exec, s[30:31]
	s_cbranch_execz .LBB4_88
; %bb.85:
	v_cmp_eq_u32_e32 vcc, v13, v2
                                        ; implicit-def: $vgpr6
	s_and_saveexec_b64 s[30:31], vcc
	s_xor_b64 s[30:31], exec, s[30:31]
; %bb.86:
	s_mov_b64 s[14:15], exec
	v_add_u32_e32 v6, v10, v12
; %bb.87:
	s_or_b64 exec, exec, s[30:31]
	s_and_b64 s[14:15], s[14:15], exec
.LBB4_88:
	s_or_saveexec_b64 s[16:17], s[16:17]
	v_mov_b32_e32 v7, 0
	v_add_u32_e32 v20, v10, v5
	v_lshl_add_u32 v5, v13, 3, v25
	s_xor_b64 exec, exec, s[16:17]
	s_cbranch_execz .LBB4_90
; %bb.89:
	ds_read_b64 v[6:7], v20
	s_or_b64 s[14:15], s[14:15], exec
	s_waitcnt lgkmcnt(0)
	v_xor_b32_e32 v7, 0x80000000, v7
	ds_write_b32 v5, v6
	v_mov_b32_e32 v6, v5
.LBB4_90:
	s_or_b64 exec, exec, s[16:17]
	v_mul_u32_u24_e32 v8, 0x108, v18
	s_and_saveexec_b64 s[16:17], s[14:15]
; %bb.91:
	ds_write_b32 v6, v7 offset:4
; %bb.92:
	s_or_b64 exec, exec, s[16:17]
	s_mov_b64 s[14:15], 0
	v_add_u32_e32 v27, v10, v8
                                        ; implicit-def: $vgpr7
                                        ; implicit-def: $vgpr6
	s_and_saveexec_b64 s[16:17], s[8:9]
	s_xor_b64 s[8:9], exec, s[16:17]
	s_cbranch_execnz .LBB4_124
; %bb.93:
	s_andn2_saveexec_b64 s[8:9], s[8:9]
	s_cbranch_execnz .LBB4_125
.LBB4_94:
	s_or_b64 exec, exec, s[8:9]
	s_and_saveexec_b64 s[8:9], s[14:15]
.LBB4_95:
	ds_write_b32 v6, v7 offset:4
.LBB4_96:
	s_or_b64 exec, exec, s[8:9]
	s_mov_b64 s[8:9], 0
                                        ; implicit-def: $vgpr6
	s_and_saveexec_b64 s[14:15], s[10:11]
	s_xor_b64 s[10:11], exec, s[14:15]
	s_cbranch_execnz .LBB4_128
; %bb.97:
	s_or_saveexec_b64 s[10:11], s[10:11]
	v_mov_b32_e32 v7, 0
	s_xor_b64 exec, exec, s[10:11]
	s_cbranch_execnz .LBB4_131
.LBB4_98:
	s_or_b64 exec, exec, s[10:11]
	s_and_saveexec_b64 s[10:11], s[8:9]
.LBB4_99:
	ds_write_b32 v6, v7 offset:4
.LBB4_100:
	s_or_b64 exec, exec, s[10:11]
	s_mov_b64 s[8:9], 0
                                        ; implicit-def: $vgpr6
	s_and_saveexec_b64 s[10:11], s[12:13]
	s_xor_b64 s[10:11], exec, s[10:11]
	s_cbranch_execnz .LBB4_132
; %bb.101:
	s_or_saveexec_b64 s[10:11], s[10:11]
	v_mov_b32_e32 v7, 0
	s_xor_b64 exec, exec, s[10:11]
	s_cbranch_execnz .LBB4_135
.LBB4_102:
	s_or_b64 exec, exec, s[10:11]
	v_add_u32_e32 v12, 0x2380, v22
	s_and_saveexec_b64 s[10:11], s[8:9]
.LBB4_103:
	ds_write_b32 v6, v7 offset:4
.LBB4_104:
	s_or_b64 exec, exec, s[10:11]
	s_waitcnt lgkmcnt(0)
	s_barrier
	ds_read_b64 v[18:19], v20
	ds_read_b128 v[5:8], v12 offset:256
	ds_read_b128 v[28:31], v12 offset:272
	ds_read_b64 v[21:22], v27 offset:528
	ds_read2_b64 v[32:35], v27 offset1:33
	v_cmp_eq_u32_e64 s[8:9], 1, v9
	s_waitcnt lgkmcnt(3)
	v_mul_f32_e32 v13, v6, v19
	v_fma_f32 v13, v5, v18, -v13
	v_mul_f32_e32 v5, v5, v19
	v_fmac_f32_e32 v5, v6, v18
	v_add_f32_e32 v6, 0, v13
	s_waitcnt lgkmcnt(0)
	v_mul_f32_e32 v13, v8, v33
	v_fma_f32 v13, v7, v32, -v13
	v_mul_f32_e32 v7, v7, v33
	v_add_f32_e32 v5, 0, v5
	v_fmac_f32_e32 v7, v8, v32
	v_add_f32_e32 v5, v5, v7
	v_mul_f32_e32 v7, v29, v35
	v_mul_f32_e32 v8, v28, v35
	v_add_f32_e32 v6, v6, v13
	v_fma_f32 v7, v28, v34, -v7
	v_fmac_f32_e32 v8, v29, v34
	v_add_f32_e32 v6, v6, v7
	v_add_f32_e32 v7, v5, v8
	v_mul_f32_e32 v5, v31, v22
	v_mul_f32_e32 v8, v30, v22
	v_fma_f32 v5, v30, v21, -v5
	v_fmac_f32_e32 v8, v31, v21
	v_add_f32_e32 v5, v6, v5
	v_add_f32_e32 v6, v7, v8
	s_barrier
	ds_write_b64 v26, v[5:6]
	s_waitcnt lgkmcnt(0)
	s_barrier
	s_and_saveexec_b64 s[10:11], s[8:9]
	s_cbranch_execz .LBB4_106
; %bb.105:
	ds_read2_b64 v[5:8], v25 offset1:7
	ds_read2_b64 v[28:31], v25 offset0:1 offset1:2
	ds_read2_b64 v[32:35], v25 offset0:3 offset1:4
	s_waitcnt lgkmcnt(1)
	v_add_f32_e32 v5, v28, v5
	v_add_f32_e32 v6, v29, v6
	;; [unrolled: 1-line block ×4, first 2 shown]
	ds_read2_b64 v[28:31], v25 offset0:5 offset1:6
	s_waitcnt lgkmcnt(1)
	v_add_f32_e32 v5, v5, v32
	v_add_f32_e32 v6, v6, v33
	;; [unrolled: 1-line block ×4, first 2 shown]
	s_waitcnt lgkmcnt(0)
	v_add_f32_e32 v5, v5, v28
	v_add_f32_e32 v6, v6, v29
	;; [unrolled: 1-line block ×6, first 2 shown]
.LBB4_106:
	s_or_b64 exec, exec, s[10:11]
	v_add_co_u32_e32 v5, vcc, 0xffffff00, v3
	v_addc_co_u32_e32 v6, vcc, -1, v4, vcc
	s_and_b64 vcc, exec, s[22:23]
	s_barrier
	s_cbranch_vccz .LBB4_136
; %bb.107:
	v_sub_co_u32_e32 v7, vcc, v3, v11
	s_ashr_i32 s25, s24, 31
	v_subbrev_co_u32_e32 v8, vcc, 0, v4, vcc
	s_lshl_b64 s[12:13], s[24:25], 3
	v_mov_b32_e32 v13, s13
	v_add_co_u32_e32 v7, vcc, s12, v7
	v_addc_co_u32_e32 v8, vcc, v8, v13, vcc
	v_add_co_u32_e32 v7, vcc, 0xfffffef8, v7
	v_addc_co_u32_e32 v8, vcc, -1, v8, vcc
	v_cmp_gt_i32_e32 vcc, s24, v2
	s_sub_i32 s16, s24, 32
	v_mul_u32_u24_e32 v2, 0x108, v9
	v_cndmask_b32_e32 v8, v8, v6, vcc
	v_cndmask_b32_e32 v7, v7, v5, vcc
	v_cmp_le_i32_e64 s[10:11], s16, v9
	v_add_u32_e32 v18, v10, v2
	s_and_saveexec_b64 s[14:15], s[10:11]
	s_xor_b64 s[10:11], exec, s[14:15]
; %bb.108:
	v_mov_b32_e32 v21, 0
	v_mov_b32_e32 v22, v21
	ds_write_b64 v18, v[21:22]
; %bb.109:
	s_andn2_saveexec_b64 s[10:11], s[10:11]
	s_cbranch_execz .LBB4_111
; %bb.110:
	global_load_dwordx2 v[21:22], v[7:8], off
	s_waitcnt vmcnt(0)
	ds_write_b64 v18, v[21:22]
.LBB4_111:
	s_or_b64 exec, exec, s[10:11]
	v_add_u32_e32 v2, 8, v9
	v_cmp_le_i32_e64 s[10:11], s16, v2
	s_and_saveexec_b64 s[14:15], s[10:11]
	s_xor_b64 s[10:11], exec, s[14:15]
; %bb.112:
	v_mov_b32_e32 v21, 0
	v_mov_b32_e32 v22, v21
	ds_write_b64 v18, v[21:22] offset:2112
; %bb.113:
	s_andn2_saveexec_b64 s[14:15], s[10:11]
	s_cbranch_execz .LBB4_115
; %bb.114:
	s_lshl_b64 s[10:11], s[20:21], 6
	v_mov_b32_e32 v13, s11
	v_add_co_u32_e64 v21, s[10:11], s10, v7
	v_addc_co_u32_e64 v22, s[10:11], v8, v13, s[10:11]
	global_load_dwordx2 v[21:22], v[21:22], off
	s_waitcnt vmcnt(0)
	ds_write_b64 v18, v[21:22] offset:2112
.LBB4_115:
	s_or_b64 exec, exec, s[14:15]
	v_add_u32_e32 v13, 16, v9
	v_cmp_le_i32_e64 s[10:11], s16, v13
	s_and_saveexec_b64 s[14:15], s[10:11]
	s_xor_b64 s[10:11], exec, s[14:15]
; %bb.116:
	v_mov_b32_e32 v21, 0
	v_mov_b32_e32 v22, v21
	ds_write_b64 v18, v[21:22] offset:4224
; %bb.117:
	s_andn2_saveexec_b64 s[14:15], s[10:11]
	s_cbranch_execz .LBB4_119
; %bb.118:
	s_lshl_b64 s[10:11], s[20:21], 7
	v_mov_b32_e32 v19, s11
	v_add_co_u32_e64 v21, s[10:11], s10, v7
	v_addc_co_u32_e64 v22, s[10:11], v8, v19, s[10:11]
	global_load_dwordx2 v[21:22], v[21:22], off
	s_waitcnt vmcnt(0)
	ds_write_b64 v18, v[21:22] offset:4224
.LBB4_119:
	s_or_b64 exec, exec, s[14:15]
	v_add_u32_e32 v21, 24, v9
	v_cmp_le_i32_e64 s[10:11], s16, v21
	s_and_saveexec_b64 s[14:15], s[10:11]
	s_xor_b64 s[10:11], exec, s[14:15]
; %bb.120:
	v_mov_b32_e32 v22, 0
	v_mov_b32_e32 v23, v22
	ds_write_b64 v18, v[22:23] offset:6336
                                        ; implicit-def: $vgpr18
; %bb.121:
	s_andn2_saveexec_b64 s[10:11], s[10:11]
	s_cbranch_execz .LBB4_123
; %bb.122:
	v_mov_b32_e32 v19, 0xc0
	v_mad_u64_u32 v[22:23], s[14:15], s20, v19, v[7:8]
	s_mul_i32 s14, s21, 0xc0
	v_add_u32_e32 v23, s14, v23
	global_load_dwordx2 v[22:23], v[22:23], off
	s_waitcnt vmcnt(0)
	ds_write_b64 v18, v[22:23] offset:6336
.LBB4_123:
	s_or_b64 exec, exec, s[10:11]
	v_add_co_u32_e64 v7, s[10:11], v7, v11
	v_addc_co_u32_e64 v8, s[10:11], 0, v8, s[10:11]
	v_mov_b32_e32 v11, s13
	v_subrev_co_u32_e64 v7, s[10:11], s12, v7
	v_subb_co_u32_e64 v8, s[10:11], v8, v11, s[10:11]
	v_add_co_u32_e64 v7, s[10:11], 8, v7
	v_addc_co_u32_e64 v8, s[10:11], 0, v8, s[10:11]
	v_cndmask_b32_e32 v19, v8, v6, vcc
	v_cndmask_b32_e32 v18, v7, v5, vcc
	s_branch .LBB4_138
.LBB4_124:
	ds_read_b64 v[28:29], v27
	s_mov_b64 s[14:15], exec
	v_add_u32_e32 v6, 8, v5
                                        ; implicit-def: $vgpr18
	s_waitcnt lgkmcnt(0)
	v_xor_b32_e32 v7, 0x80000000, v29
	ds_write_b32 v5, v28 offset:8
	s_andn2_saveexec_b64 s[8:9], s[8:9]
	s_cbranch_execz .LBB4_94
.LBB4_125:
	v_cmp_eq_u32_e32 vcc, v18, v2
	s_mov_b64 s[16:17], s[14:15]
                                        ; implicit-def: $vgpr6
	s_and_saveexec_b64 s[30:31], vcc
; %bb.126:
	v_add_u32_e32 v6, v10, v12
	s_or_b64 s[16:17], s[14:15], exec
; %bb.127:
	s_or_b64 exec, exec, s[30:31]
	s_andn2_b64 s[14:15], s[14:15], exec
	s_and_b64 s[16:17], s[16:17], exec
	v_mov_b32_e32 v7, 0
	s_or_b64 s[14:15], s[14:15], s[16:17]
	s_or_b64 exec, exec, s[8:9]
	s_and_saveexec_b64 s[8:9], s[14:15]
	s_cbranch_execnz .LBB4_95
	s_branch .LBB4_96
.LBB4_128:
	v_cmp_eq_u32_e32 vcc, v19, v2
                                        ; implicit-def: $vgpr6
	s_and_saveexec_b64 s[14:15], vcc
; %bb.129:
	s_mov_b64 s[8:9], exec
	v_add_u32_e32 v6, v10, v12
; %bb.130:
	s_or_b64 exec, exec, s[14:15]
	s_and_b64 s[8:9], s[8:9], exec
	s_or_saveexec_b64 s[10:11], s[10:11]
	v_mov_b32_e32 v7, 0
	s_xor_b64 exec, exec, s[10:11]
	s_cbranch_execz .LBB4_98
.LBB4_131:
	ds_read_b64 v[18:19], v27 offset:264
	v_add_u32_e32 v6, 16, v5
	s_or_b64 s[8:9], s[8:9], exec
	s_waitcnt lgkmcnt(0)
	v_xor_b32_e32 v7, 0x80000000, v19
	ds_write_b32 v5, v18 offset:16
	s_or_b64 exec, exec, s[10:11]
	s_and_saveexec_b64 s[10:11], s[8:9]
	s_cbranch_execnz .LBB4_99
	s_branch .LBB4_100
.LBB4_132:
	v_cmp_eq_u32_e32 vcc, v21, v2
                                        ; implicit-def: $vgpr6
	s_and_saveexec_b64 s[12:13], vcc
; %bb.133:
	s_mov_b64 s[8:9], exec
	v_add_u32_e32 v6, v10, v12
; %bb.134:
	s_or_b64 exec, exec, s[12:13]
	s_and_b64 s[8:9], s[8:9], exec
                                        ; implicit-def: $vgpr5
	s_or_saveexec_b64 s[10:11], s[10:11]
	v_mov_b32_e32 v7, 0
	s_xor_b64 exec, exec, s[10:11]
	s_cbranch_execz .LBB4_102
.LBB4_135:
	ds_read_b64 v[12:13], v27 offset:528
	v_add_u32_e32 v6, 24, v5
	s_or_b64 s[8:9], s[8:9], exec
	s_waitcnt lgkmcnt(0)
	v_xor_b32_e32 v7, 0x80000000, v13
	ds_write_b32 v5, v12 offset:24
	s_or_b64 exec, exec, s[10:11]
	v_add_u32_e32 v12, 0x2380, v22
	s_and_saveexec_b64 s[10:11], s[8:9]
	s_cbranch_execnz .LBB4_103
	s_branch .LBB4_104
.LBB4_136:
                                        ; implicit-def: $vgpr18_vgpr19
                                        ; implicit-def: $vgpr2
                                        ; implicit-def: $vgpr13
                                        ; implicit-def: $vgpr21
	s_cbranch_execz .LBB4_138
; %bb.137:
	s_lshl_b64 s[10:11], s[20:21], 6
	v_mov_b32_e32 v2, s11
	v_add_co_u32_e32 v7, vcc, s10, v3
	v_addc_co_u32_e32 v8, vcc, v4, v2, vcc
	v_add_co_u32_e32 v18, vcc, s10, v7
	v_addc_co_u32_e32 v19, vcc, v8, v2, vcc
	;; [unrolled: 2-line block ×3, first 2 shown]
	global_load_dwordx2 v[28:29], v[3:4], off offset:-256
	global_load_dwordx2 v[30:31], v[7:8], off offset:-256
	;; [unrolled: 1-line block ×4, first 2 shown]
	s_movk_i32 s10, 0x108
	v_mov_b32_e32 v19, v6
	v_add_u32_e32 v2, 8, v9
	v_add_u32_e32 v13, 16, v9
	;; [unrolled: 1-line block ×3, first 2 shown]
	v_mad_u32_u24 v3, v9, s10, v10
	v_mov_b32_e32 v18, v5
	s_waitcnt vmcnt(3)
	ds_write_b64 v3, v[28:29]
	s_waitcnt vmcnt(2)
	ds_write_b64 v3, v[30:31] offset:2112
	s_waitcnt vmcnt(1)
	ds_write_b64 v3, v[32:33] offset:4224
	;; [unrolled: 2-line block ×3, first 2 shown]
.LBB4_138:
	v_lshlrev_b32_e32 v3, 3, v9
	v_add_u32_e32 v4, v25, v3
	v_lshlrev_b32_e32 v2, 3, v2
	s_waitcnt lgkmcnt(0)
	s_barrier
	v_add_u32_e32 v5, v25, v2
	ds_read_b64 v[10:11], v4
	ds_read_b64 v[28:29], v2 offset:9088
	ds_read_b64 v[30:31], v5
	ds_read_b64 v[22:23], v3 offset:9088
	v_lshlrev_b32_e32 v3, 3, v13
	v_add_u32_e32 v4, v25, v3
	v_lshlrev_b32_e32 v5, 3, v21
	v_add_u32_e32 v6, v25, v5
	ds_read_b64 v[32:33], v4
	ds_read_b64 v[34:35], v6
	ds_read_b64 v[36:37], v5 offset:9088
	ds_read_b64 v[38:39], v3 offset:9088
	s_waitcnt lgkmcnt(4)
	v_mul_f32_e32 v2, v11, v23
	v_fmac_f32_e32 v2, v10, v22
	v_mul_f32_e32 v3, v31, v29
	v_add_f32_e32 v2, 0, v2
	v_fmac_f32_e32 v3, v30, v28
	v_add_f32_e32 v2, v2, v3
	s_waitcnt lgkmcnt(0)
	v_mul_f32_e32 v3, v33, v39
	v_fmac_f32_e32 v3, v32, v38
	v_add_f32_e32 v2, v2, v3
	v_mul_f32_e32 v3, v35, v37
	v_mul_f32_e32 v11, v11, v22
	v_fmac_f32_e32 v3, v34, v36
	v_mul_f32_e32 v31, v31, v28
	v_mul_f32_e32 v35, v35, v36
	v_add_f32_e32 v28, v2, v3
	ds_read_b128 v[6:9], v12 offset:256
	ds_read_b128 v[2:5], v12 offset:272
	v_fma_f32 v36, v10, v23, -v11
	ds_read2_b64 v[10:13], v27 offset1:33
	ds_read_b64 v[22:23], v20
	ds_read_b64 v[20:21], v27 offset:528
	v_mul_f32_e32 v33, v33, v38
	v_add_f32_e32 v27, 0, v36
	v_fma_f32 v29, v30, v29, -v31
	v_add_f32_e32 v27, v27, v29
	v_fma_f32 v29, v32, v39, -v33
	;; [unrolled: 2-line block ×3, first 2 shown]
	v_add_f32_e32 v29, v27, v29
	s_waitcnt lgkmcnt(0)
	s_barrier
	ds_write_b64 v26, v[28:29]
	s_waitcnt lgkmcnt(0)
	s_barrier
	s_and_saveexec_b64 s[10:11], s[8:9]
	s_cbranch_execz .LBB4_140
; %bb.139:
	ds_read2_b64 v[27:30], v25 offset1:1
	ds_read2_b64 v[31:34], v25 offset0:2 offset1:3
	ds_read2_b64 v[35:38], v25 offset0:4 offset1:5
	s_waitcnt lgkmcnt(2)
	v_add_f32_e32 v27, v52, v27
	v_add_f32_e32 v28, v53, v28
	;; [unrolled: 1-line block ×4, first 2 shown]
	s_waitcnt lgkmcnt(1)
	v_add_f32_e32 v27, v27, v31
	v_add_f32_e32 v28, v28, v32
	;; [unrolled: 1-line block ×4, first 2 shown]
	ds_read2_b64 v[27:30], v25 offset0:6 offset1:7
	s_waitcnt lgkmcnt(1)
	v_add_f32_e32 v31, v31, v35
	v_add_f32_e32 v32, v32, v36
	v_add_f32_e32 v31, v31, v37
	v_add_f32_e32 v32, v32, v38
	s_waitcnt lgkmcnt(0)
	v_add_f32_e32 v27, v31, v27
	v_add_f32_e32 v28, v32, v28
	;; [unrolled: 1-line block ×4, first 2 shown]
.LBB4_140:
	s_or_b64 exec, exec, s[10:11]
	v_mul_f32_e32 v27, v7, v23
	v_fma_f32 v27, v6, v22, -v27
	v_mul_f32_e32 v6, v6, v23
	v_fmac_f32_e32 v6, v7, v22
	v_mul_f32_e32 v22, v9, v11
	v_fma_f32 v22, v8, v10, -v22
	v_mul_f32_e32 v8, v8, v11
	v_add_f32_e32 v6, 0, v6
	v_fmac_f32_e32 v8, v9, v10
	v_add_f32_e32 v6, v6, v8
	v_mul_f32_e32 v8, v3, v13
	v_fma_f32 v8, v2, v12, -v8
	v_mul_f32_e32 v2, v2, v13
	v_fmac_f32_e32 v2, v3, v12
	v_add_f32_e32 v7, 0, v27
	v_add_f32_e32 v6, v6, v2
	v_mul_f32_e32 v2, v5, v21
	v_add_f32_e32 v7, v7, v22
	v_fma_f32 v2, v4, v20, -v2
	v_mul_f32_e32 v4, v4, v21
	v_add_f32_e32 v3, v7, v8
	v_fmac_f32_e32 v4, v5, v20
	v_add_f32_e32 v2, v3, v2
	v_add_f32_e32 v3, v6, v4
	s_barrier
	ds_write_b64 v26, v[2:3]
	s_waitcnt lgkmcnt(0)
	s_barrier
	s_and_saveexec_b64 s[8:9], s[2:3]
	s_cbranch_execz .LBB4_142
; %bb.141:
	ds_read2_b64 v[2:5], v25 offset1:1
	ds_read2_b64 v[6:9], v25 offset0:2 offset1:3
	ds_read2_b64 v[10:13], v25 offset0:4 offset1:5
	s_waitcnt lgkmcnt(2)
	v_add_f32_e32 v2, v52, v2
	v_add_f32_e32 v3, v53, v3
	v_add_f32_e32 v2, v2, v4
	v_add_f32_e32 v3, v3, v5
	s_waitcnt lgkmcnt(1)
	v_add_f32_e32 v2, v2, v6
	v_add_f32_e32 v3, v3, v7
	v_add_f32_e32 v6, v2, v8
	v_add_f32_e32 v7, v3, v9
	ds_read2_b64 v[2:5], v25 offset0:6 offset1:7
	s_waitcnt lgkmcnt(1)
	v_add_f32_e32 v6, v6, v10
	v_add_f32_e32 v7, v7, v11
	;; [unrolled: 1-line block ×4, first 2 shown]
	s_waitcnt lgkmcnt(0)
	v_add_f32_e32 v2, v6, v2
	v_add_f32_e32 v3, v7, v3
	;; [unrolled: 1-line block ×4, first 2 shown]
.LBB4_142:
	s_or_b64 exec, exec, s[8:9]
	s_load_dwordx2 s[2:3], s[4:5], 0x68
	s_mul_hi_u32 s4, s37, s7
	s_mul_i32 s38, s38, s7
	s_add_i32 s4, s4, s38
	s_mul_i32 s7, s37, s7
	s_mul_i32 s4, s4, s33
	s_mul_hi_u32 s5, s7, s33
	s_add_i32 s5, s5, s4
	s_mul_i32 s4, s7, s33
	s_lshl_b64 s[4:5], s[4:5], 3
	s_waitcnt lgkmcnt(0)
	s_add_u32 s4, s2, s4
	s_addc_u32 s5, s3, s5
	s_mul_hi_i32 s3, s37, s6
	s_mul_i32 s2, s37, s6
	s_lshl_b64 s[2:3], s[2:3], 3
	s_add_u32 s7, s4, s2
	s_addc_u32 s16, s5, s3
	s_add_i32 s2, s6, 1
	s_cmp_ge_u32 s2, s33
	v_lshlrev_b32_e32 v87, 3, v0
	s_barrier
	s_cbranch_scc1 .LBB4_200
; %bb.143:
	v_lshlrev_b32_e32 v7, 5, v1
	v_add_u32_e32 v4, 0x100, v7
	v_mad_u64_u32 v[2:3], s[2:3], s20, v4, 0
	v_add_u32_e32 v6, 0x298, v7
	v_add_u32_e32 v20, 0x108, v7
	v_mad_u64_u32 v[3:4], s[2:3], s21, v4, v[3:4]
	v_mad_u64_u32 v[4:5], s[2:3], s20, v6, 0
	v_sub_co_u32_e32 v8, vcc, v2, v16
	v_mov_b32_e32 v2, v5
	v_subb_co_u32_e32 v9, vcc, v3, v17, vcc
	v_mad_u64_u32 v[2:3], s[2:3], s21, v6, v[2:3]
	v_add_u32_e32 v3, 0x110, v7
	v_mad_u64_u32 v[5:6], s[2:3], s20, v3, 0
	v_sub_co_u32_e32 v10, vcc, v4, v16
	v_subb_co_u32_e32 v11, vcc, v2, v17, vcc
	v_mov_b32_e32 v2, v6
	v_mad_u64_u32 v[2:3], s[2:3], s21, v3, v[2:3]
	v_add_u32_e32 v6, 0x290, v7
	v_mad_u64_u32 v[3:4], s[2:3], s20, v6, 0
	v_sub_co_u32_e32 v12, vcc, v5, v16
	v_subb_co_u32_e32 v13, vcc, v2, v17, vcc
	v_mov_b32_e32 v2, v4
	v_mad_u64_u32 v[4:5], s[2:3], s21, v6, v[2:3]
	v_mad_u64_u32 v[5:6], s[2:3], s20, v20, 0
	v_sub_co_u32_e32 v21, vcc, v3, v16
	v_mov_b32_e32 v2, v6
	v_mad_u64_u32 v[2:3], s[2:3], s21, v20, v[2:3]
	v_add_u32_e32 v6, 0x288, v7
	v_subb_co_u32_e32 v22, vcc, v4, v17, vcc
	v_mad_u64_u32 v[3:4], s[2:3], s20, v6, 0
	v_sub_co_u32_e32 v20, vcc, v5, v16
	v_subb_co_u32_e32 v23, vcc, v2, v17, vcc
	v_mov_b32_e32 v2, v4
	v_mad_u64_u32 v[4:5], s[2:3], s21, v6, v[2:3]
	v_add_u32_e32 v25, 0x118, v7
	v_mad_u64_u32 v[5:6], s[2:3], s20, v25, 0
	v_sub_co_u32_e32 v26, vcc, v3, v16
	v_mov_b32_e32 v2, v6
	v_mad_u64_u32 v[2:3], s[2:3], s21, v25, v[2:3]
	v_add_u32_e32 v6, 0x280, v7
	v_subb_co_u32_e32 v27, vcc, v4, v17, vcc
	v_mad_u64_u32 v[3:4], s[2:3], s20, v6, 0
	v_sub_co_u32_e32 v25, vcc, v5, v16
	v_subb_co_u32_e32 v28, vcc, v2, v17, vcc
	v_mov_b32_e32 v2, v4
	v_mad_u64_u32 v[4:5], s[2:3], s21, v6, v[2:3]
	v_add_u32_e32 v29, 0x180, v7
	;; [unrolled: 12-line block ×5, first 2 shown]
	v_mad_u64_u32 v[5:6], s[2:3], s20, v41, 0
	v_sub_co_u32_e32 v42, vcc, v3, v16
	v_mov_b32_e32 v2, v6
	v_mad_u64_u32 v[2:3], s[2:3], s21, v41, v[2:3]
	v_add_u32_e32 v6, 0x200, v7
	v_subb_co_u32_e32 v43, vcc, v4, v17, vcc
	v_mad_u64_u32 v[3:4], s[2:3], s20, v6, 0
	v_sub_co_u32_e32 v41, vcc, v5, v16
	v_subb_co_u32_e32 v44, vcc, v2, v17, vcc
	v_mov_b32_e32 v2, v4
	v_mad_u64_u32 v[4:5], s[2:3], s21, v6, v[2:3]
	s_mul_i32 s2, s28, s27
	s_mul_hi_u32 s3, s28, s26
	s_add_i32 s2, s3, s2
	s_mul_i32 s3, s29, s26
	v_sub_co_u32_e32 v2, vcc, v3, v16
	s_add_i32 s3, s2, s3
	s_mul_i32 s2, s28, s26
	v_subb_co_u32_e32 v3, vcc, v4, v17, vcc
	s_lshl_b64 s[2:3], s[2:3], 3
	v_mov_b32_e32 v4, s3
	v_subrev_co_u32_e32 v89, vcc, s2, v14
	v_subb_co_u32_e32 v90, vcc, v15, v4, vcc
	v_lshrrev_b32_e32 v4, 4, v24
	v_and_b32_e32 v5, 15, v0
	v_lshlrev_b32_e32 v6, 5, v4
	s_movk_i32 s4, 0x218
	v_mad_u32_u24 v91, v5, s4, v6
	v_or_b32_e32 v6, 4, v8
	v_add_co_u32_e32 v92, vcc, v18, v6
	v_addc_co_u32_e32 v93, vcc, v19, v9, vcc
	v_add_co_u32_e32 v94, vcc, v18, v10
	v_addc_co_u32_e32 v95, vcc, v19, v11, vcc
	;; [unrolled: 2-line block ×4, first 2 shown]
	v_or_b32_e32 v6, 4, v20
	v_add_co_u32_e32 v100, vcc, v18, v6
	v_addc_co_u32_e32 v101, vcc, v19, v23, vcc
	v_add_co_u32_e32 v102, vcc, v18, v26
	v_addc_co_u32_e32 v103, vcc, v19, v27, vcc
	v_or_b32_e32 v6, 4, v25
	v_add_co_u32_e32 v104, vcc, v18, v6
	v_addc_co_u32_e32 v105, vcc, v19, v28, vcc
	v_add_co_u32_e32 v106, vcc, v18, v30
	v_addc_co_u32_e32 v107, vcc, v19, v31, vcc
	;; [unrolled: 5-line block ×5, first 2 shown]
	v_or_b32_e32 v6, 4, v41
	v_add_co_u32_e32 v120, vcc, v18, v6
	v_addc_co_u32_e32 v121, vcc, v19, v44, vcc
	v_or_b32_e32 v2, 4, v2
	v_add_co_u32_e32 v122, vcc, v18, v2
	v_and_b32_e32 v2, 48, v0
	v_lshlrev_b32_e32 v2, 3, v2
	v_mad_u32_u24 v124, v5, s4, v2
	v_or_b32_e32 v2, 0x78, v87
	v_lshlrev_b32_e32 v88, 2, v1
	v_mad_u32_u24 v125, v5, s4, v2
	s_movk_i32 s4, 0x860
	v_mul_i32_i24_e32 v2, 0xffffffe8, v4
	s_add_i32 s17, s33, -2
	v_cmp_gt_u32_e64 s[2:3], 64, v24
	v_addc_co_u32_e32 v123, vcc, v19, v3, vcc
	v_add_u32_e32 v126, 0x2180, v87
	v_add_u32_e32 v127, 0x2180, v7
	s_add_i32 s22, s26, 64
	s_lshl_b64 s[10:11], s[20:21], 9
	v_add_u32_e32 v128, v91, v2
	v_add_u32_e32 v129, 0x2380, v87
	v_mad_u32_u24 v130, v1, s4, v87
	v_or_b32_e32 v131, 1, v88
	v_or_b32_e32 v132, 2, v88
	;; [unrolled: 1-line block ×3, first 2 shown]
	v_add_u32_e32 v134, 16, v88
	v_add_u32_e32 v135, 17, v88
	;; [unrolled: 1-line block ×12, first 2 shown]
	v_mov_b32_e32 v54, 0
	s_cmp_eq_u32 s17, s6
	s_cselect_b32 s20, s36, 0
	s_and_saveexec_b64 s[4:5], s[0:1]
	s_cbranch_execz .LBB4_148
.LBB4_144:
	s_cmp_lg_u32 s20, 0
	s_cselect_b64 s[8:9], -1, 0
	v_cmp_le_i32_e32 vcc, s20, v0
	s_and_b64 s[8:9], s[8:9], vcc
	s_and_saveexec_b64 s[12:13], s[8:9]
	s_xor_b64 s[8:9], exec, s[12:13]
; %bb.145:
	v_mov_b32_e32 v55, v54
	ds_write_b64 v126, v[54:55]
; %bb.146:
	s_andn2_saveexec_b64 s[8:9], s[8:9]
	s_cbranch_execz .LBB4_148
; %bb.147:
	s_ashr_i32 s8, s22, 31
	s_mul_hi_u32 s9, s28, s22
	s_mul_i32 s8, s28, s8
	s_add_i32 s8, s9, s8
	s_mul_i32 s9, s29, s22
	s_add_i32 s9, s8, s9
	s_mul_i32 s8, s28, s22
	s_lshl_b64 s[8:9], s[8:9], 3
	v_mov_b32_e32 v3, s9
	v_add_co_u32_e32 v2, vcc, s8, v89
	v_addc_co_u32_e32 v3, vcc, v90, v3, vcc
	global_load_dwordx2 v[2:3], v[2:3], off
	s_waitcnt vmcnt(0)
	ds_write_b64 v126, v[2:3]
.LBB4_148:                              ; =>This Inner Loop Header: Depth=1
	s_or_b64 exec, exec, s[4:5]
	s_cmp_eq_u32 s20, 0
	v_add_co_u32_e32 v2, vcc, v92, v87
	s_cselect_b64 s[12:13], -1, 0
	s_cmp_lg_u32 s20, 0
	v_addc_co_u32_e32 v3, vcc, 0, v93, vcc
	s_cselect_b64 s[8:9], -1, 0
	s_and_b64 vcc, exec, s[8:9]
	s_waitcnt lgkmcnt(0)
	s_barrier
	s_cbranch_vccz .LBB4_156
; %bb.149:                              ;   in Loop: Header=BB4_148 Depth=1
	v_cmp_gt_i32_e32 vcc, s20, v88
	v_mov_b32_e32 v57, 0
	v_mov_b32_e32 v55, 0
	;; [unrolled: 1-line block ×3, first 2 shown]
	s_and_saveexec_b64 s[4:5], vcc
	s_cbranch_execz .LBB4_151
; %bb.150:                              ;   in Loop: Header=BB4_148 Depth=1
	global_load_dwordx2 v[55:56], v[2:3], off offset:-4
.LBB4_151:                              ;   in Loop: Header=BB4_148 Depth=1
	s_or_b64 exec, exec, s[4:5]
	v_cmp_gt_i32_e32 vcc, s20, v131
	v_mov_b32_e32 v58, 0
	s_and_saveexec_b64 s[4:5], vcc
	s_cbranch_execz .LBB4_153
; %bb.152:                              ;   in Loop: Header=BB4_148 Depth=1
	v_add_co_u32_e32 v4, vcc, v100, v87
	v_addc_co_u32_e32 v5, vcc, 0, v101, vcc
	global_load_dwordx2 v[57:58], v[4:5], off offset:-4
.LBB4_153:                              ;   in Loop: Header=BB4_148 Depth=1
	s_or_b64 exec, exec, s[4:5]
	v_cmp_gt_i32_e32 vcc, s20, v132
	v_mov_b32_e32 v59, 0
	v_mov_b32_e32 v60, 0
	s_and_saveexec_b64 s[4:5], vcc
	s_cbranch_execz .LBB4_155
; %bb.154:                              ;   in Loop: Header=BB4_148 Depth=1
	v_add_co_u32_e32 v4, vcc, v96, v87
	v_addc_co_u32_e32 v5, vcc, 0, v97, vcc
	global_load_dwordx2 v[59:60], v[4:5], off
.LBB4_155:                              ;   in Loop: Header=BB4_148 Depth=1
	s_or_b64 exec, exec, s[4:5]
	v_cmp_gt_i32_e64 s[4:5], s20, v133
	s_branch .LBB4_158
.LBB4_156:                              ;   in Loop: Header=BB4_148 Depth=1
	s_mov_b64 s[4:5], 0
                                        ; implicit-def: $vgpr56
                                        ; implicit-def: $vgpr58
                                        ; implicit-def: $vgpr60
	s_cbranch_execz .LBB4_158
; %bb.157:                              ;   in Loop: Header=BB4_148 Depth=1
	global_load_dwordx2 v[55:56], v[2:3], off offset:-4
	v_add_co_u32_e32 v2, vcc, v100, v87
	v_addc_co_u32_e32 v3, vcc, 0, v101, vcc
	global_load_dwordx2 v[57:58], v[2:3], off offset:-4
	v_add_co_u32_e32 v2, vcc, v96, v87
	v_addc_co_u32_e32 v3, vcc, 0, v97, vcc
	global_load_dwordx2 v[59:60], v[2:3], off
	s_or_b64 s[4:5], s[4:5], exec
.LBB4_158:                              ;   in Loop: Header=BB4_148 Depth=1
	v_mov_b32_e32 v61, 0
	v_mov_b32_e32 v62, 0
	s_and_saveexec_b64 s[14:15], s[4:5]
	s_cbranch_execz .LBB4_160
; %bb.159:                              ;   in Loop: Header=BB4_148 Depth=1
	v_add_co_u32_e32 v2, vcc, v104, v87
	v_addc_co_u32_e32 v3, vcc, 0, v105, vcc
	global_load_dwordx2 v[61:62], v[2:3], off offset:-4
.LBB4_160:                              ;   in Loop: Header=BB4_148 Depth=1
	s_or_b64 exec, exec, s[14:15]
	ds_read_b64 v[10:11], v129
	ds_read_b128 v[6:9], v127
	ds_read_b128 v[2:5], v127 offset:16
	s_andn2_b64 vcc, exec, s[8:9]
	s_waitcnt vmcnt(0) lgkmcnt(2)
	v_mul_f32_e32 v12, v56, v11
	v_mul_f32_e32 v13, v56, v10
	;; [unrolled: 1-line block ×4, first 2 shown]
	v_fmac_f32_e32 v12, v55, v10
	v_fma_f32 v13, v55, v11, -v13
	v_fmac_f32_e32 v14, v57, v10
	v_fma_f32 v15, v57, v11, -v15
	ds_write2_b64 v130, v[12:13], v[14:15] offset1:67
	v_mul_f32_e32 v12, v60, v11
	v_mul_f32_e32 v14, v62, v11
	v_fmac_f32_e32 v12, v59, v10
	v_mul_f32_e32 v13, v60, v10
	v_fmac_f32_e32 v14, v61, v10
	v_mul_f32_e32 v10, v62, v10
	v_fma_f32 v13, v59, v11, -v13
	v_fma_f32 v15, v61, v11, -v10
	ds_write2_b64 v130, v[12:13], v[14:15] offset0:134 offset1:201
	s_waitcnt lgkmcnt(0)
	s_barrier
	ds_read2_b64 v[22:25], v91 offset1:1
	ds_read2_b64 v[10:13], v91 offset0:2 offset1:3
	v_cndmask_b32_e64 v14, 0, 1, s[8:9]
	v_cmp_ne_u32_e64 s[4:5], 1, v14
	v_add_co_u32_e64 v14, s[8:9], v108, v87
	v_addc_co_u32_e64 v15, s[8:9], 0, v109, s[8:9]
	s_waitcnt lgkmcnt(0)
	s_barrier
	s_cbranch_vccnz .LBB4_168
; %bb.161:                              ;   in Loop: Header=BB4_148 Depth=1
	v_cmp_gt_i32_e32 vcc, s20, v134
	v_mov_b32_e32 v65, 0
	v_mov_b32_e32 v63, 0
	v_mov_b32_e32 v64, 0
	s_and_saveexec_b64 s[8:9], vcc
	s_cbranch_execz .LBB4_163
; %bb.162:                              ;   in Loop: Header=BB4_148 Depth=1
	global_load_dwordx2 v[63:64], v[14:15], off offset:-4
.LBB4_163:                              ;   in Loop: Header=BB4_148 Depth=1
	s_or_b64 exec, exec, s[8:9]
	v_cmp_gt_i32_e32 vcc, s20, v135
	v_mov_b32_e32 v66, 0
	s_and_saveexec_b64 s[8:9], vcc
	s_cbranch_execz .LBB4_165
; %bb.164:                              ;   in Loop: Header=BB4_148 Depth=1
	v_add_co_u32_e32 v16, vcc, v112, v87
	v_addc_co_u32_e32 v17, vcc, 0, v113, vcc
	global_load_dwordx2 v[65:66], v[16:17], off offset:-4
.LBB4_165:                              ;   in Loop: Header=BB4_148 Depth=1
	s_or_b64 exec, exec, s[8:9]
	v_cmp_gt_i32_e32 vcc, s20, v136
	v_mov_b32_e32 v67, 0
	v_mov_b32_e32 v68, 0
	s_and_saveexec_b64 s[8:9], vcc
	s_cbranch_execz .LBB4_167
; %bb.166:                              ;   in Loop: Header=BB4_148 Depth=1
	v_add_co_u32_e32 v16, vcc, v116, v87
	v_addc_co_u32_e32 v17, vcc, 0, v117, vcc
	global_load_dwordx2 v[67:68], v[16:17], off offset:-4
.LBB4_167:                              ;   in Loop: Header=BB4_148 Depth=1
	s_or_b64 exec, exec, s[8:9]
	v_cmp_gt_i32_e64 s[8:9], s20, v137
	s_branch .LBB4_170
.LBB4_168:                              ;   in Loop: Header=BB4_148 Depth=1
	s_mov_b64 s[8:9], 0
                                        ; implicit-def: $vgpr64
                                        ; implicit-def: $vgpr66
                                        ; implicit-def: $vgpr68
	s_cbranch_execz .LBB4_170
; %bb.169:                              ;   in Loop: Header=BB4_148 Depth=1
	global_load_dwordx2 v[63:64], v[14:15], off offset:-4
	v_add_co_u32_e32 v14, vcc, v112, v87
	v_addc_co_u32_e32 v15, vcc, 0, v113, vcc
	global_load_dwordx2 v[65:66], v[14:15], off offset:-4
	v_add_co_u32_e32 v14, vcc, v116, v87
	v_addc_co_u32_e32 v15, vcc, 0, v117, vcc
	global_load_dwordx2 v[67:68], v[14:15], off offset:-4
	s_or_b64 s[8:9], s[8:9], exec
.LBB4_170:                              ;   in Loop: Header=BB4_148 Depth=1
	v_mov_b32_e32 v69, 0
	v_mov_b32_e32 v70, 0
	s_and_saveexec_b64 s[14:15], s[8:9]
	s_cbranch_execz .LBB4_172
; %bb.171:                              ;   in Loop: Header=BB4_148 Depth=1
	v_add_co_u32_e32 v14, vcc, v120, v87
	v_addc_co_u32_e32 v15, vcc, 0, v121, vcc
	global_load_dwordx2 v[69:70], v[14:15], off offset:-4
.LBB4_172:                              ;   in Loop: Header=BB4_148 Depth=1
	s_or_b64 exec, exec, s[14:15]
	ds_read_b64 v[26:27], v129
	ds_read_b128 v[18:21], v127 offset:128
	ds_read_b128 v[14:17], v127 offset:144
	s_and_b64 vcc, exec, s[4:5]
	s_waitcnt vmcnt(0) lgkmcnt(2)
	v_mul_f32_e32 v28, v64, v27
	v_mul_f32_e32 v29, v64, v26
	;; [unrolled: 1-line block ×4, first 2 shown]
	v_fmac_f32_e32 v28, v63, v26
	v_fma_f32 v29, v63, v27, -v29
	v_fmac_f32_e32 v30, v65, v26
	v_fma_f32 v31, v65, v27, -v31
	ds_write2_b64 v130, v[28:29], v[30:31] offset1:67
	v_mul_f32_e32 v28, v68, v27
	v_mul_f32_e32 v30, v70, v27
	v_fmac_f32_e32 v28, v67, v26
	v_mul_f32_e32 v29, v68, v26
	v_fmac_f32_e32 v30, v69, v26
	v_mul_f32_e32 v26, v70, v26
	v_fma_f32 v29, v67, v27, -v29
	v_fma_f32 v31, v69, v27, -v26
	ds_write2_b64 v130, v[28:29], v[30:31] offset0:134 offset1:201
	s_waitcnt lgkmcnt(0)
	s_barrier
	ds_read2_b64 v[38:41], v91 offset1:1
	ds_read2_b64 v[34:37], v91 offset0:2 offset1:3
	v_add_co_u32_e64 v26, s[8:9], v122, v87
	v_addc_co_u32_e64 v27, s[8:9], 0, v123, s[8:9]
	s_waitcnt lgkmcnt(0)
	s_barrier
	s_cbranch_vccnz .LBB4_180
; %bb.173:                              ;   in Loop: Header=BB4_148 Depth=1
	v_cmp_gt_i32_e32 vcc, s20, v138
	v_mov_b32_e32 v73, 0
	v_mov_b32_e32 v71, 0
	;; [unrolled: 1-line block ×3, first 2 shown]
	s_and_saveexec_b64 s[8:9], vcc
	s_cbranch_execz .LBB4_175
; %bb.174:                              ;   in Loop: Header=BB4_148 Depth=1
	global_load_dwordx2 v[71:72], v[26:27], off offset:-4
.LBB4_175:                              ;   in Loop: Header=BB4_148 Depth=1
	s_or_b64 exec, exec, s[8:9]
	v_cmp_gt_i32_e32 vcc, s20, v139
	v_mov_b32_e32 v74, 0
	s_and_saveexec_b64 s[8:9], vcc
	s_cbranch_execz .LBB4_177
; %bb.176:                              ;   in Loop: Header=BB4_148 Depth=1
	v_add_co_u32_e32 v28, vcc, v118, v87
	v_addc_co_u32_e32 v29, vcc, 0, v119, vcc
	global_load_dwordx2 v[73:74], v[28:29], off
.LBB4_177:                              ;   in Loop: Header=BB4_148 Depth=1
	s_or_b64 exec, exec, s[8:9]
	v_cmp_gt_i32_e32 vcc, s20, v140
	v_mov_b32_e32 v75, 0
	v_mov_b32_e32 v76, 0
	s_and_saveexec_b64 s[8:9], vcc
	s_cbranch_execz .LBB4_179
; %bb.178:                              ;   in Loop: Header=BB4_148 Depth=1
	v_add_co_u32_e32 v28, vcc, v114, v87
	v_addc_co_u32_e32 v29, vcc, 0, v115, vcc
	global_load_dwordx2 v[75:76], v[28:29], off
.LBB4_179:                              ;   in Loop: Header=BB4_148 Depth=1
	s_or_b64 exec, exec, s[8:9]
	v_cmp_gt_i32_e64 s[8:9], s20, v141
	s_branch .LBB4_182
.LBB4_180:                              ;   in Loop: Header=BB4_148 Depth=1
	s_mov_b64 s[8:9], 0
                                        ; implicit-def: $vgpr72
                                        ; implicit-def: $vgpr74
                                        ; implicit-def: $vgpr76
	s_cbranch_execz .LBB4_182
; %bb.181:                              ;   in Loop: Header=BB4_148 Depth=1
	global_load_dwordx2 v[71:72], v[26:27], off offset:-4
	v_add_co_u32_e32 v26, vcc, v118, v87
	v_addc_co_u32_e32 v27, vcc, 0, v119, vcc
	global_load_dwordx2 v[73:74], v[26:27], off
	v_add_co_u32_e32 v26, vcc, v114, v87
	v_addc_co_u32_e32 v27, vcc, 0, v115, vcc
	global_load_dwordx2 v[75:76], v[26:27], off
	s_or_b64 s[8:9], s[8:9], exec
.LBB4_182:                              ;   in Loop: Header=BB4_148 Depth=1
	v_mov_b32_e32 v77, 0
	v_mov_b32_e32 v78, 0
	s_and_saveexec_b64 s[14:15], s[8:9]
	s_cbranch_execz .LBB4_184
; %bb.183:                              ;   in Loop: Header=BB4_148 Depth=1
	v_add_co_u32_e32 v26, vcc, v110, v87
	v_addc_co_u32_e32 v27, vcc, 0, v111, vcc
	global_load_dwordx2 v[77:78], v[26:27], off
.LBB4_184:                              ;   in Loop: Header=BB4_148 Depth=1
	s_or_b64 exec, exec, s[14:15]
	ds_read_b64 v[42:43], v129
	ds_read_b128 v[30:33], v127 offset:256
	ds_read_b128 v[26:29], v127 offset:272
	s_and_b64 vcc, exec, s[4:5]
	v_add_co_u32_e64 v85, s[4:5], v106, v87
	s_waitcnt vmcnt(0) lgkmcnt(2)
	v_mul_f32_e32 v44, v72, v43
	v_mul_f32_e32 v45, v72, v42
	;; [unrolled: 1-line block ×4, first 2 shown]
	v_fmac_f32_e32 v44, v71, v42
	v_fma_f32 v45, v71, v43, -v45
	v_fmac_f32_e32 v46, v73, v42
	v_fma_f32 v47, v73, v43, -v47
	ds_write2_b64 v130, v[44:45], v[46:47] offset1:67
	v_mul_f32_e32 v44, v76, v43
	v_mul_f32_e32 v46, v78, v43
	v_fmac_f32_e32 v44, v75, v42
	v_mul_f32_e32 v45, v76, v42
	v_fmac_f32_e32 v46, v77, v42
	v_mul_f32_e32 v42, v78, v42
	v_fma_f32 v45, v75, v43, -v45
	v_fma_f32 v47, v77, v43, -v42
	ds_write2_b64 v130, v[44:45], v[46:47] offset0:134 offset1:201
	s_waitcnt lgkmcnt(0)
	s_barrier
	ds_read2_b64 v[46:49], v91 offset1:1
	ds_read2_b64 v[42:45], v91 offset0:2 offset1:3
	v_addc_co_u32_e64 v86, s[4:5], 0, v107, s[4:5]
	s_waitcnt lgkmcnt(0)
	s_barrier
	s_cbranch_vccnz .LBB4_192
; %bb.185:                              ;   in Loop: Header=BB4_148 Depth=1
	v_cmp_gt_i32_e32 vcc, s20, v142
	v_mov_b32_e32 v81, 0
	v_mov_b32_e32 v79, 0
	;; [unrolled: 1-line block ×3, first 2 shown]
	s_and_saveexec_b64 s[4:5], vcc
	s_cbranch_execz .LBB4_187
; %bb.186:                              ;   in Loop: Header=BB4_148 Depth=1
	global_load_dwordx2 v[79:80], v[85:86], off
.LBB4_187:                              ;   in Loop: Header=BB4_148 Depth=1
	s_or_b64 exec, exec, s[4:5]
	v_cmp_gt_i32_e32 vcc, s20, v143
	v_mov_b32_e32 v82, 0
	s_and_saveexec_b64 s[4:5], vcc
	s_cbranch_execz .LBB4_189
; %bb.188:                              ;   in Loop: Header=BB4_148 Depth=1
	v_add_co_u32_e32 v81, vcc, v102, v87
	v_addc_co_u32_e32 v82, vcc, 0, v103, vcc
	global_load_dwordx2 v[81:82], v[81:82], off
.LBB4_189:                              ;   in Loop: Header=BB4_148 Depth=1
	s_or_b64 exec, exec, s[4:5]
	v_cmp_gt_i32_e32 vcc, s20, v144
	v_mov_b32_e32 v83, 0
	v_mov_b32_e32 v84, 0
	s_and_saveexec_b64 s[4:5], vcc
	s_cbranch_execz .LBB4_191
; %bb.190:                              ;   in Loop: Header=BB4_148 Depth=1
	v_add_co_u32_e32 v83, vcc, v98, v87
	v_addc_co_u32_e32 v84, vcc, 0, v99, vcc
	global_load_dwordx2 v[83:84], v[83:84], off
.LBB4_191:                              ;   in Loop: Header=BB4_148 Depth=1
	s_or_b64 exec, exec, s[4:5]
	v_cmp_gt_i32_e64 s[4:5], s20, v145
	s_branch .LBB4_194
.LBB4_192:                              ;   in Loop: Header=BB4_148 Depth=1
	s_mov_b64 s[4:5], 0
                                        ; implicit-def: $vgpr80
                                        ; implicit-def: $vgpr82
                                        ; implicit-def: $vgpr84
	s_cbranch_execz .LBB4_194
; %bb.193:                              ;   in Loop: Header=BB4_148 Depth=1
	s_waitcnt vmcnt(0)
	v_add_co_u32_e32 v81, vcc, v102, v87
	v_addc_co_u32_e32 v82, vcc, 0, v103, vcc
	v_add_co_u32_e32 v83, vcc, v98, v87
	v_addc_co_u32_e32 v84, vcc, 0, v99, vcc
	global_load_dwordx2 v[79:80], v[85:86], off
	s_or_b64 s[4:5], s[4:5], exec
	global_load_dwordx2 v[81:82], v[81:82], off
	s_nop 0
	global_load_dwordx2 v[83:84], v[83:84], off
.LBB4_194:                              ;   in Loop: Header=BB4_148 Depth=1
	v_mov_b32_e32 v85, 0
	v_mov_b32_e32 v86, 0
	s_and_saveexec_b64 s[8:9], s[4:5]
	s_cbranch_execz .LBB4_196
; %bb.195:                              ;   in Loop: Header=BB4_148 Depth=1
	v_add_co_u32_e32 v85, vcc, v94, v87
	v_addc_co_u32_e32 v86, vcc, 0, v95, vcc
	global_load_dwordx2 v[85:86], v[85:86], off
.LBB4_196:                              ;   in Loop: Header=BB4_148 Depth=1
	s_or_b64 exec, exec, s[8:9]
	v_add_f32_e32 v38, 0, v38
	v_add_f32_e32 v39, 0, v39
	;; [unrolled: 1-line block ×6, first 2 shown]
	ds_read_b64 v[38:39], v129
	v_add_f32_e32 v46, 0, v46
	v_add_f32_e32 v47, 0, v47
	;; [unrolled: 1-line block ×7, first 2 shown]
	s_waitcnt vmcnt(0) lgkmcnt(0)
	v_mul_f32_e32 v40, v80, v39
	v_mul_f32_e32 v41, v80, v38
	;; [unrolled: 1-line block ×4, first 2 shown]
	v_add_f32_e32 v23, 0, v23
	v_add_f32_e32 v22, v22, v24
	v_fmac_f32_e32 v40, v79, v38
	v_fma_f32 v41, v79, v39, -v41
	v_fmac_f32_e32 v46, v81, v38
	v_fma_f32 v47, v81, v39, -v47
	v_add_f32_e32 v42, v42, v44
	v_add_f32_e32 v43, v43, v45
	;; [unrolled: 1-line block ×6, first 2 shown]
	ds_read_b128 v[34:37], v127 offset:384
	ds_read_b128 v[22:25], v127 offset:400
	ds_write2_b64 v130, v[40:41], v[46:47] offset1:67
	v_mul_f32_e32 v40, v84, v39
	v_mul_f32_e32 v46, v86, v39
	v_fmac_f32_e32 v40, v83, v38
	v_mul_f32_e32 v41, v84, v38
	v_fmac_f32_e32 v46, v85, v38
	v_mul_f32_e32 v38, v86, v38
	v_fma_f32 v41, v83, v39, -v41
	v_fma_f32 v47, v85, v39, -v38
	ds_write2_b64 v130, v[40:41], v[46:47] offset0:134 offset1:201
	s_waitcnt lgkmcnt(0)
	s_barrier
	ds_read2_b64 v[38:41], v91 offset1:1
	v_add_f32_e32 v11, v48, v11
	v_add_f32_e32 v46, v10, v12
	;; [unrolled: 1-line block ×3, first 2 shown]
	ds_read2_b64 v[10:13], v91 offset0:2 offset1:3
	s_waitcnt lgkmcnt(1)
	v_add_f32_e32 v38, 0, v38
	v_add_f32_e32 v39, 0, v39
	v_cmp_gt_i32_e32 vcc, s20, v0
	v_add_f32_e32 v38, v38, v40
	v_add_f32_e32 v39, v39, v41
	s_or_b64 s[4:5], s[12:13], vcc
	s_waitcnt lgkmcnt(0)
	v_add_f32_e32 v10, v38, v10
	v_add_f32_e32 v11, v39, v11
	s_and_b64 s[8:9], s[2:3], s[4:5]
	v_add_f32_e32 v10, v10, v12
	v_add_f32_e32 v11, v11, v13
	s_barrier
	ds_write2_b64 v128, v[46:47], v[44:45] offset1:16
	ds_write2_b64 v128, v[42:43], v[10:11] offset0:32 offset1:48
	s_waitcnt lgkmcnt(0)
	s_barrier
	s_and_saveexec_b64 s[4:5], s[8:9]
	s_cbranch_execz .LBB4_198
; %bb.197:                              ;   in Loop: Header=BB4_148 Depth=1
	ds_read_b64 v[42:43], v124
	ds_read2_b64 v[10:13], v124 offset0:1 offset1:2
	ds_read2_b64 v[38:41], v124 offset0:3 offset1:4
	s_waitcnt lgkmcnt(1)
	v_add_f32_e32 v10, v10, v42
	v_add_f32_e32 v11, v11, v43
	;; [unrolled: 1-line block ×4, first 2 shown]
	ds_read2_b64 v[10:13], v124 offset0:5 offset1:6
	s_waitcnt lgkmcnt(1)
	v_add_f32_e32 v38, v42, v38
	v_add_f32_e32 v39, v43, v39
	;; [unrolled: 1-line block ×4, first 2 shown]
	s_waitcnt lgkmcnt(0)
	v_add_f32_e32 v10, v38, v10
	ds_read2_b64 v[38:41], v124 offset0:7 offset1:8
	v_add_f32_e32 v11, v42, v11
	v_add_f32_e32 v42, v10, v12
	;; [unrolled: 1-line block ×3, first 2 shown]
	ds_read2_b64 v[10:13], v124 offset0:9 offset1:10
	s_waitcnt lgkmcnt(1)
	v_add_f32_e32 v38, v42, v38
	v_add_f32_e32 v39, v43, v39
	;; [unrolled: 1-line block ×4, first 2 shown]
	s_waitcnt lgkmcnt(0)
	v_add_f32_e32 v10, v38, v10
	ds_read2_b64 v[38:41], v124 offset0:11 offset1:12
	v_add_f32_e32 v11, v42, v11
	v_add_f32_e32 v42, v10, v12
	;; [unrolled: 1-line block ×3, first 2 shown]
	ds_read2_b64 v[10:13], v124 offset0:13 offset1:14
	s_waitcnt lgkmcnt(1)
	v_add_f32_e32 v38, v42, v38
	v_add_f32_e32 v39, v43, v39
	;; [unrolled: 1-line block ×4, first 2 shown]
	ds_read_b64 v[38:39], v125
	s_waitcnt lgkmcnt(1)
	v_add_f32_e32 v10, v40, v10
	v_add_f32_e32 v11, v41, v11
	;; [unrolled: 1-line block ×3, first 2 shown]
	v_add_u32_e32 v12, s22, v0
	v_add_f32_e32 v11, v11, v13
	v_ashrrev_i32_e32 v13, 31, v12
	v_lshlrev_b64 v[12:13], 3, v[12:13]
	s_waitcnt lgkmcnt(0)
	v_add_f32_e32 v10, v10, v38
	v_mov_b32_e32 v38, s16
	v_add_co_u32_e32 v12, vcc, s7, v12
	v_add_f32_e32 v11, v11, v39
	v_addc_co_u32_e32 v13, vcc, v38, v13, vcc
	global_store_dwordx2 v[12:13], v[10:11], off
.LBB4_198:                              ;   in Loop: Header=BB4_148 Depth=1
	s_or_b64 exec, exec, s[4:5]
	v_mul_f32_e32 v10, v56, v7
	v_fma_f32 v10, v55, v6, -v10
	v_mul_f32_e32 v11, v58, v9
	v_mul_f32_e32 v7, v55, v7
	v_add_f32_e32 v10, v52, v10
	v_fma_f32 v11, v57, v8, -v11
	v_mul_f32_e32 v9, v57, v9
	v_add_f32_e32 v10, v10, v11
	v_mul_f32_e32 v11, v60, v3
	v_fmac_f32_e32 v7, v56, v6
	v_fma_f32 v11, v59, v2, -v11
	v_mul_f32_e32 v3, v59, v3
	v_add_f32_e32 v6, v53, v7
	v_fmac_f32_e32 v9, v58, v8
	v_add_f32_e32 v10, v10, v11
	v_mul_f32_e32 v11, v62, v5
	v_mul_f32_e32 v5, v61, v5
	v_add_f32_e32 v6, v6, v9
	v_fmac_f32_e32 v3, v60, v2
	v_fma_f32 v11, v61, v4, -v11
	v_add_f32_e32 v2, v6, v3
	v_fmac_f32_e32 v5, v62, v4
	v_mul_f32_e32 v3, v64, v19
	v_add_f32_e32 v10, v10, v11
	v_add_f32_e32 v2, v2, v5
	v_fma_f32 v3, v63, v18, -v3
	v_mul_f32_e32 v5, v66, v21
	v_add_f32_e32 v3, v10, v3
	v_fma_f32 v5, v65, v20, -v5
	v_mul_f32_e32 v4, v63, v19
	v_add_f32_e32 v3, v3, v5
	v_mul_f32_e32 v5, v68, v15
	v_mul_f32_e32 v6, v65, v21
	v_fma_f32 v5, v67, v14, -v5
	v_fmac_f32_e32 v4, v64, v18
	v_mul_f32_e32 v7, v67, v15
	v_add_f32_e32 v3, v3, v5
	v_mul_f32_e32 v5, v70, v17
	v_add_f32_e32 v2, v2, v4
	v_fmac_f32_e32 v6, v66, v20
	v_fma_f32 v5, v69, v16, -v5
	v_mul_f32_e32 v8, v69, v17
	v_add_f32_e32 v2, v2, v6
	v_fmac_f32_e32 v7, v68, v14
	v_add_f32_e32 v3, v3, v5
	v_add_f32_e32 v2, v2, v7
	v_fmac_f32_e32 v8, v70, v16
	v_mul_f32_e32 v5, v71, v31
	v_add_f32_e32 v2, v2, v8
	v_mul_f32_e32 v6, v73, v33
	v_fmac_f32_e32 v5, v72, v30
	v_mul_f32_e32 v7, v75, v27
	v_add_f32_e32 v2, v2, v5
	v_fmac_f32_e32 v6, v74, v32
	v_mul_f32_e32 v8, v77, v29
	v_add_f32_e32 v2, v2, v6
	v_fmac_f32_e32 v7, v76, v26
	v_add_f32_e32 v2, v2, v7
	v_fmac_f32_e32 v8, v78, v28
	v_mul_f32_e32 v5, v79, v35
	v_add_f32_e32 v2, v2, v8
	v_mul_f32_e32 v6, v81, v37
	v_fmac_f32_e32 v5, v80, v34
	v_mul_f32_e32 v7, v83, v23
	v_fmac_f32_e32 v6, v82, v36
	v_add_f32_e32 v2, v2, v5
	v_mul_f32_e32 v8, v85, v25
	v_fmac_f32_e32 v7, v84, v22
	v_add_f32_e32 v2, v2, v6
	v_fmac_f32_e32 v8, v86, v24
	v_add_f32_e32 v2, v2, v7
	v_add_f32_e32 v53, v2, v8
	v_mov_b32_e32 v2, s11
	v_add_co_u32_e32 v92, vcc, s10, v92
	v_addc_co_u32_e32 v93, vcc, v93, v2, vcc
	v_add_co_u32_e32 v94, vcc, s10, v94
	v_addc_co_u32_e32 v95, vcc, v95, v2, vcc
	;; [unrolled: 2-line block ×7, first 2 shown]
	v_add_co_u32_e32 v106, vcc, s10, v106
	v_mul_f32_e32 v4, v72, v31
	v_addc_co_u32_e32 v107, vcc, v107, v2, vcc
	v_fma_f32 v4, v71, v30, -v4
	v_add_co_u32_e32 v108, vcc, s10, v108
	v_add_f32_e32 v3, v3, v4
	v_mul_f32_e32 v4, v74, v33
	v_addc_co_u32_e32 v109, vcc, v109, v2, vcc
	v_fma_f32 v4, v73, v32, -v4
	v_add_co_u32_e32 v110, vcc, s10, v110
	v_add_f32_e32 v3, v3, v4
	;; [unrolled: 5-line block ×7, first 2 shown]
	v_mul_f32_e32 v4, v86, v25
	v_addc_co_u32_e32 v121, vcc, v121, v2, vcc
	v_fma_f32 v4, v85, v24, -v4
	s_add_i32 s4, s6, 1
	s_add_i32 s22, s22, 64
	;; [unrolled: 1-line block ×3, first 2 shown]
	v_add_co_u32_e32 v122, vcc, s10, v122
	v_add_f32_e32 v52, v3, v4
	s_cmp_ge_u32 s5, s33
	v_addc_co_u32_e32 v123, vcc, v123, v2, vcc
	s_waitcnt vmcnt(0)
	s_barrier
	s_cbranch_scc1 .LBB4_200
; %bb.199:                              ;   in Loop: Header=BB4_148 Depth=1
	s_mov_b32 s6, s4
	s_cmp_eq_u32 s17, s6
	s_cselect_b32 s20, s36, 0
	s_and_saveexec_b64 s[4:5], s[0:1]
	s_cbranch_execnz .LBB4_144
	s_branch .LBB4_148
.LBB4_200:
	s_movk_i32 s2, 0x218
	v_cmp_gt_i32_e32 vcc, s24, v0
	v_mad_u32_u24 v1, v1, s2, v87
	s_or_b64 s[2:3], s[18:19], vcc
	s_and_b64 s[0:1], s[0:1], s[2:3]
	ds_write_b64 v1, v[52:53]
	s_waitcnt lgkmcnt(0)
	s_barrier
	s_and_saveexec_b64 s[2:3], s[0:1]
	s_cbranch_execz .LBB4_202
; %bb.201:
	ds_read2_b64 v[0:3], v87 offset1:67
	ds_read2_b64 v[4:7], v87 offset0:134 offset1:201
	s_waitcnt lgkmcnt(1)
	v_add_f32_e32 v0, v2, v0
	v_add_f32_e32 v1, v3, v1
	v_lshlrev_b64 v[2:3], 3, v[50:51]
	s_waitcnt lgkmcnt(0)
	v_add_f32_e32 v0, v4, v0
	v_add_f32_e32 v1, v5, v1
	v_mov_b32_e32 v4, s16
	v_add_co_u32_e32 v2, vcc, s7, v2
	v_add_f32_e32 v0, v0, v6
	v_add_f32_e32 v1, v1, v7
	v_addc_co_u32_e32 v3, vcc, v4, v3, vcc
	global_store_dwordx2 v[2:3], v[0:1], off
.LBB4_202:
	s_endpgm
	.section	.rodata,"a",@progbits
	.p2align	6, 0x0
	.amdhsa_kernel _ZL26rocblas_hemvn_kernel_upperILb1ELi64ELi4ELi33ELi32ELi16El19rocblas_complex_numIfEPKS1_PS1_EviT6_lT7_lT5_lS6_lS7_lS5_lT8_i
		.amdhsa_group_segment_fixed_size 9600
		.amdhsa_private_segment_fixed_size 0
		.amdhsa_kernarg_size 376
		.amdhsa_user_sgpr_count 6
		.amdhsa_user_sgpr_private_segment_buffer 1
		.amdhsa_user_sgpr_dispatch_ptr 0
		.amdhsa_user_sgpr_queue_ptr 0
		.amdhsa_user_sgpr_kernarg_segment_ptr 1
		.amdhsa_user_sgpr_dispatch_id 0
		.amdhsa_user_sgpr_flat_scratch_init 0
		.amdhsa_user_sgpr_private_segment_size 0
		.amdhsa_uses_dynamic_stack 0
		.amdhsa_system_sgpr_private_segment_wavefront_offset 0
		.amdhsa_system_sgpr_workgroup_id_x 1
		.amdhsa_system_sgpr_workgroup_id_y 0
		.amdhsa_system_sgpr_workgroup_id_z 1
		.amdhsa_system_sgpr_workgroup_info 0
		.amdhsa_system_vgpr_workitem_id 1
		.amdhsa_next_free_vgpr 146
		.amdhsa_next_free_sgpr 93
		.amdhsa_reserve_vcc 1
		.amdhsa_reserve_flat_scratch 0
		.amdhsa_float_round_mode_32 0
		.amdhsa_float_round_mode_16_64 0
		.amdhsa_float_denorm_mode_32 3
		.amdhsa_float_denorm_mode_16_64 3
		.amdhsa_dx10_clamp 1
		.amdhsa_ieee_mode 1
		.amdhsa_fp16_overflow 0
		.amdhsa_exception_fp_ieee_invalid_op 0
		.amdhsa_exception_fp_denorm_src 0
		.amdhsa_exception_fp_ieee_div_zero 0
		.amdhsa_exception_fp_ieee_overflow 0
		.amdhsa_exception_fp_ieee_underflow 0
		.amdhsa_exception_fp_ieee_inexact 0
		.amdhsa_exception_int_div_zero 0
	.end_amdhsa_kernel
	.section	.text._ZL26rocblas_hemvn_kernel_upperILb1ELi64ELi4ELi33ELi32ELi16El19rocblas_complex_numIfEPKS1_PS1_EviT6_lT7_lT5_lS6_lS7_lS5_lT8_i,"axG",@progbits,_ZL26rocblas_hemvn_kernel_upperILb1ELi64ELi4ELi33ELi32ELi16El19rocblas_complex_numIfEPKS1_PS1_EviT6_lT7_lT5_lS6_lS7_lS5_lT8_i,comdat
.Lfunc_end4:
	.size	_ZL26rocblas_hemvn_kernel_upperILb1ELi64ELi4ELi33ELi32ELi16El19rocblas_complex_numIfEPKS1_PS1_EviT6_lT7_lT5_lS6_lS7_lS5_lT8_i, .Lfunc_end4-_ZL26rocblas_hemvn_kernel_upperILb1ELi64ELi4ELi33ELi32ELi16El19rocblas_complex_numIfEPKS1_PS1_EviT6_lT7_lT5_lS6_lS7_lS5_lT8_i
                                        ; -- End function
	.set _ZL26rocblas_hemvn_kernel_upperILb1ELi64ELi4ELi33ELi32ELi16El19rocblas_complex_numIfEPKS1_PS1_EviT6_lT7_lT5_lS6_lS7_lS5_lT8_i.num_vgpr, 146
	.set _ZL26rocblas_hemvn_kernel_upperILb1ELi64ELi4ELi33ELi32ELi16El19rocblas_complex_numIfEPKS1_PS1_EviT6_lT7_lT5_lS6_lS7_lS5_lT8_i.num_agpr, 0
	.set _ZL26rocblas_hemvn_kernel_upperILb1ELi64ELi4ELi33ELi32ELi16El19rocblas_complex_numIfEPKS1_PS1_EviT6_lT7_lT5_lS6_lS7_lS5_lT8_i.numbered_sgpr, 42
	.set _ZL26rocblas_hemvn_kernel_upperILb1ELi64ELi4ELi33ELi32ELi16El19rocblas_complex_numIfEPKS1_PS1_EviT6_lT7_lT5_lS6_lS7_lS5_lT8_i.num_named_barrier, 0
	.set _ZL26rocblas_hemvn_kernel_upperILb1ELi64ELi4ELi33ELi32ELi16El19rocblas_complex_numIfEPKS1_PS1_EviT6_lT7_lT5_lS6_lS7_lS5_lT8_i.private_seg_size, 0
	.set _ZL26rocblas_hemvn_kernel_upperILb1ELi64ELi4ELi33ELi32ELi16El19rocblas_complex_numIfEPKS1_PS1_EviT6_lT7_lT5_lS6_lS7_lS5_lT8_i.uses_vcc, 1
	.set _ZL26rocblas_hemvn_kernel_upperILb1ELi64ELi4ELi33ELi32ELi16El19rocblas_complex_numIfEPKS1_PS1_EviT6_lT7_lT5_lS6_lS7_lS5_lT8_i.uses_flat_scratch, 0
	.set _ZL26rocblas_hemvn_kernel_upperILb1ELi64ELi4ELi33ELi32ELi16El19rocblas_complex_numIfEPKS1_PS1_EviT6_lT7_lT5_lS6_lS7_lS5_lT8_i.has_dyn_sized_stack, 0
	.set _ZL26rocblas_hemvn_kernel_upperILb1ELi64ELi4ELi33ELi32ELi16El19rocblas_complex_numIfEPKS1_PS1_EviT6_lT7_lT5_lS6_lS7_lS5_lT8_i.has_recursion, 0
	.set _ZL26rocblas_hemvn_kernel_upperILb1ELi64ELi4ELi33ELi32ELi16El19rocblas_complex_numIfEPKS1_PS1_EviT6_lT7_lT5_lS6_lS7_lS5_lT8_i.has_indirect_call, 0
	.section	.AMDGPU.csdata,"",@progbits
; Kernel info:
; codeLenInByte = 9064
; TotalNumSgprs: 46
; NumVgprs: 146
; ScratchSize: 0
; MemoryBound: 1
; FloatMode: 240
; IeeeMode: 1
; LDSByteSize: 9600 bytes/workgroup (compile time only)
; SGPRBlocks: 12
; VGPRBlocks: 36
; NumSGPRsForWavesPerEU: 97
; NumVGPRsForWavesPerEU: 146
; Occupancy: 1
; WaveLimiterHint : 0
; COMPUTE_PGM_RSRC2:SCRATCH_EN: 0
; COMPUTE_PGM_RSRC2:USER_SGPR: 6
; COMPUTE_PGM_RSRC2:TRAP_HANDLER: 0
; COMPUTE_PGM_RSRC2:TGID_X_EN: 1
; COMPUTE_PGM_RSRC2:TGID_Y_EN: 0
; COMPUTE_PGM_RSRC2:TGID_Z_EN: 1
; COMPUTE_PGM_RSRC2:TIDIG_COMP_CNT: 1
	.section	.text._ZL36rocblas_hemvn_kernel_upper_block_sumILi64El19rocblas_complex_numIfEPS1_S1_EviT1_lS3_lT2_lT0_lPT3_i,"axG",@progbits,_ZL36rocblas_hemvn_kernel_upper_block_sumILi64El19rocblas_complex_numIfEPS1_S1_EviT1_lS3_lT2_lT0_lPT3_i,comdat
	.globl	_ZL36rocblas_hemvn_kernel_upper_block_sumILi64El19rocblas_complex_numIfEPS1_S1_EviT1_lS3_lT2_lT0_lPT3_i ; -- Begin function _ZL36rocblas_hemvn_kernel_upper_block_sumILi64El19rocblas_complex_numIfEPS1_S1_EviT1_lS3_lT2_lT0_lPT3_i
	.p2align	8
	.type	_ZL36rocblas_hemvn_kernel_upper_block_sumILi64El19rocblas_complex_numIfEPS1_S1_EviT1_lS3_lT2_lT0_lPT3_i,@function
_ZL36rocblas_hemvn_kernel_upper_block_sumILi64El19rocblas_complex_numIfEPS1_S1_EviT1_lS3_lT2_lT0_lPT3_i: ; @_ZL36rocblas_hemvn_kernel_upper_block_sumILi64El19rocblas_complex_numIfEPS1_S1_EviT1_lS3_lT2_lT0_lPT3_i
; %bb.0:
	s_load_dwordx4 s[16:19], s[4:5], 0x0
	s_load_dwordx2 s[2:3], s[4:5], 0x18
	s_waitcnt lgkmcnt(0)
	s_or_b32 s0, s17, s18
	s_and_b32 s8, s0, 0x7fffffff
	s_cmp_eq_u32 s8, 0
	s_cselect_b64 s[0:1], -1, 0
	s_cmp_lg_u32 s8, 0
	s_mov_b64 s[8:9], -1
	s_cbranch_scc1 .LBB5_2
; %bb.1:
	v_cmp_neq_f32_e64 s[8:9], s2, 1.0
	v_cmp_neq_f32_e64 s[10:11], s3, 0
	s_or_b64 s[8:9], s[8:9], s[10:11]
.LBB5_2:
	s_andn2_b64 vcc, exec, s[8:9]
	s_cbranch_vccnz .LBB5_19
; %bb.3:
	s_load_dwordx8 s[8:15], s[4:5], 0x30
	s_load_dwordx2 s[20:21], s[4:5], 0x28
	v_lshl_or_b32 v0, s6, 6, v0
	s_waitcnt lgkmcnt(0)
	s_mul_i32 s13, s13, s7
	s_mul_hi_u32 s19, s12, s7
	s_mul_i32 s12, s12, s7
	s_add_i32 s13, s19, s13
	s_lshl_b64 s[12:13], s[12:13], 3
	s_add_u32 s12, s20, s12
	s_addc_u32 s13, s21, s13
	s_lshl_b64 s[8:9], s[8:9], 3
	s_add_u32 s12, s12, s8
	s_addc_u32 s13, s13, s9
	s_mov_b64 s[8:9], -1
	s_andn2_b64 vcc, exec, s[0:1]
	v_cmp_gt_i32_e64 s[0:1], s16, v0
	s_cbranch_vccnz .LBB5_9
; %bb.4:
	s_and_saveexec_b64 s[8:9], s[0:1]
	s_cbranch_execz .LBB5_8
; %bb.5:
	v_ashrrev_i32_e32 v1, 31, v0
	v_mul_lo_u32 v4, s11, v0
	v_mul_lo_u32 v5, s10, v1
	v_mad_u64_u32 v[2:3], s[0:1], s10, v0, 0
	v_cmp_neq_f32_e64 s[0:1], s2, 0
	v_cmp_neq_f32_e64 s[20:21], s3, 0
	v_add3_u32 v3, v3, v5, v4
	s_or_b64 s[0:1], s[0:1], s[20:21]
	v_lshlrev_b64 v[3:4], 3, v[2:3]
	v_mov_b32_e32 v1, 0
	s_andn2_b64 vcc, exec, s[0:1]
	v_mov_b32_e32 v2, 0
	s_cbranch_vccnz .LBB5_7
; %bb.6:
	v_mov_b32_e32 v2, s13
	v_add_co_u32_e32 v1, vcc, s12, v3
	v_addc_co_u32_e32 v2, vcc, v2, v4, vcc
	global_load_dwordx2 v[5:6], v[1:2], off
	s_waitcnt vmcnt(0)
	v_mul_f32_e32 v1, s3, v6
	v_mul_f32_e32 v2, s2, v6
	v_fma_f32 v1, v5, s2, -v1
	v_fmac_f32_e32 v2, s3, v5
.LBB5_7:
	v_mov_b32_e32 v5, s13
	v_add_co_u32_e32 v3, vcc, s12, v3
	v_addc_co_u32_e32 v4, vcc, v5, v4, vcc
	global_store_dwordx2 v[3:4], v[1:2], off
.LBB5_8:
	s_or_b64 exec, exec, s[8:9]
	s_mov_b64 s[8:9], 0
.LBB5_9:
	s_andn2_b64 vcc, exec, s[8:9]
	s_cbranch_vccnz .LBB5_19
; %bb.10:
	v_cmp_gt_i32_e32 vcc, s16, v0
	s_and_saveexec_b64 s[0:1], vcc
	s_cbranch_execz .LBB5_19
; %bb.11:
	v_ashrrev_i32_e32 v1, 31, v0
	v_mov_b32_e32 v4, 0
	s_cmp_lt_i32 s6, 0
	v_mov_b32_e32 v5, 0
	s_cbranch_scc1 .LBB5_14
; %bb.12:
	s_load_dword s5, s[4:5], 0x58
	s_ashr_i32 s1, s16, 31
	s_add_i32 s4, s6, 1
	s_mul_hi_u32 s6, s16, s7
	s_mul_i32 s8, s1, s7
	s_add_i32 s6, s6, s8
	s_mul_i32 s8, s16, s7
	s_waitcnt lgkmcnt(0)
	s_mul_i32 s6, s6, s5
	s_mul_hi_u32 s7, s8, s5
	s_add_i32 s7, s7, s6
	s_mul_i32 s6, s8, s5
	s_lshl_b64 s[6:7], s[6:7], 3
	v_lshlrev_b64 v[2:3], 3, v[0:1]
	s_add_u32 s5, s14, s6
	s_addc_u32 s6, s15, s7
	v_mov_b32_e32 v4, s6
	v_add_co_u32_e32 v2, vcc, s5, v2
	s_mov_b32 s0, s16
	v_addc_co_u32_e32 v3, vcc, v4, v3, vcc
	v_add_co_u32_e32 v2, vcc, 4, v2
	s_lshl_b64 s[0:1], s[0:1], 3
	v_addc_co_u32_e32 v3, vcc, 0, v3, vcc
	v_mov_b32_e32 v4, 0
	v_mov_b32_e32 v6, s1
	v_mov_b32_e32 v5, 0
.LBB5_13:                               ; =>This Inner Loop Header: Depth=1
	global_load_dwordx2 v[7:8], v[2:3], off offset:-4
	s_add_i32 s4, s4, -1
	v_add_co_u32_e32 v2, vcc, s0, v2
	v_addc_co_u32_e32 v3, vcc, v3, v6, vcc
	s_cmp_eq_u32 s4, 0
	s_waitcnt vmcnt(0)
	v_add_f32_e32 v5, v5, v7
	v_add_f32_e32 v4, v4, v8
	s_cbranch_scc0 .LBB5_13
.LBB5_14:
	v_mul_lo_u32 v6, s11, v0
	v_mul_lo_u32 v7, s10, v1
	v_cmp_neq_f32_e64 s[0:1], s2, 0
	v_cmp_neq_f32_e64 s[4:5], s3, 0
	s_or_b64 s[0:1], s[0:1], s[4:5]
	v_mul_f32_e32 v3, s18, v4
	v_mul_f32_e32 v2, s17, v4
	s_andn2_b64 vcc, exec, s[0:1]
	v_fma_f32 v1, v5, s17, -v3
	v_fmac_f32_e32 v2, s18, v5
	s_cbranch_vccz .LBB5_16
; %bb.15:
	v_mad_u64_u32 v[3:4], s[0:1], s10, v0, 0
	v_add3_u32 v4, v4, v7, v6
	s_cbranch_execz .LBB5_17
	s_branch .LBB5_18
.LBB5_16:
                                        ; implicit-def: $vgpr3_vgpr4
.LBB5_17:
	v_mad_u64_u32 v[3:4], s[0:1], s10, v0, 0
	v_mov_b32_e32 v0, s13
	v_add3_u32 v4, v4, v7, v6
	v_lshlrev_b64 v[5:6], 3, v[3:4]
	v_add_co_u32_e32 v5, vcc, s12, v5
	v_addc_co_u32_e32 v6, vcc, v0, v6, vcc
	global_load_dwordx2 v[5:6], v[5:6], off
	s_waitcnt vmcnt(0)
	v_mul_f32_e32 v0, s3, v6
	v_mul_f32_e32 v6, s2, v6
	v_fma_f32 v0, v5, s2, -v0
	v_fmac_f32_e32 v6, s3, v5
	v_add_f32_e32 v1, v1, v0
	v_add_f32_e32 v2, v2, v6
.LBB5_18:
	v_lshlrev_b64 v[3:4], 3, v[3:4]
	v_mov_b32_e32 v0, s13
	v_add_co_u32_e32 v3, vcc, s12, v3
	v_addc_co_u32_e32 v4, vcc, v0, v4, vcc
	global_store_dwordx2 v[3:4], v[1:2], off
.LBB5_19:
	s_endpgm
	.section	.rodata,"a",@progbits
	.p2align	6, 0x0
	.amdhsa_kernel _ZL36rocblas_hemvn_kernel_upper_block_sumILi64El19rocblas_complex_numIfEPS1_S1_EviT1_lS3_lT2_lT0_lPT3_i
		.amdhsa_group_segment_fixed_size 0
		.amdhsa_private_segment_fixed_size 0
		.amdhsa_kernarg_size 344
		.amdhsa_user_sgpr_count 6
		.amdhsa_user_sgpr_private_segment_buffer 1
		.amdhsa_user_sgpr_dispatch_ptr 0
		.amdhsa_user_sgpr_queue_ptr 0
		.amdhsa_user_sgpr_kernarg_segment_ptr 1
		.amdhsa_user_sgpr_dispatch_id 0
		.amdhsa_user_sgpr_flat_scratch_init 0
		.amdhsa_user_sgpr_private_segment_size 0
		.amdhsa_uses_dynamic_stack 0
		.amdhsa_system_sgpr_private_segment_wavefront_offset 0
		.amdhsa_system_sgpr_workgroup_id_x 1
		.amdhsa_system_sgpr_workgroup_id_y 0
		.amdhsa_system_sgpr_workgroup_id_z 1
		.amdhsa_system_sgpr_workgroup_info 0
		.amdhsa_system_vgpr_workitem_id 0
		.amdhsa_next_free_vgpr 9
		.amdhsa_next_free_sgpr 22
		.amdhsa_reserve_vcc 1
		.amdhsa_reserve_flat_scratch 0
		.amdhsa_float_round_mode_32 0
		.amdhsa_float_round_mode_16_64 0
		.amdhsa_float_denorm_mode_32 3
		.amdhsa_float_denorm_mode_16_64 3
		.amdhsa_dx10_clamp 1
		.amdhsa_ieee_mode 1
		.amdhsa_fp16_overflow 0
		.amdhsa_exception_fp_ieee_invalid_op 0
		.amdhsa_exception_fp_denorm_src 0
		.amdhsa_exception_fp_ieee_div_zero 0
		.amdhsa_exception_fp_ieee_overflow 0
		.amdhsa_exception_fp_ieee_underflow 0
		.amdhsa_exception_fp_ieee_inexact 0
		.amdhsa_exception_int_div_zero 0
	.end_amdhsa_kernel
	.section	.text._ZL36rocblas_hemvn_kernel_upper_block_sumILi64El19rocblas_complex_numIfEPS1_S1_EviT1_lS3_lT2_lT0_lPT3_i,"axG",@progbits,_ZL36rocblas_hemvn_kernel_upper_block_sumILi64El19rocblas_complex_numIfEPS1_S1_EviT1_lS3_lT2_lT0_lPT3_i,comdat
.Lfunc_end5:
	.size	_ZL36rocblas_hemvn_kernel_upper_block_sumILi64El19rocblas_complex_numIfEPS1_S1_EviT1_lS3_lT2_lT0_lPT3_i, .Lfunc_end5-_ZL36rocblas_hemvn_kernel_upper_block_sumILi64El19rocblas_complex_numIfEPS1_S1_EviT1_lS3_lT2_lT0_lPT3_i
                                        ; -- End function
	.set _ZL36rocblas_hemvn_kernel_upper_block_sumILi64El19rocblas_complex_numIfEPS1_S1_EviT1_lS3_lT2_lT0_lPT3_i.num_vgpr, 9
	.set _ZL36rocblas_hemvn_kernel_upper_block_sumILi64El19rocblas_complex_numIfEPS1_S1_EviT1_lS3_lT2_lT0_lPT3_i.num_agpr, 0
	.set _ZL36rocblas_hemvn_kernel_upper_block_sumILi64El19rocblas_complex_numIfEPS1_S1_EviT1_lS3_lT2_lT0_lPT3_i.numbered_sgpr, 22
	.set _ZL36rocblas_hemvn_kernel_upper_block_sumILi64El19rocblas_complex_numIfEPS1_S1_EviT1_lS3_lT2_lT0_lPT3_i.num_named_barrier, 0
	.set _ZL36rocblas_hemvn_kernel_upper_block_sumILi64El19rocblas_complex_numIfEPS1_S1_EviT1_lS3_lT2_lT0_lPT3_i.private_seg_size, 0
	.set _ZL36rocblas_hemvn_kernel_upper_block_sumILi64El19rocblas_complex_numIfEPS1_S1_EviT1_lS3_lT2_lT0_lPT3_i.uses_vcc, 1
	.set _ZL36rocblas_hemvn_kernel_upper_block_sumILi64El19rocblas_complex_numIfEPS1_S1_EviT1_lS3_lT2_lT0_lPT3_i.uses_flat_scratch, 0
	.set _ZL36rocblas_hemvn_kernel_upper_block_sumILi64El19rocblas_complex_numIfEPS1_S1_EviT1_lS3_lT2_lT0_lPT3_i.has_dyn_sized_stack, 0
	.set _ZL36rocblas_hemvn_kernel_upper_block_sumILi64El19rocblas_complex_numIfEPS1_S1_EviT1_lS3_lT2_lT0_lPT3_i.has_recursion, 0
	.set _ZL36rocblas_hemvn_kernel_upper_block_sumILi64El19rocblas_complex_numIfEPS1_S1_EviT1_lS3_lT2_lT0_lPT3_i.has_indirect_call, 0
	.section	.AMDGPU.csdata,"",@progbits
; Kernel info:
; codeLenInByte = 716
; TotalNumSgprs: 26
; NumVgprs: 9
; ScratchSize: 0
; MemoryBound: 0
; FloatMode: 240
; IeeeMode: 1
; LDSByteSize: 0 bytes/workgroup (compile time only)
; SGPRBlocks: 3
; VGPRBlocks: 2
; NumSGPRsForWavesPerEU: 26
; NumVGPRsForWavesPerEU: 9
; Occupancy: 10
; WaveLimiterHint : 0
; COMPUTE_PGM_RSRC2:SCRATCH_EN: 0
; COMPUTE_PGM_RSRC2:USER_SGPR: 6
; COMPUTE_PGM_RSRC2:TRAP_HANDLER: 0
; COMPUTE_PGM_RSRC2:TGID_X_EN: 1
; COMPUTE_PGM_RSRC2:TGID_Y_EN: 0
; COMPUTE_PGM_RSRC2:TGID_Z_EN: 1
; COMPUTE_PGM_RSRC2:TIDIG_COMP_CNT: 0
	.section	.text._ZL26rocblas_hemvn_kernel_upperILb1ELi64ELi4ELi33ELi32ELi16Ei19rocblas_complex_numIfEPKS1_PS1_EviT6_lT7_lT5_lS6_lS7_lS5_lT8_i,"axG",@progbits,_ZL26rocblas_hemvn_kernel_upperILb1ELi64ELi4ELi33ELi32ELi16Ei19rocblas_complex_numIfEPKS1_PS1_EviT6_lT7_lT5_lS6_lS7_lS5_lT8_i,comdat
	.globl	_ZL26rocblas_hemvn_kernel_upperILb1ELi64ELi4ELi33ELi32ELi16Ei19rocblas_complex_numIfEPKS1_PS1_EviT6_lT7_lT5_lS6_lS7_lS5_lT8_i ; -- Begin function _ZL26rocblas_hemvn_kernel_upperILb1ELi64ELi4ELi33ELi32ELi16Ei19rocblas_complex_numIfEPKS1_PS1_EviT6_lT7_lT5_lS6_lS7_lS5_lT8_i
	.p2align	8
	.type	_ZL26rocblas_hemvn_kernel_upperILb1ELi64ELi4ELi33ELi32ELi16Ei19rocblas_complex_numIfEPKS1_PS1_EviT6_lT7_lT5_lS6_lS7_lS5_lT8_i,@function
_ZL26rocblas_hemvn_kernel_upperILb1ELi64ELi4ELi33ELi32ELi16Ei19rocblas_complex_numIfEPKS1_PS1_EviT6_lT7_lT5_lS6_lS7_lS5_lT8_i: ; @_ZL26rocblas_hemvn_kernel_upperILb1ELi64ELi4ELi33ELi32ELi16Ei19rocblas_complex_numIfEPKS1_PS1_EviT6_lT7_lT5_lS6_lS7_lS5_lT8_i
; %bb.0:
	s_load_dwordx2 s[2:3], s[4:5], 0x84
	s_add_u32 s0, s4, 0x78
	s_addc_u32 s1, s5, 0
	s_waitcnt lgkmcnt(0)
	s_lshr_b32 s8, s2, 16
	s_and_b32 s2, s2, 0xffff
	s_and_b32 s3, s3, 0xffff
	s_mul_i32 s2, s8, s2
	s_mul_i32 s2, s2, s3
	s_cmpk_lg_i32 s2, 0x100
	s_cbranch_scc1 .LBB6_202
; %bb.1:
	s_load_dwordx2 s[2:3], s[4:5], 0x4
	s_mov_b64 s[8:9], -1
	s_waitcnt lgkmcnt(0)
	s_or_b32 s2, s2, s3
	s_bitset0_b32 s2, 31
	s_cmp_lg_u32 s2, 0
	s_cselect_b64 s[2:3], -1, 0
	s_and_b64 vcc, exec, s[2:3]
	s_cbranch_vccnz .LBB6_3
; %bb.2:
	s_load_dwordx2 s[8:9], s[4:5], 0x58
	s_waitcnt lgkmcnt(0)
	v_cmp_neq_f32_e64 s[10:11], s8, 1.0
	v_cmp_neq_f32_e64 s[8:9], s9, 0
	s_or_b64 s[8:9], s[10:11], s[8:9]
.LBB6_3:
	s_andn2_b64 vcc, exec, s[8:9]
	s_cbranch_vccnz .LBB6_202
; %bb.4:
	s_andn2_b64 vcc, exec, s[2:3]
	s_cbranch_vccnz .LBB6_202
; %bb.5:
	s_load_dwordx2 s[2:3], s[4:5], 0x40
	s_load_dwordx2 s[12:13], s[4:5], 0x50
	s_load_dword s39, s[4:5], 0x48
	s_load_dword s33, s[0:1], 0x0
	;; [unrolled: 1-line block ×3, first 2 shown]
	s_load_dwordx4 s[8:11], s[4:5], 0x30
	s_waitcnt lgkmcnt(0)
	s_mul_i32 s0, s13, s7
	s_mul_hi_u32 s1, s12, s7
	s_add_i32 s1, s1, s0
	s_mul_i32 s0, s12, s7
	s_lshl_b64 s[0:1], s[0:1], 3
	s_add_u32 s10, s10, s0
	s_addc_u32 s11, s11, s1
	s_lshl_b64 s[0:1], s[2:3], 3
	s_add_u32 s0, s10, s0
	s_addc_u32 s1, s11, s1
	s_lshl_b32 s24, s6, 6
	v_add_u32_e32 v50, s24, v0
	v_mul_lo_u32 v2, s39, v50
	s_ashr_i32 s41, s40, 31
	s_lshr_b32 s3, s41, 26
	s_add_i32 s3, s40, s3
	v_ashrrev_i32_e32 v3, 31, v2
	s_andn2_b32 s3, s3, 63
	v_lshlrev_b64 v[2:3], 3, v[2:3]
	s_add_i32 s2, s33, -1
	s_sub_i32 s38, s40, s3
	s_cmp_eq_u32 s6, s2
	v_mov_b32_e32 v4, s1
	v_add_co_u32_e32 v16, vcc, s0, v2
	s_cselect_b32 s18, s38, 0
	v_addc_co_u32_e32 v17, vcc, v4, v3, vcc
	v_cmp_eq_u32_e64 s[0:1], 0, v1
	s_and_saveexec_b64 s[2:3], s[0:1]
	s_cbranch_execz .LBB6_10
; %bb.6:
	s_cmp_lg_u32 s18, 0
	s_cselect_b64 s[10:11], -1, 0
	v_cmp_le_i32_e32 vcc, s18, v0
	v_mov_b32_e32 v2, 0x2380
	s_and_b64 s[10:11], s[10:11], vcc
	v_lshl_add_u32 v2, v0, 3, v2
	s_and_saveexec_b64 s[12:13], s[10:11]
	s_xor_b64 s[10:11], exec, s[12:13]
; %bb.7:
	v_mov_b32_e32 v3, 0
	v_mov_b32_e32 v4, v3
	ds_write_b64 v2, v[3:4]
                                        ; implicit-def: $vgpr2
; %bb.8:
	s_andn2_saveexec_b64 s[10:11], s[10:11]
	s_cbranch_execz .LBB6_10
; %bb.9:
	global_load_dwordx2 v[3:4], v[16:17], off
	s_waitcnt vmcnt(0)
	ds_write_b64 v2, v[3:4]
.LBB6_10:
	s_or_b64 exec, exec, s[2:3]
	s_load_dwordx4 s[12:15], s[4:5], 0x18
	s_load_dword s22, s[4:5], 0x28
	s_mul_i32 s2, s9, s7
	s_mul_hi_u32 s3, s8, s7
	s_add_i32 s3, s3, s2
	s_mul_i32 s2, s8, s7
	s_lshl_b64 s[2:3], s[2:3], 3
	s_waitcnt lgkmcnt(0)
	s_add_u32 s8, s12, s2
	v_lshl_add_u32 v24, v1, 6, v0
	s_addc_u32 s9, s13, s3
	s_lshl_b64 s[2:3], s[14:15], 3
	v_and_b32_e32 v2, 31, v0
	v_lshrrev_b32_e32 v9, 5, v24
	s_add_u32 s8, s8, s2
	s_addc_u32 s9, s9, s3
	v_mad_u64_u32 v[3:4], s[2:3], s22, v9, v[2:3]
	s_ashr_i32 s25, s24, 31
	s_lshl_b64 s[2:3], s[24:25], 3
	v_ashrrev_i32_e32 v4, 31, v3
	v_lshlrev_b64 v[14:15], 3, v[3:4]
	s_add_u32 s2, s8, s2
	s_addc_u32 s3, s9, s3
	v_add_co_u32_e32 v4, vcc, s2, v14
	s_mul_i32 s2, s22, s24
	v_mov_b32_e32 v3, s3
	s_ashr_i32 s3, s2, 31
	s_lshl_b64 s[2:3], s[2:3], 3
	v_addc_co_u32_e32 v3, vcc, v3, v15, vcc
	s_cmp_eq_u32 s18, 0
	v_mov_b32_e32 v6, s3
	v_add_co_u32_e32 v5, vcc, s2, v4
	s_cselect_b64 s[20:21], -1, 0
	s_cmp_lg_u32 s18, 0
	v_addc_co_u32_e32 v6, vcc, v3, v6, vcc
	s_cselect_b64 s[28:29], -1, 0
	s_and_b64 vcc, exec, s[28:29]
	v_cmp_gt_i32_e64 s[2:3], s18, v2
	v_lshlrev_b32_e32 v10, 3, v2
	s_cbranch_vccz .LBB6_28
; %bb.11:
	v_sub_co_u32_e32 v3, vcc, v5, v10
	s_ashr_i32 s19, s18, 31
	v_subbrev_co_u32_e32 v4, vcc, 0, v6, vcc
	s_lshl_b64 s[8:9], s[18:19], 3
	v_mov_b32_e32 v7, s9
	v_add_co_u32_e32 v3, vcc, s8, v3
	v_addc_co_u32_e32 v4, vcc, v4, v7, vcc
	v_add_co_u32_e32 v3, vcc, -8, v3
	v_addc_co_u32_e32 v4, vcc, -1, v4, vcc
	v_mul_u32_u24_e32 v7, 0x108, v9
	v_cndmask_b32_e64 v4, v4, v6, s[2:3]
	v_cndmask_b32_e64 v3, v3, v5, s[2:3]
	v_cmp_le_i32_e32 vcc, s18, v9
	v_add_u32_e32 v7, v10, v7
	s_and_saveexec_b64 s[10:11], vcc
	s_xor_b64 s[10:11], exec, s[10:11]
; %bb.12:
	v_mov_b32_e32 v11, 0
	v_mov_b32_e32 v12, v11
	ds_write_b64 v7, v[11:12]
; %bb.13:
	s_andn2_saveexec_b64 s[10:11], s[10:11]
	s_cbranch_execz .LBB6_15
; %bb.14:
	global_load_dwordx2 v[11:12], v[3:4], off
	s_waitcnt vmcnt(0)
	ds_write_b64 v7, v[11:12]
.LBB6_15:
	s_or_b64 exec, exec, s[10:11]
	v_add_u32_e32 v8, 8, v9
	v_cmp_le_i32_e32 vcc, s18, v8
	s_and_saveexec_b64 s[10:11], vcc
	s_xor_b64 s[10:11], exec, s[10:11]
; %bb.16:
	v_mov_b32_e32 v11, 0
	v_mov_b32_e32 v12, v11
	ds_write_b64 v7, v[11:12] offset:2112
; %bb.17:
	s_andn2_saveexec_b64 s[10:11], s[10:11]
	s_cbranch_execz .LBB6_19
; %bb.18:
	s_lshl_b32 s12, s22, 3
	s_ashr_i32 s13, s12, 31
	s_lshl_b64 s[12:13], s[12:13], 3
	v_mov_b32_e32 v8, s13
	v_add_co_u32_e32 v11, vcc, s12, v3
	v_addc_co_u32_e32 v12, vcc, v4, v8, vcc
	global_load_dwordx2 v[11:12], v[11:12], off
	s_waitcnt vmcnt(0)
	ds_write_b64 v7, v[11:12] offset:2112
.LBB6_19:
	s_or_b64 exec, exec, s[10:11]
	v_add_u32_e32 v8, 16, v9
	v_cmp_le_i32_e32 vcc, s18, v8
	s_and_saveexec_b64 s[10:11], vcc
	s_xor_b64 s[10:11], exec, s[10:11]
; %bb.20:
	v_mov_b32_e32 v11, 0
	v_mov_b32_e32 v12, v11
	ds_write_b64 v7, v[11:12] offset:4224
; %bb.21:
	s_andn2_saveexec_b64 s[10:11], s[10:11]
	s_cbranch_execz .LBB6_23
; %bb.22:
	s_lshl_b32 s12, s22, 4
	s_ashr_i32 s13, s12, 31
	s_lshl_b64 s[12:13], s[12:13], 3
	v_mov_b32_e32 v8, s13
	v_add_co_u32_e32 v11, vcc, s12, v3
	v_addc_co_u32_e32 v12, vcc, v4, v8, vcc
	global_load_dwordx2 v[11:12], v[11:12], off
	s_waitcnt vmcnt(0)
	ds_write_b64 v7, v[11:12] offset:4224
.LBB6_23:
	s_or_b64 exec, exec, s[10:11]
	v_add_u32_e32 v8, 24, v9
	v_cmp_le_i32_e32 vcc, s18, v8
	s_and_saveexec_b64 s[10:11], vcc
	s_xor_b64 s[10:11], exec, s[10:11]
; %bb.24:
	v_mov_b32_e32 v11, 0
	v_mov_b32_e32 v12, v11
	ds_write_b64 v7, v[11:12] offset:6336
                                        ; implicit-def: $vgpr7
; %bb.25:
	s_andn2_saveexec_b64 s[10:11], s[10:11]
	s_cbranch_execz .LBB6_27
; %bb.26:
	s_mul_i32 s12, s22, 24
	s_ashr_i32 s13, s12, 31
	s_lshl_b64 s[12:13], s[12:13], 3
	v_mov_b32_e32 v8, s13
	v_add_co_u32_e32 v11, vcc, s12, v3
	v_addc_co_u32_e32 v12, vcc, v4, v8, vcc
	global_load_dwordx2 v[11:12], v[11:12], off
	s_waitcnt vmcnt(0)
	ds_write_b64 v7, v[11:12] offset:6336
.LBB6_27:
	s_or_b64 exec, exec, s[10:11]
	v_add_co_u32_e32 v3, vcc, v3, v10
	v_addc_co_u32_e32 v4, vcc, 0, v4, vcc
	v_mov_b32_e32 v7, s9
	v_subrev_co_u32_e32 v3, vcc, s8, v3
	v_subb_co_u32_e32 v4, vcc, v4, v7, vcc
	v_add_co_u32_e32 v3, vcc, 8, v3
	v_addc_co_u32_e32 v4, vcc, 0, v4, vcc
	v_cndmask_b32_e64 v4, v4, v6, s[2:3]
	v_cndmask_b32_e64 v3, v3, v5, s[2:3]
	s_branch .LBB6_30
.LBB6_28:
                                        ; implicit-def: $vgpr3_vgpr4
	s_cbranch_execz .LBB6_30
; %bb.29:
	s_lshl_b32 s2, s22, 3
	s_ashr_i32 s3, s2, 31
	s_lshl_b64 s[2:3], s[2:3], 3
	v_mov_b32_e32 v4, s3
	v_add_co_u32_e32 v3, vcc, s2, v5
	s_ashr_i32 s23, s22, 31
	v_addc_co_u32_e32 v4, vcc, v6, v4, vcc
	s_lshl_b64 s[2:3], s[22:23], 6
	v_mov_b32_e32 v12, s3
	v_add_co_u32_e32 v7, vcc, s2, v3
	v_addc_co_u32_e32 v8, vcc, v4, v12, vcc
	v_add_co_u32_e32 v11, vcc, s2, v7
	v_addc_co_u32_e32 v12, vcc, v8, v12, vcc
	global_load_dwordx2 v[18:19], v[5:6], off
	global_load_dwordx2 v[20:21], v[3:4], off
	;; [unrolled: 1-line block ×4, first 2 shown]
	v_mul_u32_u24_e32 v3, 0x108, v9
	v_lshl_add_u32 v3, v2, 3, v3
	s_waitcnt vmcnt(3)
	ds_write_b64 v3, v[18:19]
	s_waitcnt vmcnt(2)
	ds_write_b64 v3, v[20:21] offset:2112
	s_waitcnt vmcnt(1)
	ds_write_b64 v3, v[22:23] offset:4224
	;; [unrolled: 2-line block ×3, first 2 shown]
	v_mov_b32_e32 v3, v5
	v_mov_b32_e32 v4, v6
.LBB6_30:
	v_lshlrev_b32_e32 v12, 2, v9
	v_mul_u32_u24_e32 v11, 0x108, v2
	v_cmp_le_u32_e64 s[16:17], v12, v2
	s_mov_b64 s[2:3], 0
	s_waitcnt lgkmcnt(0)
	s_barrier
                                        ; implicit-def: $vgpr6
	s_and_saveexec_b64 s[8:9], s[16:17]
	s_xor_b64 s[8:9], exec, s[8:9]
	s_cbranch_execz .LBB6_34
; %bb.31:
	v_cmp_eq_u32_e32 vcc, v12, v2
                                        ; implicit-def: $vgpr6
	s_and_saveexec_b64 s[10:11], vcc
	s_xor_b64 s[10:11], exec, s[10:11]
; %bb.32:
	s_mov_b64 s[2:3], exec
	v_add_u32_e32 v6, v10, v11
; %bb.33:
	s_or_b64 exec, exec, s[10:11]
	s_and_b64 s[2:3], s[2:3], exec
.LBB6_34:
	s_or_saveexec_b64 s[8:9], s[8:9]
	v_lshl_or_b32 v5, v2, 8, v10
	v_mov_b32_e32 v7, 0
	v_lshl_add_u32 v5, v12, 3, v5
	s_xor_b64 exec, exec, s[8:9]
	s_cbranch_execz .LBB6_36
; %bb.35:
	s_movk_i32 s10, 0x420
	v_mad_u32_u24 v6, v9, s10, v10
	ds_read_b64 v[6:7], v6
	s_or_b64 s[2:3], s[2:3], exec
	s_waitcnt lgkmcnt(0)
	v_xor_b32_e32 v7, 0x80000000, v7
	ds_write_b32 v5, v6
	v_mov_b32_e32 v6, v5
.LBB6_36:
	s_or_b64 exec, exec, s[8:9]
	s_and_saveexec_b64 s[8:9], s[2:3]
; %bb.37:
	ds_write_b32 v6, v7 offset:4
; %bb.38:
	s_or_b64 exec, exec, s[8:9]
	v_or_b32_e32 v13, 1, v12
	v_cmp_ge_u32_e64 s[8:9], v12, v2
	s_mov_b64 s[2:3], 0
                                        ; implicit-def: $vgpr7
                                        ; implicit-def: $vgpr6
	s_and_saveexec_b64 s[10:11], s[8:9]
	s_xor_b64 s[10:11], exec, s[10:11]
	s_cbranch_execnz .LBB6_70
; %bb.39:
	s_andn2_saveexec_b64 s[10:11], s[10:11]
	s_cbranch_execnz .LBB6_71
.LBB6_40:
	s_or_b64 exec, exec, s[10:11]
	s_and_saveexec_b64 s[10:11], s[2:3]
.LBB6_41:
	ds_write_b32 v6, v7 offset:4
.LBB6_42:
	s_or_b64 exec, exec, s[10:11]
	v_or_b32_e32 v18, 2, v12
	v_cmp_le_u32_e64 s[10:11], v18, v2
	s_mov_b64 s[2:3], 0
                                        ; implicit-def: $vgpr6
	s_and_saveexec_b64 s[12:13], s[10:11]
	s_xor_b64 s[12:13], exec, s[12:13]
	s_cbranch_execnz .LBB6_74
; %bb.43:
	s_or_saveexec_b64 s[12:13], s[12:13]
	v_mov_b32_e32 v7, 0
	s_xor_b64 exec, exec, s[12:13]
	s_cbranch_execnz .LBB6_77
.LBB6_44:
	s_or_b64 exec, exec, s[12:13]
	s_and_saveexec_b64 s[12:13], s[2:3]
.LBB6_45:
	ds_write_b32 v6, v7 offset:4
.LBB6_46:
	s_or_b64 exec, exec, s[12:13]
	v_or_b32_e32 v19, 3, v12
	v_cmp_le_u32_e64 s[12:13], v19, v2
	s_mov_b64 s[2:3], 0
                                        ; implicit-def: $vgpr6
	s_and_saveexec_b64 s[14:15], s[12:13]
	s_xor_b64 s[14:15], exec, s[14:15]
	s_cbranch_execnz .LBB6_78
; %bb.47:
	s_or_saveexec_b64 s[14:15], s[14:15]
	v_mov_b32_e32 v7, 0
	s_xor_b64 exec, exec, s[14:15]
	s_cbranch_execnz .LBB6_81
.LBB6_48:
	s_or_b64 exec, exec, s[14:15]
	s_and_saveexec_b64 s[14:15], s[2:3]
.LBB6_49:
	ds_write_b32 v6, v7 offset:4
.LBB6_50:
	s_or_b64 exec, exec, s[14:15]
	s_movk_i32 s2, 0x420
	v_mad_u32_u24 v5, v9, s2, v10
	s_waitcnt lgkmcnt(0)
	s_barrier
	v_lshlrev_b32_e32 v22, 3, v12
	ds_read_b64 v[20:21], v5
	ds_read_b128 v[5:8], v22 offset:9088
	ds_read_b128 v[25:28], v22 offset:9104
	s_movk_i32 s2, 0x108
	v_mov_b32_e32 v51, 0
	v_mov_b32_e32 v52, 0
	s_waitcnt lgkmcnt(1)
	v_mul_f32_e32 v23, v6, v21
	v_fma_f32 v23, v5, v20, -v23
	v_mul_f32_e32 v5, v5, v21
	v_mad_u32_u24 v21, v13, s2, v10
	ds_read2_b64 v[29:32], v21 offset1:33
	v_fmac_f32_e32 v5, v6, v20
	v_add_f32_e32 v6, 0, v23
	v_add_f32_e32 v5, 0, v5
	v_cmp_gt_u32_e64 s[2:3], 32, v24
	s_waitcnt lgkmcnt(0)
	v_mul_f32_e32 v20, v8, v30
	v_fma_f32 v20, v7, v29, -v20
	v_mul_f32_e32 v7, v7, v30
	v_fmac_f32_e32 v7, v8, v29
	v_add_f32_e32 v8, v6, v20
	v_add_f32_e32 v7, v5, v7
	ds_read_b64 v[5:6], v21 offset:528
	v_mul_f32_e32 v20, v26, v32
	v_fma_f32 v20, v25, v31, -v20
	v_mul_f32_e32 v21, v25, v32
	v_fmac_f32_e32 v21, v26, v31
	v_add_f32_e32 v8, v8, v20
	s_waitcnt lgkmcnt(0)
	v_mul_f32_e32 v20, v28, v6
	v_mul_f32_e32 v6, v27, v6
	v_add_f32_e32 v7, v7, v21
	v_fmac_f32_e32 v6, v28, v5
	v_add_f32_e32 v6, v7, v6
	v_mul_u32_u24_e32 v7, 33, v2
	v_fma_f32 v20, v27, v5, -v20
	v_lshlrev_b32_e32 v25, 3, v7
	v_add_f32_e32 v5, v8, v20
	v_lshl_add_u32 v26, v9, 3, v25
	s_barrier
	ds_write_b64 v26, v[5:6]
	s_waitcnt lgkmcnt(0)
	s_barrier
	s_and_saveexec_b64 s[14:15], s[2:3]
	s_cbranch_execz .LBB6_52
; %bb.51:
	ds_read2_b64 v[5:8], v25 offset1:7
	ds_read2_b64 v[27:30], v25 offset0:1 offset1:2
	ds_read2_b64 v[31:34], v25 offset0:3 offset1:4
	s_waitcnt lgkmcnt(1)
	v_add_f32_e32 v5, v27, v5
	v_add_f32_e32 v6, v28, v6
	;; [unrolled: 1-line block ×4, first 2 shown]
	ds_read2_b64 v[27:30], v25 offset0:5 offset1:6
	s_waitcnt lgkmcnt(1)
	v_add_f32_e32 v5, v5, v31
	v_add_f32_e32 v6, v6, v32
	v_add_f32_e32 v5, v5, v33
	v_add_f32_e32 v6, v6, v34
	s_waitcnt lgkmcnt(0)
	v_add_f32_e32 v5, v5, v27
	v_add_f32_e32 v6, v6, v28
	;; [unrolled: 1-line block ×6, first 2 shown]
.LBB6_52:
	s_or_b64 exec, exec, s[14:15]
	s_lshl_b32 s30, s22, 5
	s_ashr_i32 s31, s30, 31
	s_lshl_b64 s[26:27], s[30:31], 3
	v_mov_b32_e32 v5, s27
	v_add_co_u32_e32 v7, vcc, s26, v3
	v_addc_co_u32_e32 v8, vcc, v4, v5, vcc
	v_add_co_u32_e32 v5, vcc, 0x100, v7
	v_addc_co_u32_e32 v6, vcc, 0, v8, vcc
	s_and_b64 vcc, exec, s[28:29]
	s_barrier
	s_cbranch_vccz .LBB6_82
; %bb.53:
	v_sub_co_u32_e32 v4, vcc, v7, v10
	s_ashr_i32 s19, s18, 31
	v_subbrev_co_u32_e32 v20, vcc, 0, v8, vcc
	s_lshl_b64 s[34:35], s[18:19], 3
	v_mov_b32_e32 v21, s35
	v_add_co_u32_e32 v4, vcc, s34, v4
	v_addc_co_u32_e32 v20, vcc, v20, v21, vcc
	v_or_b32_e32 v3, 32, v2
	v_add_co_u32_e32 v21, vcc, -8, v4
	v_addc_co_u32_e32 v4, vcc, -1, v20, vcc
	v_cmp_gt_i32_e64 s[14:15], s18, v3
	s_sub_i32 s19, s18, 32
	v_mul_u32_u24_e32 v20, 0x108, v9
	v_cndmask_b32_e64 v4, v4, v6, s[14:15]
	v_cndmask_b32_e64 v3, v21, v5, s[14:15]
	v_cmp_le_i32_e32 vcc, s19, v9
	v_add_u32_e32 v20, v10, v20
	s_and_saveexec_b64 s[36:37], vcc
	s_xor_b64 s[36:37], exec, s[36:37]
; %bb.54:
	v_mov_b32_e32 v27, 0
	v_mov_b32_e32 v28, v27
	ds_write_b64 v20, v[27:28]
; %bb.55:
	s_andn2_saveexec_b64 s[36:37], s[36:37]
	s_cbranch_execz .LBB6_57
; %bb.56:
	global_load_dwordx2 v[27:28], v[3:4], off
	s_waitcnt vmcnt(0)
	ds_write_b64 v20, v[27:28]
.LBB6_57:
	s_or_b64 exec, exec, s[36:37]
	v_add_u32_e32 v21, 8, v9
	v_cmp_le_i32_e32 vcc, s19, v21
	s_and_saveexec_b64 s[36:37], vcc
	s_xor_b64 s[36:37], exec, s[36:37]
; %bb.58:
	v_mov_b32_e32 v27, 0
	v_mov_b32_e32 v28, v27
	ds_write_b64 v20, v[27:28] offset:2112
; %bb.59:
	s_andn2_saveexec_b64 s[36:37], s[36:37]
	s_cbranch_execz .LBB6_61
; %bb.60:
	s_lshl_b32 s42, s22, 3
	s_ashr_i32 s43, s42, 31
	s_lshl_b64 s[42:43], s[42:43], 3
	v_mov_b32_e32 v21, s43
	v_add_co_u32_e32 v27, vcc, s42, v3
	v_addc_co_u32_e32 v28, vcc, v4, v21, vcc
	global_load_dwordx2 v[27:28], v[27:28], off
	s_waitcnt vmcnt(0)
	ds_write_b64 v20, v[27:28] offset:2112
.LBB6_61:
	s_or_b64 exec, exec, s[36:37]
	v_add_u32_e32 v21, 16, v9
	v_cmp_le_i32_e32 vcc, s19, v21
	s_and_saveexec_b64 s[36:37], vcc
	s_xor_b64 s[36:37], exec, s[36:37]
; %bb.62:
	v_mov_b32_e32 v27, 0
	v_mov_b32_e32 v28, v27
	ds_write_b64 v20, v[27:28] offset:4224
; %bb.63:
	s_andn2_saveexec_b64 s[36:37], s[36:37]
	s_cbranch_execz .LBB6_65
; %bb.64:
	s_lshl_b32 s42, s22, 4
	s_ashr_i32 s43, s42, 31
	s_lshl_b64 s[42:43], s[42:43], 3
	v_mov_b32_e32 v21, s43
	v_add_co_u32_e32 v27, vcc, s42, v3
	v_addc_co_u32_e32 v28, vcc, v4, v21, vcc
	global_load_dwordx2 v[27:28], v[27:28], off
	s_waitcnt vmcnt(0)
	ds_write_b64 v20, v[27:28] offset:4224
.LBB6_65:
	s_or_b64 exec, exec, s[36:37]
	v_add_u32_e32 v21, 24, v9
	v_cmp_le_i32_e32 vcc, s19, v21
	s_and_saveexec_b64 s[36:37], vcc
	s_xor_b64 s[36:37], exec, s[36:37]
; %bb.66:
	v_mov_b32_e32 v27, 0
	v_mov_b32_e32 v28, v27
	ds_write_b64 v20, v[27:28] offset:6336
                                        ; implicit-def: $vgpr20
; %bb.67:
	s_andn2_saveexec_b64 s[36:37], s[36:37]
	s_cbranch_execz .LBB6_69
; %bb.68:
	s_mul_i32 s42, s22, 24
	s_ashr_i32 s43, s42, 31
	s_lshl_b64 s[42:43], s[42:43], 3
	v_mov_b32_e32 v21, s43
	v_add_co_u32_e32 v27, vcc, s42, v3
	v_addc_co_u32_e32 v28, vcc, v4, v21, vcc
	global_load_dwordx2 v[27:28], v[27:28], off
	s_waitcnt vmcnt(0)
	ds_write_b64 v20, v[27:28] offset:6336
.LBB6_69:
	s_or_b64 exec, exec, s[36:37]
	v_add_co_u32_e32 v3, vcc, v3, v10
	v_addc_co_u32_e32 v4, vcc, 0, v4, vcc
	v_mov_b32_e32 v20, s35
	v_subrev_co_u32_e32 v3, vcc, s34, v3
	v_subb_co_u32_e32 v4, vcc, v4, v20, vcc
	v_add_co_u32_e32 v3, vcc, 0x108, v3
	v_addc_co_u32_e32 v4, vcc, 0, v4, vcc
	v_cndmask_b32_e64 v4, v4, v6, s[14:15]
	v_cndmask_b32_e64 v3, v3, v5, s[14:15]
	s_branch .LBB6_84
.LBB6_70:
	s_movk_i32 s12, 0x108
	v_mad_u32_u24 v6, v13, s12, v10
	ds_read_b64 v[18:19], v6
	s_mov_b64 s[2:3], exec
	v_add_u32_e32 v6, 8, v5
	s_waitcnt lgkmcnt(0)
	v_xor_b32_e32 v7, 0x80000000, v19
	ds_write_b32 v5, v18 offset:8
	s_andn2_saveexec_b64 s[10:11], s[10:11]
	s_cbranch_execz .LBB6_40
.LBB6_71:
	v_cmp_eq_u32_e32 vcc, v13, v2
	s_mov_b64 s[12:13], s[2:3]
                                        ; implicit-def: $vgpr6
	s_and_saveexec_b64 s[14:15], vcc
; %bb.72:
	v_add_u32_e32 v6, v10, v11
	s_or_b64 s[12:13], s[2:3], exec
; %bb.73:
	s_or_b64 exec, exec, s[14:15]
	s_andn2_b64 s[2:3], s[2:3], exec
	s_and_b64 s[12:13], s[12:13], exec
	v_mov_b32_e32 v7, 0
	s_or_b64 s[2:3], s[2:3], s[12:13]
	s_or_b64 exec, exec, s[10:11]
	s_and_saveexec_b64 s[10:11], s[2:3]
	s_cbranch_execnz .LBB6_41
	s_branch .LBB6_42
.LBB6_74:
	v_cmp_eq_u32_e32 vcc, v18, v2
                                        ; implicit-def: $vgpr6
	s_and_saveexec_b64 s[14:15], vcc
; %bb.75:
	s_mov_b64 s[2:3], exec
	v_add_u32_e32 v6, v10, v11
; %bb.76:
	s_or_b64 exec, exec, s[14:15]
	s_and_b64 s[2:3], s[2:3], exec
	s_or_saveexec_b64 s[12:13], s[12:13]
	v_mov_b32_e32 v7, 0
	s_xor_b64 exec, exec, s[12:13]
	s_cbranch_execz .LBB6_44
.LBB6_77:
	s_movk_i32 s14, 0x108
	v_mad_u32_u24 v6, v18, s14, v10
	ds_read_b64 v[19:20], v6
	v_add_u32_e32 v6, 16, v5
	s_or_b64 s[2:3], s[2:3], exec
	s_waitcnt lgkmcnt(0)
	v_xor_b32_e32 v7, 0x80000000, v20
	ds_write_b32 v5, v19 offset:16
	s_or_b64 exec, exec, s[12:13]
	s_and_saveexec_b64 s[12:13], s[2:3]
	s_cbranch_execnz .LBB6_45
	s_branch .LBB6_46
.LBB6_78:
	v_cmp_eq_u32_e32 vcc, v19, v2
                                        ; implicit-def: $vgpr6
	s_and_saveexec_b64 s[26:27], vcc
; %bb.79:
	s_mov_b64 s[2:3], exec
	v_add_u32_e32 v6, v10, v11
; %bb.80:
	s_or_b64 exec, exec, s[26:27]
	s_and_b64 s[2:3], s[2:3], exec
                                        ; implicit-def: $vgpr5
	s_or_saveexec_b64 s[14:15], s[14:15]
	v_mov_b32_e32 v7, 0
	s_xor_b64 exec, exec, s[14:15]
	s_cbranch_execz .LBB6_48
.LBB6_81:
	s_movk_i32 s19, 0x108
	v_mad_u32_u24 v6, v19, s19, v10
	ds_read_b64 v[20:21], v6
	v_add_u32_e32 v6, 24, v5
	s_or_b64 s[2:3], s[2:3], exec
	s_waitcnt lgkmcnt(0)
	v_xor_b32_e32 v7, 0x80000000, v21
	ds_write_b32 v5, v20 offset:24
	s_or_b64 exec, exec, s[14:15]
	s_and_saveexec_b64 s[14:15], s[2:3]
	s_cbranch_execnz .LBB6_49
	s_branch .LBB6_50
.LBB6_82:
                                        ; implicit-def: $vgpr3_vgpr4
	s_cbranch_execz .LBB6_84
; %bb.83:
	s_lshl_b32 s14, s22, 3
	s_ashr_i32 s15, s14, 31
	s_lshl_b64 s[14:15], s[14:15], 3
	v_mov_b32_e32 v4, s15
	v_add_co_u32_e32 v3, vcc, s14, v7
	s_ashr_i32 s23, s22, 31
	v_addc_co_u32_e32 v4, vcc, v8, v4, vcc
	s_lshl_b64 s[14:15], s[22:23], 6
	v_mov_b32_e32 v23, s15
	v_add_co_u32_e32 v20, vcc, s14, v3
	v_addc_co_u32_e32 v21, vcc, v4, v23, vcc
	v_add_co_u32_e32 v27, vcc, s14, v20
	v_addc_co_u32_e32 v28, vcc, v21, v23, vcc
	global_load_dwordx2 v[29:30], v[7:8], off offset:256
	global_load_dwordx2 v[31:32], v[3:4], off offset:256
	;; [unrolled: 1-line block ×4, first 2 shown]
	s_movk_i32 s14, 0x108
	v_mad_u32_u24 v3, v9, s14, v10
	s_waitcnt vmcnt(3)
	ds_write_b64 v3, v[29:30]
	s_waitcnt vmcnt(2)
	ds_write_b64 v3, v[31:32] offset:2112
	s_waitcnt vmcnt(1)
	ds_write_b64 v3, v[33:34] offset:4224
	s_waitcnt vmcnt(0)
	ds_write_b64 v3, v[35:36] offset:6336
	v_mov_b32_e32 v3, v5
	v_mov_b32_e32 v4, v6
.LBB6_84:
	v_mul_u32_u24_e32 v5, 0x420, v9
	s_mov_b64 s[14:15], 0
	s_waitcnt lgkmcnt(0)
	s_barrier
                                        ; implicit-def: $vgpr6
	s_and_saveexec_b64 s[34:35], s[16:17]
	s_xor_b64 s[16:17], exec, s[34:35]
	s_cbranch_execz .LBB6_88
; %bb.85:
	v_cmp_eq_u32_e32 vcc, v12, v2
                                        ; implicit-def: $vgpr6
	s_and_saveexec_b64 s[34:35], vcc
	s_xor_b64 s[34:35], exec, s[34:35]
; %bb.86:
	s_mov_b64 s[14:15], exec
	v_add_u32_e32 v6, v10, v11
; %bb.87:
	s_or_b64 exec, exec, s[34:35]
	s_and_b64 s[14:15], s[14:15], exec
.LBB6_88:
	s_or_saveexec_b64 s[16:17], s[16:17]
	v_mov_b32_e32 v7, 0
	v_add_u32_e32 v20, v10, v5
	v_lshl_add_u32 v5, v12, 3, v25
	s_xor_b64 exec, exec, s[16:17]
	s_cbranch_execz .LBB6_90
; %bb.89:
	ds_read_b64 v[6:7], v20
	s_or_b64 s[14:15], s[14:15], exec
	s_waitcnt lgkmcnt(0)
	v_xor_b32_e32 v7, 0x80000000, v7
	ds_write_b32 v5, v6
	v_mov_b32_e32 v6, v5
.LBB6_90:
	s_or_b64 exec, exec, s[16:17]
	v_mul_u32_u24_e32 v8, 0x108, v13
	s_and_saveexec_b64 s[16:17], s[14:15]
; %bb.91:
	ds_write_b32 v6, v7 offset:4
; %bb.92:
	s_or_b64 exec, exec, s[16:17]
	s_mov_b64 s[14:15], 0
	v_add_u32_e32 v21, v10, v8
                                        ; implicit-def: $vgpr7
                                        ; implicit-def: $vgpr6
	s_and_saveexec_b64 s[16:17], s[8:9]
	s_xor_b64 s[8:9], exec, s[16:17]
	s_cbranch_execnz .LBB6_124
; %bb.93:
	s_andn2_saveexec_b64 s[8:9], s[8:9]
	s_cbranch_execnz .LBB6_125
.LBB6_94:
	s_or_b64 exec, exec, s[8:9]
	s_and_saveexec_b64 s[8:9], s[14:15]
.LBB6_95:
	ds_write_b32 v6, v7 offset:4
.LBB6_96:
	s_or_b64 exec, exec, s[8:9]
	s_mov_b64 s[8:9], 0
                                        ; implicit-def: $vgpr6
	s_and_saveexec_b64 s[14:15], s[10:11]
	s_xor_b64 s[10:11], exec, s[14:15]
	s_cbranch_execnz .LBB6_128
; %bb.97:
	s_or_saveexec_b64 s[10:11], s[10:11]
	v_mov_b32_e32 v7, 0
	s_xor_b64 exec, exec, s[10:11]
	s_cbranch_execnz .LBB6_131
.LBB6_98:
	s_or_b64 exec, exec, s[10:11]
	s_and_saveexec_b64 s[10:11], s[8:9]
.LBB6_99:
	ds_write_b32 v6, v7 offset:4
.LBB6_100:
	s_or_b64 exec, exec, s[10:11]
	s_mov_b64 s[8:9], 0
                                        ; implicit-def: $vgpr6
	s_and_saveexec_b64 s[10:11], s[12:13]
	s_xor_b64 s[10:11], exec, s[10:11]
	s_cbranch_execnz .LBB6_132
; %bb.101:
	s_or_saveexec_b64 s[10:11], s[10:11]
	v_mov_b32_e32 v7, 0
	s_xor_b64 exec, exec, s[10:11]
	s_cbranch_execnz .LBB6_135
.LBB6_102:
	s_or_b64 exec, exec, s[10:11]
	v_add_u32_e32 v11, 0x2380, v22
	s_and_saveexec_b64 s[10:11], s[8:9]
.LBB6_103:
	ds_write_b32 v6, v7 offset:4
.LBB6_104:
	s_or_b64 exec, exec, s[10:11]
	s_waitcnt lgkmcnt(0)
	s_barrier
	ds_read_b64 v[12:13], v20
	ds_read_b128 v[5:8], v11 offset:256
	ds_read_b128 v[27:30], v11 offset:272
	ds_read_b64 v[18:19], v21 offset:528
	ds_read2_b64 v[31:34], v21 offset1:33
	v_cmp_eq_u32_e64 s[8:9], 1, v9
	s_waitcnt lgkmcnt(3)
	v_mul_f32_e32 v22, v6, v13
	v_fma_f32 v22, v5, v12, -v22
	v_mul_f32_e32 v5, v5, v13
	v_fmac_f32_e32 v5, v6, v12
	s_waitcnt lgkmcnt(0)
	v_mul_f32_e32 v12, v8, v32
	v_fma_f32 v12, v7, v31, -v12
	v_mul_f32_e32 v7, v7, v32
	v_add_f32_e32 v5, 0, v5
	v_fmac_f32_e32 v7, v8, v31
	v_add_f32_e32 v6, 0, v22
	v_add_f32_e32 v5, v5, v7
	v_mul_f32_e32 v7, v28, v34
	v_mul_f32_e32 v8, v27, v34
	v_add_f32_e32 v6, v6, v12
	v_fma_f32 v7, v27, v33, -v7
	v_fmac_f32_e32 v8, v28, v33
	v_add_f32_e32 v6, v6, v7
	v_add_f32_e32 v7, v5, v8
	v_mul_f32_e32 v5, v30, v19
	v_mul_f32_e32 v8, v29, v19
	v_fma_f32 v5, v29, v18, -v5
	v_fmac_f32_e32 v8, v30, v18
	v_add_f32_e32 v5, v6, v5
	v_add_f32_e32 v6, v7, v8
	s_barrier
	ds_write_b64 v26, v[5:6]
	s_waitcnt lgkmcnt(0)
	s_barrier
	s_and_saveexec_b64 s[10:11], s[8:9]
	s_cbranch_execz .LBB6_106
; %bb.105:
	ds_read2_b64 v[5:8], v25 offset1:7
	ds_read2_b64 v[27:30], v25 offset0:1 offset1:2
	ds_read2_b64 v[31:34], v25 offset0:3 offset1:4
	s_waitcnt lgkmcnt(1)
	v_add_f32_e32 v5, v27, v5
	v_add_f32_e32 v6, v28, v6
	;; [unrolled: 1-line block ×4, first 2 shown]
	ds_read2_b64 v[27:30], v25 offset0:5 offset1:6
	s_waitcnt lgkmcnt(1)
	v_add_f32_e32 v5, v5, v31
	v_add_f32_e32 v6, v6, v32
	;; [unrolled: 1-line block ×4, first 2 shown]
	s_waitcnt lgkmcnt(0)
	v_add_f32_e32 v5, v5, v27
	v_add_f32_e32 v6, v6, v28
	;; [unrolled: 1-line block ×6, first 2 shown]
.LBB6_106:
	s_or_b64 exec, exec, s[10:11]
	v_add_co_u32_e32 v5, vcc, 0xffffff00, v3
	v_addc_co_u32_e32 v6, vcc, -1, v4, vcc
	s_and_b64 vcc, exec, s[28:29]
	s_barrier
	s_cbranch_vccz .LBB6_136
; %bb.107:
	v_sub_co_u32_e32 v7, vcc, v3, v10
	s_ashr_i32 s19, s18, 31
	v_subbrev_co_u32_e32 v8, vcc, 0, v4, vcc
	s_lshl_b64 s[12:13], s[18:19], 3
	v_mov_b32_e32 v12, s13
	v_add_co_u32_e32 v7, vcc, s12, v7
	v_addc_co_u32_e32 v8, vcc, v8, v12, vcc
	v_add_co_u32_e32 v7, vcc, 0xfffffef8, v7
	v_addc_co_u32_e32 v8, vcc, -1, v8, vcc
	v_cmp_gt_i32_e32 vcc, s18, v2
	s_sub_i32 s16, s18, 32
	v_mul_u32_u24_e32 v2, 0x108, v9
	v_cndmask_b32_e32 v8, v8, v6, vcc
	v_cndmask_b32_e32 v7, v7, v5, vcc
	v_cmp_le_i32_e64 s[10:11], s16, v9
	v_add_u32_e32 v18, v10, v2
	s_and_saveexec_b64 s[14:15], s[10:11]
	s_xor_b64 s[10:11], exec, s[14:15]
; %bb.108:
	v_mov_b32_e32 v12, 0
	v_mov_b32_e32 v13, v12
	ds_write_b64 v18, v[12:13]
; %bb.109:
	s_andn2_saveexec_b64 s[10:11], s[10:11]
	s_cbranch_execz .LBB6_111
; %bb.110:
	global_load_dwordx2 v[12:13], v[7:8], off
	s_waitcnt vmcnt(0)
	ds_write_b64 v18, v[12:13]
.LBB6_111:
	s_or_b64 exec, exec, s[10:11]
	v_add_u32_e32 v2, 8, v9
	v_cmp_le_i32_e64 s[10:11], s16, v2
	s_and_saveexec_b64 s[14:15], s[10:11]
	s_xor_b64 s[10:11], exec, s[14:15]
; %bb.112:
	v_mov_b32_e32 v12, 0
	v_mov_b32_e32 v13, v12
	ds_write_b64 v18, v[12:13] offset:2112
; %bb.113:
	s_andn2_saveexec_b64 s[14:15], s[10:11]
	s_cbranch_execz .LBB6_115
; %bb.114:
	s_lshl_b32 s10, s22, 3
	s_ashr_i32 s11, s10, 31
	s_lshl_b64 s[10:11], s[10:11], 3
	v_mov_b32_e32 v13, s11
	v_add_co_u32_e64 v12, s[10:11], s10, v7
	v_addc_co_u32_e64 v13, s[10:11], v8, v13, s[10:11]
	global_load_dwordx2 v[12:13], v[12:13], off
	s_waitcnt vmcnt(0)
	ds_write_b64 v18, v[12:13] offset:2112
.LBB6_115:
	s_or_b64 exec, exec, s[14:15]
	v_add_u32_e32 v12, 16, v9
	v_cmp_le_i32_e64 s[10:11], s16, v12
	s_and_saveexec_b64 s[14:15], s[10:11]
	s_xor_b64 s[10:11], exec, s[14:15]
; %bb.116:
	v_mov_b32_e32 v22, 0
	v_mov_b32_e32 v23, v22
	ds_write_b64 v18, v[22:23] offset:4224
; %bb.117:
	s_andn2_saveexec_b64 s[14:15], s[10:11]
	s_cbranch_execz .LBB6_119
; %bb.118:
	s_lshl_b32 s10, s22, 4
	s_ashr_i32 s11, s10, 31
	s_lshl_b64 s[10:11], s[10:11], 3
	v_mov_b32_e32 v13, s11
	v_add_co_u32_e64 v22, s[10:11], s10, v7
	v_addc_co_u32_e64 v23, s[10:11], v8, v13, s[10:11]
	global_load_dwordx2 v[22:23], v[22:23], off
	s_waitcnt vmcnt(0)
	ds_write_b64 v18, v[22:23] offset:4224
.LBB6_119:
	s_or_b64 exec, exec, s[14:15]
	v_add_u32_e32 v13, 24, v9
	v_cmp_le_i32_e64 s[10:11], s16, v13
	s_and_saveexec_b64 s[14:15], s[10:11]
	s_xor_b64 s[10:11], exec, s[14:15]
; %bb.120:
	v_mov_b32_e32 v22, 0
	v_mov_b32_e32 v23, v22
	ds_write_b64 v18, v[22:23] offset:6336
                                        ; implicit-def: $vgpr18
; %bb.121:
	s_andn2_saveexec_b64 s[14:15], s[10:11]
	s_cbranch_execz .LBB6_123
; %bb.122:
	s_mul_i32 s10, s22, 24
	s_ashr_i32 s11, s10, 31
	s_lshl_b64 s[10:11], s[10:11], 3
	v_mov_b32_e32 v19, s11
	v_add_co_u32_e64 v22, s[10:11], s10, v7
	v_addc_co_u32_e64 v23, s[10:11], v8, v19, s[10:11]
	global_load_dwordx2 v[22:23], v[22:23], off
	s_waitcnt vmcnt(0)
	ds_write_b64 v18, v[22:23] offset:6336
.LBB6_123:
	s_or_b64 exec, exec, s[14:15]
	v_add_co_u32_e64 v7, s[10:11], v7, v10
	v_addc_co_u32_e64 v8, s[10:11], 0, v8, s[10:11]
	v_mov_b32_e32 v18, s13
	v_subrev_co_u32_e64 v7, s[10:11], s12, v7
	v_subb_co_u32_e64 v8, s[10:11], v8, v18, s[10:11]
	v_add_co_u32_e64 v7, s[10:11], 8, v7
	v_addc_co_u32_e64 v8, s[10:11], 0, v8, s[10:11]
	v_cndmask_b32_e32 v19, v8, v6, vcc
	v_cndmask_b32_e32 v18, v7, v5, vcc
	s_branch .LBB6_138
.LBB6_124:
	ds_read_b64 v[12:13], v21
	s_mov_b64 s[14:15], exec
	v_add_u32_e32 v6, 8, v5
	s_waitcnt lgkmcnt(0)
	v_xor_b32_e32 v7, 0x80000000, v13
	ds_write_b32 v5, v12 offset:8
                                        ; implicit-def: $vgpr13
	s_andn2_saveexec_b64 s[8:9], s[8:9]
	s_cbranch_execz .LBB6_94
.LBB6_125:
	v_cmp_eq_u32_e32 vcc, v13, v2
	s_mov_b64 s[16:17], s[14:15]
                                        ; implicit-def: $vgpr6
	s_and_saveexec_b64 s[34:35], vcc
; %bb.126:
	v_add_u32_e32 v6, v10, v11
	s_or_b64 s[16:17], s[14:15], exec
; %bb.127:
	s_or_b64 exec, exec, s[34:35]
	s_andn2_b64 s[14:15], s[14:15], exec
	s_and_b64 s[16:17], s[16:17], exec
	v_mov_b32_e32 v7, 0
	s_or_b64 s[14:15], s[14:15], s[16:17]
	s_or_b64 exec, exec, s[8:9]
	s_and_saveexec_b64 s[8:9], s[14:15]
	s_cbranch_execnz .LBB6_95
	s_branch .LBB6_96
.LBB6_128:
	v_cmp_eq_u32_e32 vcc, v18, v2
                                        ; implicit-def: $vgpr6
	s_and_saveexec_b64 s[14:15], vcc
; %bb.129:
	s_mov_b64 s[8:9], exec
	v_add_u32_e32 v6, v10, v11
; %bb.130:
	s_or_b64 exec, exec, s[14:15]
	s_and_b64 s[8:9], s[8:9], exec
	s_or_saveexec_b64 s[10:11], s[10:11]
	v_mov_b32_e32 v7, 0
	s_xor_b64 exec, exec, s[10:11]
	s_cbranch_execz .LBB6_98
.LBB6_131:
	ds_read_b64 v[12:13], v21 offset:264
	v_add_u32_e32 v6, 16, v5
	s_or_b64 s[8:9], s[8:9], exec
	s_waitcnt lgkmcnt(0)
	v_xor_b32_e32 v7, 0x80000000, v13
	ds_write_b32 v5, v12 offset:16
	s_or_b64 exec, exec, s[10:11]
	s_and_saveexec_b64 s[10:11], s[8:9]
	s_cbranch_execnz .LBB6_99
	s_branch .LBB6_100
.LBB6_132:
	v_cmp_eq_u32_e32 vcc, v19, v2
                                        ; implicit-def: $vgpr6
	s_and_saveexec_b64 s[12:13], vcc
; %bb.133:
	s_mov_b64 s[8:9], exec
	v_add_u32_e32 v6, v10, v11
; %bb.134:
	s_or_b64 exec, exec, s[12:13]
	s_and_b64 s[8:9], s[8:9], exec
                                        ; implicit-def: $vgpr5
	s_or_saveexec_b64 s[10:11], s[10:11]
	v_mov_b32_e32 v7, 0
	s_xor_b64 exec, exec, s[10:11]
	s_cbranch_execz .LBB6_102
.LBB6_135:
	ds_read_b64 v[11:12], v21 offset:528
	v_add_u32_e32 v6, 24, v5
	s_or_b64 s[8:9], s[8:9], exec
	s_waitcnt lgkmcnt(0)
	v_xor_b32_e32 v7, 0x80000000, v12
	ds_write_b32 v5, v11 offset:24
	s_or_b64 exec, exec, s[10:11]
	v_add_u32_e32 v11, 0x2380, v22
	s_and_saveexec_b64 s[10:11], s[8:9]
	s_cbranch_execnz .LBB6_103
	s_branch .LBB6_104
.LBB6_136:
                                        ; implicit-def: $vgpr18_vgpr19
                                        ; implicit-def: $vgpr2
                                        ; implicit-def: $vgpr12
                                        ; implicit-def: $vgpr13
	s_cbranch_execz .LBB6_138
; %bb.137:
	s_lshl_b32 s10, s22, 3
	s_ashr_i32 s11, s10, 31
	s_lshl_b64 s[10:11], s[10:11], 3
	v_mov_b32_e32 v2, s11
	v_add_co_u32_e32 v7, vcc, s10, v3
	s_ashr_i32 s23, s22, 31
	v_addc_co_u32_e32 v8, vcc, v4, v2, vcc
	s_lshl_b64 s[10:11], s[22:23], 6
	v_mov_b32_e32 v2, s11
	v_add_co_u32_e32 v12, vcc, s10, v7
	v_addc_co_u32_e32 v13, vcc, v8, v2, vcc
	v_add_co_u32_e32 v18, vcc, s10, v12
	v_addc_co_u32_e32 v19, vcc, v13, v2, vcc
	global_load_dwordx2 v[22:23], v[3:4], off offset:-256
	global_load_dwordx2 v[27:28], v[7:8], off offset:-256
	;; [unrolled: 1-line block ×4, first 2 shown]
	s_movk_i32 s10, 0x108
	v_mov_b32_e32 v19, v6
	v_add_u32_e32 v2, 8, v9
	v_add_u32_e32 v12, 16, v9
	;; [unrolled: 1-line block ×3, first 2 shown]
	v_mad_u32_u24 v3, v9, s10, v10
	v_mov_b32_e32 v18, v5
	s_waitcnt vmcnt(3)
	ds_write_b64 v3, v[22:23]
	s_waitcnt vmcnt(2)
	ds_write_b64 v3, v[27:28] offset:2112
	s_waitcnt vmcnt(1)
	ds_write_b64 v3, v[29:30] offset:4224
	;; [unrolled: 2-line block ×3, first 2 shown]
.LBB6_138:
	v_lshlrev_b32_e32 v3, 3, v9
	v_add_u32_e32 v4, v25, v3
	v_lshlrev_b32_e32 v2, 3, v2
	s_waitcnt lgkmcnt(0)
	s_barrier
	v_add_u32_e32 v5, v25, v2
	ds_read_b64 v[22:23], v4
	ds_read_b64 v[27:28], v2 offset:9088
	ds_read_b64 v[29:30], v5
	ds_read_b64 v[9:10], v3 offset:9088
	v_lshlrev_b32_e32 v3, 3, v12
	v_add_u32_e32 v4, v25, v3
	v_lshlrev_b32_e32 v5, 3, v13
	v_add_u32_e32 v6, v25, v5
	ds_read_b64 v[31:32], v4
	ds_read_b64 v[33:34], v6
	ds_read_b64 v[35:36], v5 offset:9088
	ds_read_b64 v[37:38], v3 offset:9088
	s_waitcnt lgkmcnt(4)
	v_mul_f32_e32 v2, v23, v10
	v_fmac_f32_e32 v2, v22, v9
	v_mul_f32_e32 v3, v30, v28
	v_add_f32_e32 v2, 0, v2
	v_fmac_f32_e32 v3, v29, v27
	v_add_f32_e32 v2, v2, v3
	s_waitcnt lgkmcnt(0)
	v_mul_f32_e32 v3, v32, v38
	v_fmac_f32_e32 v3, v31, v37
	v_add_f32_e32 v2, v2, v3
	v_mul_f32_e32 v3, v34, v36
	v_mul_f32_e32 v23, v23, v9
	v_fmac_f32_e32 v3, v33, v35
	v_mul_f32_e32 v30, v30, v27
	v_mul_f32_e32 v34, v34, v35
	v_add_f32_e32 v27, v2, v3
	ds_read_b128 v[6:9], v11 offset:256
	ds_read_b128 v[2:5], v11 offset:272
	v_fma_f32 v35, v22, v10, -v23
	ds_read2_b64 v[10:13], v21 offset1:33
	ds_read_b64 v[22:23], v20
	ds_read_b64 v[20:21], v21 offset:528
	v_mul_f32_e32 v32, v32, v37
	v_add_f32_e32 v35, 0, v35
	v_fma_f32 v28, v29, v28, -v30
	v_add_f32_e32 v28, v35, v28
	v_fma_f32 v29, v31, v38, -v32
	;; [unrolled: 2-line block ×3, first 2 shown]
	v_add_f32_e32 v28, v28, v29
	s_waitcnt lgkmcnt(0)
	s_barrier
	ds_write_b64 v26, v[27:28]
	s_waitcnt lgkmcnt(0)
	s_barrier
	s_and_saveexec_b64 s[10:11], s[8:9]
	s_cbranch_execz .LBB6_140
; %bb.139:
	ds_read2_b64 v[27:30], v25 offset1:1
	ds_read2_b64 v[31:34], v25 offset0:2 offset1:3
	ds_read2_b64 v[35:38], v25 offset0:4 offset1:5
	s_waitcnt lgkmcnt(2)
	v_add_f32_e32 v27, v51, v27
	v_add_f32_e32 v28, v52, v28
	;; [unrolled: 1-line block ×4, first 2 shown]
	s_waitcnt lgkmcnt(1)
	v_add_f32_e32 v27, v27, v31
	v_add_f32_e32 v28, v28, v32
	;; [unrolled: 1-line block ×4, first 2 shown]
	ds_read2_b64 v[27:30], v25 offset0:6 offset1:7
	s_waitcnt lgkmcnt(1)
	v_add_f32_e32 v31, v31, v35
	v_add_f32_e32 v32, v32, v36
	v_add_f32_e32 v31, v31, v37
	v_add_f32_e32 v32, v32, v38
	s_waitcnt lgkmcnt(0)
	v_add_f32_e32 v27, v31, v27
	v_add_f32_e32 v28, v32, v28
	;; [unrolled: 1-line block ×4, first 2 shown]
.LBB6_140:
	s_or_b64 exec, exec, s[10:11]
	v_mul_f32_e32 v27, v7, v23
	v_fma_f32 v27, v6, v22, -v27
	v_mul_f32_e32 v6, v6, v23
	v_fmac_f32_e32 v6, v7, v22
	v_mul_f32_e32 v22, v9, v11
	v_fma_f32 v22, v8, v10, -v22
	v_mul_f32_e32 v8, v8, v11
	v_add_f32_e32 v6, 0, v6
	v_fmac_f32_e32 v8, v9, v10
	v_add_f32_e32 v6, v6, v8
	v_mul_f32_e32 v8, v3, v13
	v_fma_f32 v8, v2, v12, -v8
	v_mul_f32_e32 v2, v2, v13
	v_fmac_f32_e32 v2, v3, v12
	v_add_f32_e32 v7, 0, v27
	v_add_f32_e32 v6, v6, v2
	v_mul_f32_e32 v2, v5, v21
	v_add_f32_e32 v7, v7, v22
	v_fma_f32 v2, v4, v20, -v2
	v_mul_f32_e32 v4, v4, v21
	v_add_f32_e32 v3, v7, v8
	v_fmac_f32_e32 v4, v5, v20
	v_add_f32_e32 v2, v3, v2
	v_add_f32_e32 v3, v6, v4
	s_barrier
	ds_write_b64 v26, v[2:3]
	s_waitcnt lgkmcnt(0)
	s_barrier
	s_and_saveexec_b64 s[8:9], s[2:3]
	s_cbranch_execz .LBB6_142
; %bb.141:
	ds_read2_b64 v[2:5], v25 offset1:1
	ds_read2_b64 v[6:9], v25 offset0:2 offset1:3
	ds_read2_b64 v[10:13], v25 offset0:4 offset1:5
	s_waitcnt lgkmcnt(2)
	v_add_f32_e32 v2, v51, v2
	v_add_f32_e32 v3, v52, v3
	;; [unrolled: 1-line block ×4, first 2 shown]
	s_waitcnt lgkmcnt(1)
	v_add_f32_e32 v2, v2, v6
	v_add_f32_e32 v3, v3, v7
	;; [unrolled: 1-line block ×4, first 2 shown]
	ds_read2_b64 v[2:5], v25 offset0:6 offset1:7
	s_waitcnt lgkmcnt(1)
	v_add_f32_e32 v6, v6, v10
	v_add_f32_e32 v7, v7, v11
	;; [unrolled: 1-line block ×4, first 2 shown]
	s_waitcnt lgkmcnt(0)
	v_add_f32_e32 v2, v6, v2
	v_add_f32_e32 v3, v7, v3
	;; [unrolled: 1-line block ×4, first 2 shown]
.LBB6_142:
	s_or_b64 exec, exec, s[8:9]
	s_load_dwordx2 s[2:3], s[4:5], 0x68
	s_mul_hi_u32 s4, s40, s7
	s_mul_i32 s41, s41, s7
	s_add_i32 s4, s4, s41
	s_mul_i32 s7, s40, s7
	s_mul_i32 s4, s4, s33
	s_mul_hi_u32 s5, s7, s33
	s_add_i32 s5, s5, s4
	s_mul_i32 s4, s7, s33
	s_lshl_b64 s[4:5], s[4:5], 3
	s_waitcnt lgkmcnt(0)
	s_add_u32 s4, s2, s4
	s_addc_u32 s5, s3, s5
	s_mul_hi_i32 s3, s40, s6
	s_mul_i32 s2, s40, s6
	s_lshl_b64 s[2:3], s[2:3], 3
	s_add_u32 s7, s4, s2
	s_addc_u32 s19, s5, s3
	s_add_i32 s8, s6, 1
	s_cmp_ge_u32 s8, s33
	v_lshlrev_b32_e32 v88, 3, v0
	s_barrier
	s_cbranch_scc1 .LBB6_200
; %bb.143:
	v_lshlrev_b32_e32 v89, 2, v1
	v_mad_u64_u32 v[2:3], s[4:5], s22, v89, v[0:1]
	s_mul_i32 s2, s39, s24
	s_ashr_i32 s3, s2, 31
	s_lshl_b64 s[2:3], s[2:3], 3
	v_mov_b32_e32 v4, s3
	v_subrev_co_u32_e32 v90, vcc, s2, v16
	v_ashrrev_i32_e32 v3, 31, v2
	v_subb_co_u32_e32 v91, vcc, v17, v4, vcc
	s_lshl_b32 s2, s22, 4
	s_mul_i32 s16, s22, 3
	v_lshlrev_b64 v[4:5], 3, v[2:3]
	s_lshl_b32 s25, s39, 6
	s_ashr_i32 s3, s2, 31
	s_ashr_i32 s23, s22, 31
	s_lshl_b32 s14, s22, 1
	s_ashr_i32 s17, s16, 31
	s_mul_i32 s39, s39, s8
	s_add_i32 s24, s33, -2
	s_ashr_i32 s15, s14, 31
	s_lshl_b64 s[4:5], s[22:23], 3
	s_lshl_b32 s10, s39, 6
	v_mov_b32_e32 v6, s27
	v_add_co_u32_e32 v7, vcc, s26, v4
	s_lshl_b64 s[12:13], s[2:3], 5
	s_lshl_b64 s[8:9], s[16:17], 3
	;; [unrolled: 1-line block ×3, first 2 shown]
	v_addc_co_u32_e32 v6, vcc, v6, v5, vcc
	s_add_u32 s29, s16, s26
	s_mul_i32 s11, s22, 0x180
	v_add_co_u32_e32 v2, vcc, s30, v2
	s_addc_u32 s30, s17, s27
	s_mul_hi_i32 s28, s2, 24
	v_mov_b32_e32 v8, s31
	s_add_u32 s11, s11, s16
	v_addc_co_u32_e32 v3, vcc, v8, v3, vcc
	s_addc_u32 s28, s28, s17
	v_mov_b32_e32 v8, s30
	v_add_co_u32_e32 v9, vcc, s29, v4
	s_add_u32 s31, s4, s26
	v_addc_co_u32_e32 v8, vcc, v8, v5, vcc
	s_addc_u32 s34, s5, s27
	s_lshl_b64 s[14:15], s[14:15], 3
	v_mov_b32_e32 v10, s34
	v_add_co_u32_e32 v11, vcc, s31, v4
	s_add_u32 s16, s26, s14
	v_addc_co_u32_e32 v10, vcc, v10, v5, vcc
	s_addc_u32 s17, s27, s15
	v_mov_b32_e32 v12, s17
	v_add_co_u32_e32 v13, vcc, s16, v4
	s_add_u32 s16, s26, s8
	v_addc_co_u32_e32 v12, vcc, v12, v5, vcc
	s_addc_u32 s17, s27, s9
	v_mov_b32_e32 v16, s17
	v_add_co_u32_e32 v17, vcc, s16, v4
	s_lshl_b64 s[16:17], s[2:3], 3
	s_add_u32 s35, s26, s16
	s_addc_u32 s36, s27, s17
	s_lshl_b64 s[22:23], s[2:3], 4
	s_add_u32 s3, s22, s26
	v_addc_co_u32_e32 v16, vcc, v16, v5, vcc
	s_addc_u32 s26, s23, s27
	v_mov_b32_e32 v20, s36
	v_add_co_u32_e32 v21, vcc, s35, v4
	s_add_u32 s27, s3, s8
	v_addc_co_u32_e32 v20, vcc, v20, v5, vcc
	s_addc_u32 s37, s26, s9
	v_mov_b32_e32 v22, s37
	v_add_co_u32_e32 v23, vcc, s27, v4
	;; [unrolled: 5-line block ×9, first 2 shown]
	v_addc_co_u32_e32 v37, vcc, v37, v5, vcc
	v_lshlrev_b64 v[2:3], 3, v[2:3]
	v_mov_b32_e32 v39, s26
	v_add_co_u32_e32 v40, vcc, s3, v4
	v_addc_co_u32_e32 v39, vcc, v39, v5, vcc
	v_mad_i64_i32 v[4:5], s[2:3], s2, 24, v[2:3]
	v_mov_b32_e32 v41, s28
	v_add_co_u32_e32 v2, vcc, s11, v2
	v_addc_co_u32_e32 v3, vcc, v41, v3, vcc
	v_mov_b32_e32 v41, s9
	v_add_co_u32_e32 v42, vcc, s8, v4
	v_addc_co_u32_e32 v41, vcc, v5, v41, vcc
	;; [unrolled: 3-line block ×4, first 2 shown]
	v_add_co_u32_e32 v92, vcc, v18, v4
	v_addc_co_u32_e32 v93, vcc, v19, v5, vcc
	v_add_co_u32_e32 v4, vcc, v18, v7
	v_addc_co_u32_e32 v5, vcc, v19, v6, vcc
	;; [unrolled: 2-line block ×20, first 2 shown]
	v_sub_co_u32_e32 v113, vcc, 0, v14
	v_subb_co_u32_e32 v114, vcc, 0, v15, vcc
	v_add_co_u32_e32 v116, vcc, 4, v4
	v_addc_co_u32_e32 v117, vcc, 0, v5, vcc
	v_add_co_u32_e32 v118, vcc, 4, v2
	v_addc_co_u32_e32 v119, vcc, 0, v3, vcc
	;; [unrolled: 2-line block ×7, first 2 shown]
	v_add_co_u32_e32 v130, vcc, 4, v20
	v_cmp_gt_u32_e64 s[2:3], 64, v24
	v_lshrrev_b32_e32 v24, 4, v24
	v_addc_co_u32_e32 v131, vcc, 0, v21, vcc
	s_movk_i32 s4, 0x218
	v_and_b32_e32 v27, 15, v0
	v_lshlrev_b32_e32 v28, 5, v24
	v_add_co_u32_e32 v132, vcc, 4, v22
	v_mad_u32_u24 v110, v27, s4, v28
	v_and_b32_e32 v28, 48, v0
	v_addc_co_u32_e32 v133, vcc, 0, v23, vcc
	v_lshlrev_b32_e32 v28, 3, v28
	v_add_co_u32_e32 v134, vcc, 4, v25
	v_mad_u32_u24 v111, v27, s4, v28
	v_or_b32_e32 v28, 0x78, v88
	v_mov_b32_e32 v14, 0x2180
	v_addc_co_u32_e32 v135, vcc, 0, v26, vcc
	v_mad_u32_u24 v112, v27, s4, v28
	v_lshl_add_u32 v115, v1, 5, v14
	s_movk_i32 s4, 0x860
	v_mul_i32_i24_e32 v14, 0xffffffe8, v24
	v_add_co_u32_e32 v136, vcc, 4, v18
	v_addc_co_u32_e32 v137, vcc, 0, v19, vcc
	v_add_u32_e32 v138, v110, v14
	v_add_u32_e32 v139, 0x2180, v88
	;; [unrolled: 1-line block ×3, first 2 shown]
	v_mad_u32_u24 v141, v1, s4, v88
	v_or_b32_e32 v142, 1, v89
	v_or_b32_e32 v143, 2, v89
	;; [unrolled: 1-line block ×3, first 2 shown]
	v_add_u32_e32 v145, 16, v89
	v_add_u32_e32 v146, 17, v89
	;; [unrolled: 1-line block ×13, first 2 shown]
	v_mov_b32_e32 v55, 0
	s_cmp_eq_u32 s24, s6
	s_cselect_b32 s22, s38, 0
	s_and_saveexec_b64 s[4:5], s[0:1]
	s_cbranch_execz .LBB6_148
.LBB6_144:
	s_cmp_lg_u32 s22, 0
	s_cselect_b64 s[8:9], -1, 0
	v_cmp_le_i32_e32 vcc, s22, v0
	s_and_b64 s[8:9], s[8:9], vcc
	s_and_saveexec_b64 s[14:15], s[8:9]
	s_xor_b64 s[8:9], exec, s[14:15]
; %bb.145:
	v_mov_b32_e32 v56, v55
	ds_write_b64 v139, v[55:56]
; %bb.146:
	s_andn2_saveexec_b64 s[8:9], s[8:9]
	s_cbranch_execz .LBB6_148
; %bb.147:
	s_ashr_i32 s11, s10, 31
	s_lshl_b64 s[8:9], s[10:11], 3
	v_mov_b32_e32 v3, s9
	v_add_co_u32_e32 v2, vcc, s8, v90
	v_addc_co_u32_e32 v3, vcc, v91, v3, vcc
	global_load_dwordx2 v[2:3], v[2:3], off
	s_waitcnt vmcnt(0)
	ds_write_b64 v139, v[2:3]
.LBB6_148:                              ; =>This Inner Loop Header: Depth=1
	s_or_b64 exec, exec, s[4:5]
	s_cmp_eq_u32 s22, 0
	v_add_co_u32_e32 v2, vcc, v116, v113
	s_cselect_b64 s[14:15], -1, 0
	s_cmp_lg_u32 s22, 0
	v_addc_co_u32_e32 v3, vcc, v117, v114, vcc
	s_cselect_b64 s[8:9], -1, 0
	s_and_b64 vcc, exec, s[8:9]
	s_waitcnt lgkmcnt(0)
	s_barrier
	s_cbranch_vccz .LBB6_156
; %bb.149:                              ;   in Loop: Header=BB6_148 Depth=1
	v_cmp_gt_i32_e32 vcc, s22, v89
	v_mov_b32_e32 v58, 0
	v_mov_b32_e32 v56, 0
	;; [unrolled: 1-line block ×3, first 2 shown]
	s_and_saveexec_b64 s[4:5], vcc
	s_cbranch_execz .LBB6_151
; %bb.150:                              ;   in Loop: Header=BB6_148 Depth=1
	global_load_dwordx2 v[56:57], v[2:3], off offset:-4
.LBB6_151:                              ;   in Loop: Header=BB6_148 Depth=1
	s_or_b64 exec, exec, s[4:5]
	v_cmp_gt_i32_e32 vcc, s22, v142
	v_mov_b32_e32 v59, 0
	s_and_saveexec_b64 s[4:5], vcc
	s_cbranch_execz .LBB6_153
; %bb.152:                              ;   in Loop: Header=BB6_148 Depth=1
	v_add_co_u32_e32 v4, vcc, v120, v113
	v_addc_co_u32_e32 v5, vcc, v121, v114, vcc
	global_load_dwordx2 v[58:59], v[4:5], off offset:-4
.LBB6_153:                              ;   in Loop: Header=BB6_148 Depth=1
	s_or_b64 exec, exec, s[4:5]
	v_cmp_gt_i32_e32 vcc, s22, v143
	v_mov_b32_e32 v60, 0
	v_mov_b32_e32 v61, 0
	s_and_saveexec_b64 s[4:5], vcc
	s_cbranch_execz .LBB6_155
; %bb.154:                              ;   in Loop: Header=BB6_148 Depth=1
	v_add_co_u32_e32 v4, vcc, v122, v113
	v_addc_co_u32_e32 v5, vcc, v123, v114, vcc
	global_load_dwordx2 v[60:61], v[4:5], off offset:-4
.LBB6_155:                              ;   in Loop: Header=BB6_148 Depth=1
	s_or_b64 exec, exec, s[4:5]
	v_cmp_gt_i32_e64 s[4:5], s22, v144
	s_branch .LBB6_158
.LBB6_156:                              ;   in Loop: Header=BB6_148 Depth=1
	s_mov_b64 s[4:5], 0
                                        ; implicit-def: $vgpr57
                                        ; implicit-def: $vgpr59
                                        ; implicit-def: $vgpr61
	s_cbranch_execz .LBB6_158
; %bb.157:                              ;   in Loop: Header=BB6_148 Depth=1
	global_load_dwordx2 v[56:57], v[2:3], off offset:-4
	v_add_co_u32_e32 v2, vcc, v120, v113
	v_addc_co_u32_e32 v3, vcc, v121, v114, vcc
	global_load_dwordx2 v[58:59], v[2:3], off offset:-4
	v_add_co_u32_e32 v2, vcc, v96, v113
	v_addc_co_u32_e32 v3, vcc, v97, v114, vcc
	global_load_dwordx2 v[60:61], v[2:3], off
	s_or_b64 s[4:5], s[4:5], exec
.LBB6_158:                              ;   in Loop: Header=BB6_148 Depth=1
	v_mov_b32_e32 v62, 0
	v_mov_b32_e32 v63, 0
	s_and_saveexec_b64 s[16:17], s[4:5]
	s_cbranch_execz .LBB6_160
; %bb.159:                              ;   in Loop: Header=BB6_148 Depth=1
	v_add_co_u32_e32 v2, vcc, v124, v113
	v_addc_co_u32_e32 v3, vcc, v125, v114, vcc
	global_load_dwordx2 v[62:63], v[2:3], off offset:-4
.LBB6_160:                              ;   in Loop: Header=BB6_148 Depth=1
	s_or_b64 exec, exec, s[16:17]
	ds_read_b64 v[10:11], v140
	ds_read_b128 v[6:9], v115
	ds_read_b128 v[2:5], v115 offset:16
	s_andn2_b64 vcc, exec, s[8:9]
	s_waitcnt vmcnt(0) lgkmcnt(2)
	v_mul_f32_e32 v12, v57, v11
	v_mul_f32_e32 v13, v57, v10
	;; [unrolled: 1-line block ×4, first 2 shown]
	v_fmac_f32_e32 v12, v56, v10
	v_fma_f32 v13, v56, v11, -v13
	v_fmac_f32_e32 v14, v58, v10
	v_fma_f32 v15, v58, v11, -v15
	ds_write2_b64 v141, v[12:13], v[14:15] offset1:67
	v_mul_f32_e32 v12, v61, v11
	v_mul_f32_e32 v14, v63, v11
	v_fmac_f32_e32 v12, v60, v10
	v_mul_f32_e32 v13, v61, v10
	v_fmac_f32_e32 v14, v62, v10
	v_mul_f32_e32 v10, v63, v10
	v_fma_f32 v13, v60, v11, -v13
	v_fma_f32 v15, v62, v11, -v10
	ds_write2_b64 v141, v[12:13], v[14:15] offset0:134 offset1:201
	s_waitcnt lgkmcnt(0)
	s_barrier
	ds_read2_b64 v[22:25], v110 offset1:1
	ds_read2_b64 v[10:13], v110 offset0:2 offset1:3
	v_cndmask_b32_e64 v14, 0, 1, s[8:9]
	v_cmp_ne_u32_e64 s[4:5], 1, v14
	v_add_co_u32_e64 v14, s[8:9], v126, v113
	v_addc_co_u32_e64 v15, s[8:9], v127, v114, s[8:9]
	s_waitcnt lgkmcnt(0)
	s_barrier
	s_cbranch_vccnz .LBB6_168
; %bb.161:                              ;   in Loop: Header=BB6_148 Depth=1
	v_cmp_gt_i32_e32 vcc, s22, v145
	v_mov_b32_e32 v66, 0
	v_mov_b32_e32 v64, 0
	v_mov_b32_e32 v65, 0
	s_and_saveexec_b64 s[8:9], vcc
	s_cbranch_execz .LBB6_163
; %bb.162:                              ;   in Loop: Header=BB6_148 Depth=1
	global_load_dwordx2 v[64:65], v[14:15], off offset:-4
.LBB6_163:                              ;   in Loop: Header=BB6_148 Depth=1
	s_or_b64 exec, exec, s[8:9]
	v_cmp_gt_i32_e32 vcc, s22, v146
	v_mov_b32_e32 v67, 0
	s_and_saveexec_b64 s[8:9], vcc
	s_cbranch_execz .LBB6_165
; %bb.164:                              ;   in Loop: Header=BB6_148 Depth=1
	v_add_co_u32_e32 v16, vcc, v128, v113
	v_addc_co_u32_e32 v17, vcc, v129, v114, vcc
	global_load_dwordx2 v[66:67], v[16:17], off offset:-4
.LBB6_165:                              ;   in Loop: Header=BB6_148 Depth=1
	s_or_b64 exec, exec, s[8:9]
	v_cmp_gt_i32_e32 vcc, s22, v147
	v_mov_b32_e32 v68, 0
	v_mov_b32_e32 v69, 0
	s_and_saveexec_b64 s[8:9], vcc
	s_cbranch_execz .LBB6_167
; %bb.166:                              ;   in Loop: Header=BB6_148 Depth=1
	v_add_co_u32_e32 v16, vcc, v132, v113
	v_addc_co_u32_e32 v17, vcc, v133, v114, vcc
	global_load_dwordx2 v[68:69], v[16:17], off offset:-4
.LBB6_167:                              ;   in Loop: Header=BB6_148 Depth=1
	s_or_b64 exec, exec, s[8:9]
	v_cmp_gt_i32_e64 s[8:9], s22, v148
	s_branch .LBB6_170
.LBB6_168:                              ;   in Loop: Header=BB6_148 Depth=1
	s_mov_b64 s[8:9], 0
                                        ; implicit-def: $vgpr65
                                        ; implicit-def: $vgpr67
                                        ; implicit-def: $vgpr69
	s_cbranch_execz .LBB6_170
; %bb.169:                              ;   in Loop: Header=BB6_148 Depth=1
	global_load_dwordx2 v[64:65], v[14:15], off offset:-4
	v_add_co_u32_e32 v14, vcc, v128, v113
	v_addc_co_u32_e32 v15, vcc, v129, v114, vcc
	global_load_dwordx2 v[66:67], v[14:15], off offset:-4
	v_add_co_u32_e32 v14, vcc, v106, v113
	v_addc_co_u32_e32 v15, vcc, v107, v114, vcc
	global_load_dwordx2 v[68:69], v[14:15], off
	s_or_b64 s[8:9], s[8:9], exec
.LBB6_170:                              ;   in Loop: Header=BB6_148 Depth=1
	v_mov_b32_e32 v70, 0
	v_mov_b32_e32 v71, 0
	s_and_saveexec_b64 s[16:17], s[8:9]
	s_cbranch_execz .LBB6_172
; %bb.171:                              ;   in Loop: Header=BB6_148 Depth=1
	v_add_co_u32_e32 v14, vcc, v134, v113
	v_addc_co_u32_e32 v15, vcc, v135, v114, vcc
	global_load_dwordx2 v[70:71], v[14:15], off offset:-4
.LBB6_172:                              ;   in Loop: Header=BB6_148 Depth=1
	s_or_b64 exec, exec, s[16:17]
	ds_read_b64 v[26:27], v140
	ds_read_b128 v[18:21], v115 offset:128
	ds_read_b128 v[14:17], v115 offset:144
	s_and_b64 vcc, exec, s[4:5]
	s_waitcnt vmcnt(0) lgkmcnt(2)
	v_mul_f32_e32 v28, v65, v27
	v_mul_f32_e32 v29, v65, v26
	;; [unrolled: 1-line block ×4, first 2 shown]
	v_fmac_f32_e32 v28, v64, v26
	v_fma_f32 v29, v64, v27, -v29
	v_fmac_f32_e32 v30, v66, v26
	v_fma_f32 v31, v66, v27, -v31
	ds_write2_b64 v141, v[28:29], v[30:31] offset1:67
	v_mul_f32_e32 v28, v69, v27
	v_mul_f32_e32 v30, v71, v27
	v_fmac_f32_e32 v28, v68, v26
	v_mul_f32_e32 v29, v69, v26
	v_fmac_f32_e32 v30, v70, v26
	v_mul_f32_e32 v26, v71, v26
	v_fma_f32 v29, v68, v27, -v29
	v_fma_f32 v31, v70, v27, -v26
	ds_write2_b64 v141, v[28:29], v[30:31] offset0:134 offset1:201
	s_waitcnt lgkmcnt(0)
	s_barrier
	ds_read2_b64 v[38:41], v110 offset1:1
	ds_read2_b64 v[34:37], v110 offset0:2 offset1:3
	v_add_co_u32_e64 v26, s[8:9], v136, v113
	v_addc_co_u32_e64 v27, s[8:9], v137, v114, s[8:9]
	s_waitcnt lgkmcnt(0)
	s_barrier
	s_cbranch_vccnz .LBB6_180
; %bb.173:                              ;   in Loop: Header=BB6_148 Depth=1
	v_cmp_gt_i32_e32 vcc, s22, v149
	v_mov_b32_e32 v74, 0
	v_mov_b32_e32 v72, 0
	;; [unrolled: 1-line block ×3, first 2 shown]
	s_and_saveexec_b64 s[8:9], vcc
	s_cbranch_execz .LBB6_175
; %bb.174:                              ;   in Loop: Header=BB6_148 Depth=1
	global_load_dwordx2 v[72:73], v[26:27], off offset:-4
.LBB6_175:                              ;   in Loop: Header=BB6_148 Depth=1
	s_or_b64 exec, exec, s[8:9]
	v_cmp_gt_i32_e32 vcc, s22, v150
	v_mov_b32_e32 v75, 0
	s_and_saveexec_b64 s[8:9], vcc
	s_cbranch_execz .LBB6_177
; %bb.176:                              ;   in Loop: Header=BB6_148 Depth=1
	v_add_co_u32_e32 v28, vcc, v108, v113
	v_addc_co_u32_e32 v29, vcc, v109, v114, vcc
	global_load_dwordx2 v[74:75], v[28:29], off
.LBB6_177:                              ;   in Loop: Header=BB6_148 Depth=1
	s_or_b64 exec, exec, s[8:9]
	v_cmp_gt_i32_e32 vcc, s22, v151
	v_mov_b32_e32 v76, 0
	v_mov_b32_e32 v77, 0
	s_and_saveexec_b64 s[8:9], vcc
	s_cbranch_execz .LBB6_179
; %bb.178:                              ;   in Loop: Header=BB6_148 Depth=1
	v_add_co_u32_e32 v28, vcc, v104, v113
	v_addc_co_u32_e32 v29, vcc, v105, v114, vcc
	global_load_dwordx2 v[76:77], v[28:29], off
.LBB6_179:                              ;   in Loop: Header=BB6_148 Depth=1
	s_or_b64 exec, exec, s[8:9]
	v_cmp_gt_i32_e64 s[8:9], s22, v152
	s_branch .LBB6_182
.LBB6_180:                              ;   in Loop: Header=BB6_148 Depth=1
	s_mov_b64 s[8:9], 0
                                        ; implicit-def: $vgpr73
                                        ; implicit-def: $vgpr75
                                        ; implicit-def: $vgpr77
	s_cbranch_execz .LBB6_182
; %bb.181:                              ;   in Loop: Header=BB6_148 Depth=1
	global_load_dwordx2 v[72:73], v[26:27], off offset:-4
	v_add_co_u32_e32 v26, vcc, v108, v113
	v_addc_co_u32_e32 v27, vcc, v109, v114, vcc
	global_load_dwordx2 v[74:75], v[26:27], off
	v_add_co_u32_e32 v26, vcc, v130, v113
	v_addc_co_u32_e32 v27, vcc, v131, v114, vcc
	global_load_dwordx2 v[76:77], v[26:27], off offset:-4
	s_or_b64 s[8:9], s[8:9], exec
.LBB6_182:                              ;   in Loop: Header=BB6_148 Depth=1
	v_mov_b32_e32 v78, 0
	v_mov_b32_e32 v79, 0
	s_and_saveexec_b64 s[16:17], s[8:9]
	s_cbranch_execz .LBB6_184
; %bb.183:                              ;   in Loop: Header=BB6_148 Depth=1
	v_add_co_u32_e32 v26, vcc, v102, v113
	v_addc_co_u32_e32 v27, vcc, v103, v114, vcc
	global_load_dwordx2 v[78:79], v[26:27], off
.LBB6_184:                              ;   in Loop: Header=BB6_148 Depth=1
	s_or_b64 exec, exec, s[16:17]
	ds_read_b64 v[42:43], v140
	ds_read_b128 v[30:33], v115 offset:256
	ds_read_b128 v[26:29], v115 offset:272
	s_and_b64 vcc, exec, s[4:5]
	v_add_co_u32_e64 v86, s[4:5], v92, v113
	s_waitcnt vmcnt(0) lgkmcnt(2)
	v_mul_f32_e32 v44, v73, v43
	v_mul_f32_e32 v45, v73, v42
	;; [unrolled: 1-line block ×4, first 2 shown]
	v_fmac_f32_e32 v44, v72, v42
	v_fma_f32 v45, v72, v43, -v45
	v_fmac_f32_e32 v46, v74, v42
	v_fma_f32 v47, v74, v43, -v47
	ds_write2_b64 v141, v[44:45], v[46:47] offset1:67
	v_mul_f32_e32 v44, v77, v43
	v_mul_f32_e32 v46, v79, v43
	v_fmac_f32_e32 v44, v76, v42
	v_mul_f32_e32 v45, v77, v42
	v_fmac_f32_e32 v46, v78, v42
	v_mul_f32_e32 v42, v79, v42
	v_fma_f32 v45, v76, v43, -v45
	v_fma_f32 v47, v78, v43, -v42
	ds_write2_b64 v141, v[44:45], v[46:47] offset0:134 offset1:201
	s_waitcnt lgkmcnt(0)
	s_barrier
	ds_read2_b64 v[46:49], v110 offset1:1
	ds_read2_b64 v[42:45], v110 offset0:2 offset1:3
	v_addc_co_u32_e64 v87, s[4:5], v93, v114, s[4:5]
	s_waitcnt lgkmcnt(0)
	s_barrier
	s_cbranch_vccnz .LBB6_192
; %bb.185:                              ;   in Loop: Header=BB6_148 Depth=1
	v_cmp_gt_i32_e32 vcc, s22, v153
	v_mov_b32_e32 v82, 0
	v_mov_b32_e32 v80, 0
	;; [unrolled: 1-line block ×3, first 2 shown]
	s_and_saveexec_b64 s[4:5], vcc
	s_cbranch_execz .LBB6_187
; %bb.186:                              ;   in Loop: Header=BB6_148 Depth=1
	global_load_dwordx2 v[80:81], v[86:87], off
.LBB6_187:                              ;   in Loop: Header=BB6_148 Depth=1
	s_or_b64 exec, exec, s[4:5]
	v_cmp_gt_i32_e32 vcc, s22, v154
	v_mov_b32_e32 v83, 0
	s_and_saveexec_b64 s[4:5], vcc
	s_cbranch_execz .LBB6_189
; %bb.188:                              ;   in Loop: Header=BB6_148 Depth=1
	v_add_co_u32_e32 v82, vcc, v100, v113
	v_addc_co_u32_e32 v83, vcc, v101, v114, vcc
	global_load_dwordx2 v[82:83], v[82:83], off
.LBB6_189:                              ;   in Loop: Header=BB6_148 Depth=1
	s_or_b64 exec, exec, s[4:5]
	v_cmp_gt_i32_e32 vcc, s22, v155
	v_mov_b32_e32 v84, 0
	v_mov_b32_e32 v85, 0
	s_and_saveexec_b64 s[4:5], vcc
	s_cbranch_execz .LBB6_191
; %bb.190:                              ;   in Loop: Header=BB6_148 Depth=1
	v_add_co_u32_e32 v84, vcc, v98, v113
	v_addc_co_u32_e32 v85, vcc, v99, v114, vcc
	global_load_dwordx2 v[84:85], v[84:85], off
.LBB6_191:                              ;   in Loop: Header=BB6_148 Depth=1
	s_or_b64 exec, exec, s[4:5]
	v_cmp_gt_i32_e64 s[4:5], s22, v156
	s_branch .LBB6_194
.LBB6_192:                              ;   in Loop: Header=BB6_148 Depth=1
	s_mov_b64 s[4:5], 0
                                        ; implicit-def: $vgpr81
                                        ; implicit-def: $vgpr83
                                        ; implicit-def: $vgpr85
	s_cbranch_execz .LBB6_194
; %bb.193:                              ;   in Loop: Header=BB6_148 Depth=1
	s_waitcnt vmcnt(0)
	v_add_co_u32_e32 v82, vcc, v100, v113
	v_addc_co_u32_e32 v83, vcc, v101, v114, vcc
	v_add_co_u32_e32 v84, vcc, v118, v113
	v_addc_co_u32_e32 v85, vcc, v119, v114, vcc
	global_load_dwordx2 v[80:81], v[86:87], off
	s_or_b64 s[4:5], s[4:5], exec
	global_load_dwordx2 v[82:83], v[82:83], off
	s_nop 0
	global_load_dwordx2 v[84:85], v[84:85], off offset:-4
.LBB6_194:                              ;   in Loop: Header=BB6_148 Depth=1
	v_mov_b32_e32 v86, 0
	v_mov_b32_e32 v87, 0
	s_and_saveexec_b64 s[8:9], s[4:5]
	s_cbranch_execz .LBB6_196
; %bb.195:                              ;   in Loop: Header=BB6_148 Depth=1
	v_add_co_u32_e32 v86, vcc, v94, v113
	v_addc_co_u32_e32 v87, vcc, v95, v114, vcc
	global_load_dwordx2 v[86:87], v[86:87], off
.LBB6_196:                              ;   in Loop: Header=BB6_148 Depth=1
	s_or_b64 exec, exec, s[8:9]
	v_add_f32_e32 v38, 0, v38
	v_add_f32_e32 v39, 0, v39
	;; [unrolled: 1-line block ×6, first 2 shown]
	ds_read_b64 v[38:39], v140
	v_add_f32_e32 v46, 0, v46
	v_add_f32_e32 v47, 0, v47
	;; [unrolled: 1-line block ×7, first 2 shown]
	s_waitcnt vmcnt(0) lgkmcnt(0)
	v_mul_f32_e32 v40, v81, v39
	v_mul_f32_e32 v41, v81, v38
	;; [unrolled: 1-line block ×4, first 2 shown]
	v_add_f32_e32 v23, 0, v23
	v_add_f32_e32 v22, v22, v24
	v_fmac_f32_e32 v40, v80, v38
	v_fma_f32 v41, v80, v39, -v41
	v_fmac_f32_e32 v46, v82, v38
	v_fma_f32 v47, v82, v39, -v47
	v_add_f32_e32 v42, v42, v44
	v_add_f32_e32 v43, v43, v45
	;; [unrolled: 1-line block ×6, first 2 shown]
	ds_read_b128 v[34:37], v115 offset:384
	ds_read_b128 v[22:25], v115 offset:400
	ds_write2_b64 v141, v[40:41], v[46:47] offset1:67
	v_mul_f32_e32 v40, v85, v39
	v_mul_f32_e32 v46, v87, v39
	v_fmac_f32_e32 v40, v84, v38
	v_mul_f32_e32 v41, v85, v38
	v_fmac_f32_e32 v46, v86, v38
	v_mul_f32_e32 v38, v87, v38
	v_fma_f32 v41, v84, v39, -v41
	v_fma_f32 v47, v86, v39, -v38
	ds_write2_b64 v141, v[40:41], v[46:47] offset0:134 offset1:201
	s_waitcnt lgkmcnt(0)
	s_barrier
	ds_read2_b64 v[38:41], v110 offset1:1
	v_add_f32_e32 v11, v48, v11
	v_add_f32_e32 v46, v10, v12
	;; [unrolled: 1-line block ×3, first 2 shown]
	ds_read2_b64 v[10:13], v110 offset0:2 offset1:3
	s_waitcnt lgkmcnt(1)
	v_add_f32_e32 v38, 0, v38
	v_add_f32_e32 v39, 0, v39
	v_cmp_gt_i32_e32 vcc, s22, v0
	v_add_f32_e32 v38, v38, v40
	v_add_f32_e32 v39, v39, v41
	s_or_b64 s[4:5], s[14:15], vcc
	s_waitcnt lgkmcnt(0)
	v_add_f32_e32 v10, v38, v10
	v_add_f32_e32 v11, v39, v11
	s_and_b64 s[8:9], s[2:3], s[4:5]
	v_add_f32_e32 v10, v10, v12
	v_add_f32_e32 v11, v11, v13
	s_barrier
	ds_write2_b64 v138, v[46:47], v[44:45] offset1:16
	ds_write2_b64 v138, v[42:43], v[10:11] offset0:32 offset1:48
	s_waitcnt lgkmcnt(0)
	s_barrier
	s_and_saveexec_b64 s[4:5], s[8:9]
	s_cbranch_execz .LBB6_198
; %bb.197:                              ;   in Loop: Header=BB6_148 Depth=1
	ds_read_b64 v[42:43], v111
	ds_read2_b64 v[10:13], v111 offset0:1 offset1:2
	ds_read2_b64 v[38:41], v111 offset0:3 offset1:4
	v_ashrrev_i32_e32 v54, 31, v53
	s_waitcnt lgkmcnt(1)
	v_add_f32_e32 v10, v10, v42
	v_add_f32_e32 v11, v11, v43
	;; [unrolled: 1-line block ×4, first 2 shown]
	ds_read2_b64 v[10:13], v111 offset0:5 offset1:6
	s_waitcnt lgkmcnt(1)
	v_add_f32_e32 v38, v42, v38
	v_add_f32_e32 v39, v43, v39
	;; [unrolled: 1-line block ×4, first 2 shown]
	s_waitcnt lgkmcnt(0)
	v_add_f32_e32 v10, v38, v10
	ds_read2_b64 v[38:41], v111 offset0:7 offset1:8
	v_add_f32_e32 v11, v42, v11
	v_add_f32_e32 v42, v10, v12
	;; [unrolled: 1-line block ×3, first 2 shown]
	ds_read2_b64 v[10:13], v111 offset0:9 offset1:10
	s_waitcnt lgkmcnt(1)
	v_add_f32_e32 v38, v42, v38
	v_add_f32_e32 v39, v43, v39
	;; [unrolled: 1-line block ×4, first 2 shown]
	s_waitcnt lgkmcnt(0)
	v_add_f32_e32 v10, v38, v10
	ds_read2_b64 v[38:41], v111 offset0:11 offset1:12
	v_add_f32_e32 v11, v42, v11
	v_add_f32_e32 v42, v10, v12
	;; [unrolled: 1-line block ×3, first 2 shown]
	ds_read2_b64 v[10:13], v111 offset0:13 offset1:14
	s_waitcnt lgkmcnt(1)
	v_add_f32_e32 v38, v42, v38
	v_add_f32_e32 v39, v43, v39
	;; [unrolled: 1-line block ×4, first 2 shown]
	ds_read_b64 v[38:39], v112
	s_waitcnt lgkmcnt(1)
	v_add_f32_e32 v10, v40, v10
	v_add_f32_e32 v11, v41, v11
	;; [unrolled: 1-line block ×4, first 2 shown]
	v_lshlrev_b64 v[12:13], 3, v[53:54]
	s_waitcnt lgkmcnt(0)
	v_add_f32_e32 v10, v10, v38
	v_mov_b32_e32 v38, s19
	v_add_co_u32_e32 v12, vcc, s7, v12
	v_add_f32_e32 v11, v11, v39
	v_addc_co_u32_e32 v13, vcc, v38, v13, vcc
	global_store_dwordx2 v[12:13], v[10:11], off
.LBB6_198:                              ;   in Loop: Header=BB6_148 Depth=1
	s_or_b64 exec, exec, s[4:5]
	v_mul_f32_e32 v10, v57, v7
	v_fma_f32 v10, v56, v6, -v10
	v_mul_f32_e32 v11, v59, v9
	v_mul_f32_e32 v7, v56, v7
	v_add_f32_e32 v10, v51, v10
	v_fma_f32 v11, v58, v8, -v11
	v_mul_f32_e32 v9, v58, v9
	v_add_f32_e32 v10, v10, v11
	v_mul_f32_e32 v11, v61, v3
	v_fmac_f32_e32 v7, v57, v6
	v_fma_f32 v11, v60, v2, -v11
	v_mul_f32_e32 v3, v60, v3
	v_add_f32_e32 v6, v52, v7
	v_fmac_f32_e32 v9, v59, v8
	v_add_f32_e32 v10, v10, v11
	v_mul_f32_e32 v11, v63, v5
	v_mul_f32_e32 v5, v62, v5
	v_add_f32_e32 v6, v6, v9
	v_fmac_f32_e32 v3, v61, v2
	v_fma_f32 v11, v62, v4, -v11
	v_add_f32_e32 v2, v6, v3
	v_fmac_f32_e32 v5, v63, v4
	v_mul_f32_e32 v3, v65, v19
	v_add_f32_e32 v10, v10, v11
	v_add_f32_e32 v2, v2, v5
	v_fma_f32 v3, v64, v18, -v3
	v_mul_f32_e32 v5, v67, v21
	v_add_f32_e32 v3, v10, v3
	v_fma_f32 v5, v66, v20, -v5
	v_mul_f32_e32 v4, v64, v19
	v_add_f32_e32 v3, v3, v5
	v_mul_f32_e32 v5, v69, v15
	v_mul_f32_e32 v6, v66, v21
	v_fma_f32 v5, v68, v14, -v5
	v_fmac_f32_e32 v4, v65, v18
	v_mul_f32_e32 v7, v68, v15
	v_add_f32_e32 v3, v3, v5
	v_mul_f32_e32 v5, v71, v17
	v_add_f32_e32 v2, v2, v4
	v_fmac_f32_e32 v6, v67, v20
	v_fma_f32 v5, v70, v16, -v5
	v_mul_f32_e32 v8, v70, v17
	v_add_f32_e32 v2, v2, v6
	v_fmac_f32_e32 v7, v69, v14
	v_add_f32_e32 v3, v3, v5
	v_add_f32_e32 v2, v2, v7
	v_fmac_f32_e32 v8, v71, v16
	v_mul_f32_e32 v5, v72, v31
	v_add_f32_e32 v2, v2, v8
	v_mul_f32_e32 v6, v74, v33
	v_fmac_f32_e32 v5, v73, v30
	v_mul_f32_e32 v7, v76, v27
	v_add_f32_e32 v2, v2, v5
	v_fmac_f32_e32 v6, v75, v32
	v_mul_f32_e32 v8, v78, v29
	v_add_f32_e32 v2, v2, v6
	v_fmac_f32_e32 v7, v77, v26
	v_add_f32_e32 v2, v2, v7
	v_fmac_f32_e32 v8, v79, v28
	v_mul_f32_e32 v5, v80, v35
	v_add_f32_e32 v2, v2, v8
	v_mul_f32_e32 v6, v82, v37
	v_fmac_f32_e32 v5, v81, v34
	v_mul_f32_e32 v7, v84, v23
	v_fmac_f32_e32 v6, v83, v36
	v_add_f32_e32 v2, v2, v5
	v_mul_f32_e32 v8, v86, v25
	v_fmac_f32_e32 v7, v85, v22
	v_add_f32_e32 v2, v2, v6
	v_fmac_f32_e32 v8, v87, v24
	v_add_f32_e32 v2, v2, v7
	v_add_f32_e32 v52, v2, v8
	v_mov_b32_e32 v2, s13
	v_add_co_u32_e32 v116, vcc, s12, v116
	v_addc_co_u32_e32 v117, vcc, v117, v2, vcc
	v_add_co_u32_e32 v94, vcc, s12, v94
	v_addc_co_u32_e32 v95, vcc, v95, v2, vcc
	;; [unrolled: 2-line block ×11, first 2 shown]
	v_add_co_u32_e32 v102, vcc, s12, v102
	v_mul_f32_e32 v4, v73, v31
	v_addc_co_u32_e32 v103, vcc, v103, v2, vcc
	v_fma_f32 v4, v72, v30, -v4
	v_add_co_u32_e32 v128, vcc, s12, v128
	v_add_f32_e32 v3, v3, v4
	v_mul_f32_e32 v4, v75, v33
	v_addc_co_u32_e32 v129, vcc, v129, v2, vcc
	v_fma_f32 v4, v74, v32, -v4
	v_add_co_u32_e32 v130, vcc, s12, v130
	v_add_f32_e32 v3, v3, v4
	;; [unrolled: 5-line block ×7, first 2 shown]
	v_mul_f32_e32 v4, v87, v25
	v_addc_co_u32_e32 v135, vcc, v135, v2, vcc
	v_fma_f32 v4, v86, v24, -v4
	s_add_i32 s4, s6, 1
	s_add_i32 s10, s10, s25
	;; [unrolled: 1-line block ×3, first 2 shown]
	v_add_co_u32_e32 v136, vcc, s12, v136
	v_add_f32_e32 v51, v3, v4
	v_add_u32_e32 v53, 64, v53
	s_cmp_ge_u32 s5, s33
	v_addc_co_u32_e32 v137, vcc, v137, v2, vcc
	s_waitcnt vmcnt(0)
	s_barrier
	s_cbranch_scc1 .LBB6_200
; %bb.199:                              ;   in Loop: Header=BB6_148 Depth=1
	s_mov_b32 s6, s4
	s_cmp_eq_u32 s24, s6
	s_cselect_b32 s22, s38, 0
	s_and_saveexec_b64 s[4:5], s[0:1]
	s_cbranch_execnz .LBB6_144
	s_branch .LBB6_148
.LBB6_200:
	s_movk_i32 s2, 0x218
	v_cmp_gt_i32_e32 vcc, s18, v0
	v_mad_u32_u24 v1, v1, s2, v88
	s_or_b64 s[2:3], s[20:21], vcc
	s_and_b64 s[0:1], s[0:1], s[2:3]
	ds_write_b64 v1, v[51:52]
	s_waitcnt lgkmcnt(0)
	s_barrier
	s_and_saveexec_b64 s[2:3], s[0:1]
	s_cbranch_execz .LBB6_202
; %bb.201:
	ds_read2_b64 v[0:3], v88 offset1:67
	ds_read2_b64 v[4:7], v88 offset0:134 offset1:201
	v_ashrrev_i32_e32 v51, 31, v50
	s_waitcnt lgkmcnt(1)
	v_add_f32_e32 v0, v2, v0
	v_add_f32_e32 v1, v3, v1
	v_lshlrev_b64 v[2:3], 3, v[50:51]
	s_waitcnt lgkmcnt(0)
	v_add_f32_e32 v0, v4, v0
	v_add_f32_e32 v1, v5, v1
	v_mov_b32_e32 v4, s19
	v_add_co_u32_e32 v2, vcc, s7, v2
	v_add_f32_e32 v0, v0, v6
	v_add_f32_e32 v1, v1, v7
	v_addc_co_u32_e32 v3, vcc, v4, v3, vcc
	global_store_dwordx2 v[2:3], v[0:1], off
.LBB6_202:
	s_endpgm
	.section	.rodata,"a",@progbits
	.p2align	6, 0x0
	.amdhsa_kernel _ZL26rocblas_hemvn_kernel_upperILb1ELi64ELi4ELi33ELi32ELi16Ei19rocblas_complex_numIfEPKS1_PS1_EviT6_lT7_lT5_lS6_lS7_lS5_lT8_i
		.amdhsa_group_segment_fixed_size 9600
		.amdhsa_private_segment_fixed_size 0
		.amdhsa_kernarg_size 376
		.amdhsa_user_sgpr_count 6
		.amdhsa_user_sgpr_private_segment_buffer 1
		.amdhsa_user_sgpr_dispatch_ptr 0
		.amdhsa_user_sgpr_queue_ptr 0
		.amdhsa_user_sgpr_kernarg_segment_ptr 1
		.amdhsa_user_sgpr_dispatch_id 0
		.amdhsa_user_sgpr_flat_scratch_init 0
		.amdhsa_user_sgpr_private_segment_size 0
		.amdhsa_uses_dynamic_stack 0
		.amdhsa_system_sgpr_private_segment_wavefront_offset 0
		.amdhsa_system_sgpr_workgroup_id_x 1
		.amdhsa_system_sgpr_workgroup_id_y 0
		.amdhsa_system_sgpr_workgroup_id_z 1
		.amdhsa_system_sgpr_workgroup_info 0
		.amdhsa_system_vgpr_workitem_id 1
		.amdhsa_next_free_vgpr 157
		.amdhsa_next_free_sgpr 93
		.amdhsa_reserve_vcc 1
		.amdhsa_reserve_flat_scratch 0
		.amdhsa_float_round_mode_32 0
		.amdhsa_float_round_mode_16_64 0
		.amdhsa_float_denorm_mode_32 3
		.amdhsa_float_denorm_mode_16_64 3
		.amdhsa_dx10_clamp 1
		.amdhsa_ieee_mode 1
		.amdhsa_fp16_overflow 0
		.amdhsa_exception_fp_ieee_invalid_op 0
		.amdhsa_exception_fp_denorm_src 0
		.amdhsa_exception_fp_ieee_div_zero 0
		.amdhsa_exception_fp_ieee_overflow 0
		.amdhsa_exception_fp_ieee_underflow 0
		.amdhsa_exception_fp_ieee_inexact 0
		.amdhsa_exception_int_div_zero 0
	.end_amdhsa_kernel
	.section	.text._ZL26rocblas_hemvn_kernel_upperILb1ELi64ELi4ELi33ELi32ELi16Ei19rocblas_complex_numIfEPKS1_PS1_EviT6_lT7_lT5_lS6_lS7_lS5_lT8_i,"axG",@progbits,_ZL26rocblas_hemvn_kernel_upperILb1ELi64ELi4ELi33ELi32ELi16Ei19rocblas_complex_numIfEPKS1_PS1_EviT6_lT7_lT5_lS6_lS7_lS5_lT8_i,comdat
.Lfunc_end6:
	.size	_ZL26rocblas_hemvn_kernel_upperILb1ELi64ELi4ELi33ELi32ELi16Ei19rocblas_complex_numIfEPKS1_PS1_EviT6_lT7_lT5_lS6_lS7_lS5_lT8_i, .Lfunc_end6-_ZL26rocblas_hemvn_kernel_upperILb1ELi64ELi4ELi33ELi32ELi16Ei19rocblas_complex_numIfEPKS1_PS1_EviT6_lT7_lT5_lS6_lS7_lS5_lT8_i
                                        ; -- End function
	.set _ZL26rocblas_hemvn_kernel_upperILb1ELi64ELi4ELi33ELi32ELi16Ei19rocblas_complex_numIfEPKS1_PS1_EviT6_lT7_lT5_lS6_lS7_lS5_lT8_i.num_vgpr, 157
	.set _ZL26rocblas_hemvn_kernel_upperILb1ELi64ELi4ELi33ELi32ELi16Ei19rocblas_complex_numIfEPKS1_PS1_EviT6_lT7_lT5_lS6_lS7_lS5_lT8_i.num_agpr, 0
	.set _ZL26rocblas_hemvn_kernel_upperILb1ELi64ELi4ELi33ELi32ELi16Ei19rocblas_complex_numIfEPKS1_PS1_EviT6_lT7_lT5_lS6_lS7_lS5_lT8_i.numbered_sgpr, 44
	.set _ZL26rocblas_hemvn_kernel_upperILb1ELi64ELi4ELi33ELi32ELi16Ei19rocblas_complex_numIfEPKS1_PS1_EviT6_lT7_lT5_lS6_lS7_lS5_lT8_i.num_named_barrier, 0
	.set _ZL26rocblas_hemvn_kernel_upperILb1ELi64ELi4ELi33ELi32ELi16Ei19rocblas_complex_numIfEPKS1_PS1_EviT6_lT7_lT5_lS6_lS7_lS5_lT8_i.private_seg_size, 0
	.set _ZL26rocblas_hemvn_kernel_upperILb1ELi64ELi4ELi33ELi32ELi16Ei19rocblas_complex_numIfEPKS1_PS1_EviT6_lT7_lT5_lS6_lS7_lS5_lT8_i.uses_vcc, 1
	.set _ZL26rocblas_hemvn_kernel_upperILb1ELi64ELi4ELi33ELi32ELi16Ei19rocblas_complex_numIfEPKS1_PS1_EviT6_lT7_lT5_lS6_lS7_lS5_lT8_i.uses_flat_scratch, 0
	.set _ZL26rocblas_hemvn_kernel_upperILb1ELi64ELi4ELi33ELi32ELi16Ei19rocblas_complex_numIfEPKS1_PS1_EviT6_lT7_lT5_lS6_lS7_lS5_lT8_i.has_dyn_sized_stack, 0
	.set _ZL26rocblas_hemvn_kernel_upperILb1ELi64ELi4ELi33ELi32ELi16Ei19rocblas_complex_numIfEPKS1_PS1_EviT6_lT7_lT5_lS6_lS7_lS5_lT8_i.has_recursion, 0
	.set _ZL26rocblas_hemvn_kernel_upperILb1ELi64ELi4ELi33ELi32ELi16Ei19rocblas_complex_numIfEPKS1_PS1_EviT6_lT7_lT5_lS6_lS7_lS5_lT8_i.has_indirect_call, 0
	.section	.AMDGPU.csdata,"",@progbits
; Kernel info:
; codeLenInByte = 9160
; TotalNumSgprs: 48
; NumVgprs: 157
; ScratchSize: 0
; MemoryBound: 1
; FloatMode: 240
; IeeeMode: 1
; LDSByteSize: 9600 bytes/workgroup (compile time only)
; SGPRBlocks: 12
; VGPRBlocks: 39
; NumSGPRsForWavesPerEU: 97
; NumVGPRsForWavesPerEU: 157
; Occupancy: 1
; WaveLimiterHint : 1
; COMPUTE_PGM_RSRC2:SCRATCH_EN: 0
; COMPUTE_PGM_RSRC2:USER_SGPR: 6
; COMPUTE_PGM_RSRC2:TRAP_HANDLER: 0
; COMPUTE_PGM_RSRC2:TGID_X_EN: 1
; COMPUTE_PGM_RSRC2:TGID_Y_EN: 0
; COMPUTE_PGM_RSRC2:TGID_Z_EN: 1
; COMPUTE_PGM_RSRC2:TIDIG_COMP_CNT: 1
	.section	.text._ZL36rocblas_hemvn_kernel_upper_block_sumILi64Ei19rocblas_complex_numIfEPS1_S1_EviT1_lS3_lT2_lT0_lPT3_i,"axG",@progbits,_ZL36rocblas_hemvn_kernel_upper_block_sumILi64Ei19rocblas_complex_numIfEPS1_S1_EviT1_lS3_lT2_lT0_lPT3_i,comdat
	.globl	_ZL36rocblas_hemvn_kernel_upper_block_sumILi64Ei19rocblas_complex_numIfEPS1_S1_EviT1_lS3_lT2_lT0_lPT3_i ; -- Begin function _ZL36rocblas_hemvn_kernel_upper_block_sumILi64Ei19rocblas_complex_numIfEPS1_S1_EviT1_lS3_lT2_lT0_lPT3_i
	.p2align	8
	.type	_ZL36rocblas_hemvn_kernel_upper_block_sumILi64Ei19rocblas_complex_numIfEPS1_S1_EviT1_lS3_lT2_lT0_lPT3_i,@function
_ZL36rocblas_hemvn_kernel_upper_block_sumILi64Ei19rocblas_complex_numIfEPS1_S1_EviT1_lS3_lT2_lT0_lPT3_i: ; @_ZL36rocblas_hemvn_kernel_upper_block_sumILi64Ei19rocblas_complex_numIfEPS1_S1_EviT1_lS3_lT2_lT0_lPT3_i
; %bb.0:
	s_load_dwordx4 s[8:11], s[4:5], 0x0
	s_load_dwordx2 s[12:13], s[4:5], 0x18
	s_waitcnt lgkmcnt(0)
	s_or_b32 s0, s9, s10
	s_bitset0_b32 s0, 31
	s_cmp_eq_u32 s0, 0
	s_cselect_b64 s[14:15], -1, 0
	s_cmp_lg_u32 s0, 0
	s_mov_b64 s[0:1], -1
	s_cbranch_scc1 .LBB7_2
; %bb.1:
	v_cmp_neq_f32_e64 s[0:1], s12, 1.0
	v_cmp_neq_f32_e64 s[2:3], s13, 0
	s_or_b64 s[0:1], s[0:1], s[2:3]
.LBB7_2:
	s_andn2_b64 vcc, exec, s[0:1]
	s_cbranch_vccnz .LBB7_19
; %bb.3:
	s_load_dwordx4 s[0:3], s[4:5], 0x40
	s_load_dwordx4 s[20:23], s[4:5], 0x28
	s_load_dword s19, s[4:5], 0x38
	v_lshl_or_b32 v0, s6, 6, v0
	s_waitcnt lgkmcnt(0)
	s_mul_i32 s1, s1, s7
	s_mul_hi_u32 s11, s0, s7
	s_mul_i32 s0, s0, s7
	s_add_i32 s1, s11, s1
	s_lshl_b64 s[0:1], s[0:1], 3
	s_add_u32 s11, s20, s0
	s_addc_u32 s16, s21, s1
	s_lshl_b64 s[0:1], s[22:23], 3
	s_add_u32 s11, s11, s0
	s_addc_u32 s18, s16, s1
	s_mov_b64 s[16:17], -1
	s_andn2_b64 vcc, exec, s[14:15]
	v_cmp_gt_i32_e64 s[0:1], s8, v0
	s_cbranch_vccnz .LBB7_9
; %bb.4:
	s_and_saveexec_b64 s[14:15], s[0:1]
	s_cbranch_execz .LBB7_8
; %bb.5:
	v_mul_lo_u32 v2, s19, v0
	v_cmp_neq_f32_e64 s[0:1], s12, 0
	v_cmp_neq_f32_e64 s[16:17], s13, 0
	s_or_b64 s[0:1], s[0:1], s[16:17]
	v_ashrrev_i32_e32 v3, 31, v2
	v_lshlrev_b64 v[3:4], 3, v[2:3]
	v_mov_b32_e32 v1, 0
	s_andn2_b64 vcc, exec, s[0:1]
	v_mov_b32_e32 v2, 0
	s_cbranch_vccnz .LBB7_7
; %bb.6:
	v_mov_b32_e32 v2, s18
	v_add_co_u32_e32 v1, vcc, s11, v3
	v_addc_co_u32_e32 v2, vcc, v2, v4, vcc
	global_load_dwordx2 v[5:6], v[1:2], off
	s_waitcnt vmcnt(0)
	v_mul_f32_e32 v1, s13, v6
	v_mul_f32_e32 v2, s12, v6
	v_fma_f32 v1, v5, s12, -v1
	v_fmac_f32_e32 v2, s13, v5
.LBB7_7:
	v_mov_b32_e32 v5, s18
	v_add_co_u32_e32 v3, vcc, s11, v3
	v_addc_co_u32_e32 v4, vcc, v5, v4, vcc
	global_store_dwordx2 v[3:4], v[1:2], off
.LBB7_8:
	s_or_b64 exec, exec, s[14:15]
	s_mov_b64 s[16:17], 0
.LBB7_9:
	s_andn2_b64 vcc, exec, s[16:17]
	s_cbranch_vccnz .LBB7_19
; %bb.10:
	v_cmp_gt_i32_e32 vcc, s8, v0
	s_and_saveexec_b64 s[0:1], vcc
	s_cbranch_execz .LBB7_19
; %bb.11:
	v_mov_b32_e32 v1, 0
	s_cmp_lt_i32 s6, 0
	v_mov_b32_e32 v4, 0
	s_cbranch_scc1 .LBB7_14
; %bb.12:
	s_load_dword s5, s[4:5], 0x58
	s_ashr_i32 s1, s8, 31
	s_add_i32 s4, s6, 1
	s_mul_hi_u32 s6, s8, s7
	s_mul_i32 s14, s1, s7
	s_mov_b32 s0, s8
	s_add_i32 s6, s6, s14
	s_mul_i32 s8, s8, s7
	s_waitcnt lgkmcnt(0)
	s_mul_i32 s6, s6, s5
	s_mul_hi_u32 s7, s8, s5
	s_add_i32 s7, s7, s6
	s_mul_i32 s6, s8, s5
	v_mov_b32_e32 v1, 0
	s_lshl_b64 s[6:7], s[6:7], 3
	v_lshlrev_b64 v[2:3], 3, v[0:1]
	s_add_u32 s2, s2, s6
	s_addc_u32 s3, s3, s7
	v_mov_b32_e32 v4, s3
	v_add_co_u32_e32 v2, vcc, s2, v2
	v_addc_co_u32_e32 v3, vcc, v4, v3, vcc
	v_add_co_u32_e32 v2, vcc, 4, v2
	s_lshl_b64 s[0:1], s[0:1], 3
	v_addc_co_u32_e32 v3, vcc, 0, v3, vcc
	v_mov_b32_e32 v5, s1
	v_mov_b32_e32 v4, v1
.LBB7_13:                               ; =>This Inner Loop Header: Depth=1
	global_load_dwordx2 v[6:7], v[2:3], off offset:-4
	s_add_i32 s4, s4, -1
	v_add_co_u32_e32 v2, vcc, s0, v2
	v_addc_co_u32_e32 v3, vcc, v3, v5, vcc
	s_cmp_eq_u32 s4, 0
	s_waitcnt vmcnt(0)
	v_add_f32_e32 v4, v4, v6
	v_add_f32_e32 v1, v1, v7
	s_cbranch_scc0 .LBB7_13
.LBB7_14:
	v_mul_lo_u32 v2, s19, v0
	v_cmp_neq_f32_e64 s[0:1], s12, 0
	v_cmp_neq_f32_e64 s[2:3], s13, 0
	s_or_b64 s[0:1], s[0:1], s[2:3]
	v_mul_f32_e32 v3, s10, v1
	v_mul_f32_e32 v1, s9, v1
	s_andn2_b64 vcc, exec, s[0:1]
	v_fma_f32 v0, v4, s9, -v3
	v_fmac_f32_e32 v1, s10, v4
	v_ashrrev_i32_e32 v3, 31, v2
	s_cbranch_vccz .LBB7_16
; %bb.15:
	s_cbranch_execz .LBB7_17
	s_branch .LBB7_18
.LBB7_16:
.LBB7_17:
	v_lshlrev_b64 v[4:5], 3, v[2:3]
	v_mov_b32_e32 v6, s18
	v_add_co_u32_e32 v4, vcc, s11, v4
	v_addc_co_u32_e32 v5, vcc, v6, v5, vcc
	global_load_dwordx2 v[4:5], v[4:5], off
	s_waitcnt vmcnt(0)
	v_mul_f32_e32 v6, s13, v5
	v_mul_f32_e32 v5, s12, v5
	v_fma_f32 v6, v4, s12, -v6
	v_fmac_f32_e32 v5, s13, v4
	v_add_f32_e32 v0, v0, v6
	v_add_f32_e32 v1, v1, v5
.LBB7_18:
	v_lshlrev_b64 v[2:3], 3, v[2:3]
	v_mov_b32_e32 v4, s18
	v_add_co_u32_e32 v2, vcc, s11, v2
	v_addc_co_u32_e32 v3, vcc, v4, v3, vcc
	global_store_dwordx2 v[2:3], v[0:1], off
.LBB7_19:
	s_endpgm
	.section	.rodata,"a",@progbits
	.p2align	6, 0x0
	.amdhsa_kernel _ZL36rocblas_hemvn_kernel_upper_block_sumILi64Ei19rocblas_complex_numIfEPS1_S1_EviT1_lS3_lT2_lT0_lPT3_i
		.amdhsa_group_segment_fixed_size 0
		.amdhsa_private_segment_fixed_size 0
		.amdhsa_kernarg_size 344
		.amdhsa_user_sgpr_count 6
		.amdhsa_user_sgpr_private_segment_buffer 1
		.amdhsa_user_sgpr_dispatch_ptr 0
		.amdhsa_user_sgpr_queue_ptr 0
		.amdhsa_user_sgpr_kernarg_segment_ptr 1
		.amdhsa_user_sgpr_dispatch_id 0
		.amdhsa_user_sgpr_flat_scratch_init 0
		.amdhsa_user_sgpr_private_segment_size 0
		.amdhsa_uses_dynamic_stack 0
		.amdhsa_system_sgpr_private_segment_wavefront_offset 0
		.amdhsa_system_sgpr_workgroup_id_x 1
		.amdhsa_system_sgpr_workgroup_id_y 0
		.amdhsa_system_sgpr_workgroup_id_z 1
		.amdhsa_system_sgpr_workgroup_info 0
		.amdhsa_system_vgpr_workitem_id 0
		.amdhsa_next_free_vgpr 8
		.amdhsa_next_free_sgpr 24
		.amdhsa_reserve_vcc 1
		.amdhsa_reserve_flat_scratch 0
		.amdhsa_float_round_mode_32 0
		.amdhsa_float_round_mode_16_64 0
		.amdhsa_float_denorm_mode_32 3
		.amdhsa_float_denorm_mode_16_64 3
		.amdhsa_dx10_clamp 1
		.amdhsa_ieee_mode 1
		.amdhsa_fp16_overflow 0
		.amdhsa_exception_fp_ieee_invalid_op 0
		.amdhsa_exception_fp_denorm_src 0
		.amdhsa_exception_fp_ieee_div_zero 0
		.amdhsa_exception_fp_ieee_overflow 0
		.amdhsa_exception_fp_ieee_underflow 0
		.amdhsa_exception_fp_ieee_inexact 0
		.amdhsa_exception_int_div_zero 0
	.end_amdhsa_kernel
	.section	.text._ZL36rocblas_hemvn_kernel_upper_block_sumILi64Ei19rocblas_complex_numIfEPS1_S1_EviT1_lS3_lT2_lT0_lPT3_i,"axG",@progbits,_ZL36rocblas_hemvn_kernel_upper_block_sumILi64Ei19rocblas_complex_numIfEPS1_S1_EviT1_lS3_lT2_lT0_lPT3_i,comdat
.Lfunc_end7:
	.size	_ZL36rocblas_hemvn_kernel_upper_block_sumILi64Ei19rocblas_complex_numIfEPS1_S1_EviT1_lS3_lT2_lT0_lPT3_i, .Lfunc_end7-_ZL36rocblas_hemvn_kernel_upper_block_sumILi64Ei19rocblas_complex_numIfEPS1_S1_EviT1_lS3_lT2_lT0_lPT3_i
                                        ; -- End function
	.set _ZL36rocblas_hemvn_kernel_upper_block_sumILi64Ei19rocblas_complex_numIfEPS1_S1_EviT1_lS3_lT2_lT0_lPT3_i.num_vgpr, 8
	.set _ZL36rocblas_hemvn_kernel_upper_block_sumILi64Ei19rocblas_complex_numIfEPS1_S1_EviT1_lS3_lT2_lT0_lPT3_i.num_agpr, 0
	.set _ZL36rocblas_hemvn_kernel_upper_block_sumILi64Ei19rocblas_complex_numIfEPS1_S1_EviT1_lS3_lT2_lT0_lPT3_i.numbered_sgpr, 24
	.set _ZL36rocblas_hemvn_kernel_upper_block_sumILi64Ei19rocblas_complex_numIfEPS1_S1_EviT1_lS3_lT2_lT0_lPT3_i.num_named_barrier, 0
	.set _ZL36rocblas_hemvn_kernel_upper_block_sumILi64Ei19rocblas_complex_numIfEPS1_S1_EviT1_lS3_lT2_lT0_lPT3_i.private_seg_size, 0
	.set _ZL36rocblas_hemvn_kernel_upper_block_sumILi64Ei19rocblas_complex_numIfEPS1_S1_EviT1_lS3_lT2_lT0_lPT3_i.uses_vcc, 1
	.set _ZL36rocblas_hemvn_kernel_upper_block_sumILi64Ei19rocblas_complex_numIfEPS1_S1_EviT1_lS3_lT2_lT0_lPT3_i.uses_flat_scratch, 0
	.set _ZL36rocblas_hemvn_kernel_upper_block_sumILi64Ei19rocblas_complex_numIfEPS1_S1_EviT1_lS3_lT2_lT0_lPT3_i.has_dyn_sized_stack, 0
	.set _ZL36rocblas_hemvn_kernel_upper_block_sumILi64Ei19rocblas_complex_numIfEPS1_S1_EviT1_lS3_lT2_lT0_lPT3_i.has_recursion, 0
	.set _ZL36rocblas_hemvn_kernel_upper_block_sumILi64Ei19rocblas_complex_numIfEPS1_S1_EviT1_lS3_lT2_lT0_lPT3_i.has_indirect_call, 0
	.section	.AMDGPU.csdata,"",@progbits
; Kernel info:
; codeLenInByte = 656
; TotalNumSgprs: 28
; NumVgprs: 8
; ScratchSize: 0
; MemoryBound: 0
; FloatMode: 240
; IeeeMode: 1
; LDSByteSize: 0 bytes/workgroup (compile time only)
; SGPRBlocks: 3
; VGPRBlocks: 1
; NumSGPRsForWavesPerEU: 28
; NumVGPRsForWavesPerEU: 8
; Occupancy: 10
; WaveLimiterHint : 0
; COMPUTE_PGM_RSRC2:SCRATCH_EN: 0
; COMPUTE_PGM_RSRC2:USER_SGPR: 6
; COMPUTE_PGM_RSRC2:TRAP_HANDLER: 0
; COMPUTE_PGM_RSRC2:TGID_X_EN: 1
; COMPUTE_PGM_RSRC2:TGID_Y_EN: 0
; COMPUTE_PGM_RSRC2:TGID_Z_EN: 1
; COMPUTE_PGM_RSRC2:TIDIG_COMP_CNT: 0
	.section	.text._ZL26rocblas_hemvn_kernel_lowerILb1ELi64ELi4ELi33ELi32ELi16ElPK19rocblas_complex_numIfES3_PS1_EviT6_lT7_lT5_lS6_lS7_lS5_lT8_i,"axG",@progbits,_ZL26rocblas_hemvn_kernel_lowerILb1ELi64ELi4ELi33ELi32ELi16ElPK19rocblas_complex_numIfES3_PS1_EviT6_lT7_lT5_lS6_lS7_lS5_lT8_i,comdat
	.globl	_ZL26rocblas_hemvn_kernel_lowerILb1ELi64ELi4ELi33ELi32ELi16ElPK19rocblas_complex_numIfES3_PS1_EviT6_lT7_lT5_lS6_lS7_lS5_lT8_i ; -- Begin function _ZL26rocblas_hemvn_kernel_lowerILb1ELi64ELi4ELi33ELi32ELi16ElPK19rocblas_complex_numIfES3_PS1_EviT6_lT7_lT5_lS6_lS7_lS5_lT8_i
	.p2align	8
	.type	_ZL26rocblas_hemvn_kernel_lowerILb1ELi64ELi4ELi33ELi32ELi16ElPK19rocblas_complex_numIfES3_PS1_EviT6_lT7_lT5_lS6_lS7_lS5_lT8_i,@function
_ZL26rocblas_hemvn_kernel_lowerILb1ELi64ELi4ELi33ELi32ELi16ElPK19rocblas_complex_numIfES3_PS1_EviT6_lT7_lT5_lS6_lS7_lS5_lT8_i: ; @_ZL26rocblas_hemvn_kernel_lowerILb1ELi64ELi4ELi33ELi32ELi16ElPK19rocblas_complex_numIfES3_PS1_EviT6_lT7_lT5_lS6_lS7_lS5_lT8_i
; %bb.0:
	s_load_dwordx2 s[2:3], s[4:5], 0x84
	s_add_u32 s0, s4, 0x78
	s_addc_u32 s1, s5, 0
	s_waitcnt lgkmcnt(0)
	s_lshr_b32 s8, s2, 16
	s_and_b32 s2, s2, 0xffff
	s_and_b32 s3, s3, 0xffff
	s_mul_i32 s2, s8, s2
	s_mul_i32 s2, s2, s3
	s_cmpk_lg_i32 s2, 0x100
	s_cbranch_scc1 .LBB8_151
; %bb.1:
	s_load_dwordx16 s[12:27], s[4:5], 0x8
	s_waitcnt lgkmcnt(0)
	s_mul_i32 s3, s15, s7
	s_mul_hi_u32 s8, s14, s7
	s_mul_i32 s2, s14, s7
	s_add_i32 s3, s8, s3
	s_lshl_b64 s[2:3], s[2:3], 3
	s_add_u32 s2, s12, s2
	s_addc_u32 s3, s13, s3
	s_load_dwordx2 s[8:9], s[2:3], 0x0
	s_load_dwordx2 s[28:29], s[4:5], 0x68
	s_load_dwordx8 s[36:43], s[4:5], 0x48
	s_waitcnt lgkmcnt(0)
	s_or_b32 s2, s8, s9
	s_bitset0_b32 s2, 31
	s_cmp_lg_u32 s2, 0
	s_cselect_b64 s[2:3], -1, 0
	s_mov_b64 s[8:9], -1
	s_and_b64 vcc, exec, s[2:3]
	s_cbranch_vccnz .LBB8_3
; %bb.2:
	s_mul_i32 s8, s43, s7
	s_mul_hi_u32 s9, s42, s7
	s_add_i32 s9, s9, s8
	s_mul_i32 s8, s42, s7
	s_lshl_b64 s[8:9], s[8:9], 3
	s_add_u32 s8, s40, s8
	s_addc_u32 s9, s41, s9
	s_load_dwordx2 s[10:11], s[8:9], 0x0
	s_waitcnt lgkmcnt(0)
	v_cmp_neq_f32_e64 s[8:9], s10, 1.0
	v_cmp_neq_f32_e64 s[10:11], s11, 0
	s_or_b64 s[8:9], s[8:9], s[10:11]
.LBB8_3:
	s_andn2_b64 vcc, exec, s[8:9]
	s_cbranch_vccnz .LBB8_151
; %bb.4:
	s_andn2_b64 vcc, exec, s[2:3]
	s_cbranch_vccnz .LBB8_151
; %bb.5:
	s_load_dword s40, s[0:1], 0x0
	s_load_dword s33, s[4:5], 0x0
	s_mul_i32 s0, s39, s7
	s_mul_hi_u32 s1, s38, s7
	s_add_i32 s1, s1, s0
	s_mul_i32 s0, s38, s7
	s_lshl_b64 s[0:1], s[0:1], 3
	s_add_u32 s2, s24, s0
	s_addc_u32 s3, s25, s1
	s_lshl_b64 s[0:1], s[26:27], 3
	s_add_u32 s2, s2, s0
	s_addc_u32 s3, s3, s1
	s_lshl_b32 s26, s6, 6
	s_waitcnt lgkmcnt(0)
	s_ashr_i32 s41, s33, 31
	s_lshr_b32 s0, s41, 26
	v_add_u32_e32 v34, s26, v0
	s_add_i32 s0, s33, s0
	v_ashrrev_i32_e32 v35, 31, v34
	s_and_b32 s5, s0, 0xffffffc0
	v_mul_lo_u32 v4, s36, v35
	v_mul_lo_u32 v5, s37, v34
	v_mad_u64_u32 v[2:3], s[0:1], s36, v34, 0
	s_add_i32 s4, s40, -1
	s_sub_i32 s0, s33, s5
	v_add3_u32 v3, v3, v4, v5
	v_lshlrev_b64 v[2:3], 3, v[2:3]
	s_cmp_eq_u32 s6, s4
	v_mov_b32_e32 v4, s3
	v_add_co_u32_e32 v18, vcc, s2, v2
	s_cselect_b32 s24, s0, 0
	v_addc_co_u32_e32 v19, vcc, v4, v3, vcc
	v_cmp_ne_u32_e64 s[0:1], 0, v1
	v_cmp_eq_u32_e64 s[2:3], 0, v1
	s_and_saveexec_b64 s[4:5], s[2:3]
	s_cbranch_execz .LBB8_10
; %bb.6:
	s_cmp_lg_u32 s24, 0
	s_cselect_b64 s[8:9], -1, 0
	v_cmp_le_i32_e32 vcc, s24, v0
	v_mov_b32_e32 v2, 0x2380
	s_and_b64 s[8:9], s[8:9], vcc
	v_lshl_add_u32 v2, v0, 3, v2
	s_and_saveexec_b64 s[10:11], s[8:9]
	s_xor_b64 s[8:9], exec, s[10:11]
; %bb.7:
	v_mov_b32_e32 v3, 0
	v_mov_b32_e32 v4, v3
	ds_write_b64 v2, v[3:4]
                                        ; implicit-def: $vgpr2
; %bb.8:
	s_andn2_saveexec_b64 s[8:9], s[8:9]
	s_cbranch_execz .LBB8_10
; %bb.9:
	global_load_dwordx2 v[3:4], v[18:19], off
	s_waitcnt vmcnt(0)
	ds_write_b64 v2, v[3:4]
.LBB8_10:
	s_or_b64 exec, exec, s[4:5]
	v_lshl_add_u32 v24, v1, 6, v0
	s_mul_i32 s4, s23, s7
	s_mul_hi_u32 s5, s22, s7
	v_and_b32_e32 v2, 31, v0
	v_lshrrev_b32_e32 v7, 5, v24
	s_add_i32 s5, s5, s4
	s_mul_i32 s4, s22, s7
	v_mov_b32_e32 v3, 0
	s_lshl_b64 s[4:5], s[4:5], 3
	v_mad_u64_u32 v[3:4], s[8:9], s20, v7, v[2:3]
	s_add_u32 s10, s16, s4
	s_addc_u32 s11, s17, s5
	s_lshl_b64 s[4:5], s[18:19], 3
	s_add_u32 s8, s10, s4
	s_addc_u32 s9, s11, s5
	v_mad_u64_u32 v[4:5], s[4:5], s21, v7, v[4:5]
	s_ashr_i32 s27, s26, 31
	s_lshl_b64 s[4:5], s[26:27], 3
	s_add_u32 s4, s8, s4
	v_lshlrev_b64 v[20:21], 3, v[3:4]
	s_addc_u32 s5, s9, s5
	v_mov_b32_e32 v3, s5
	v_add_co_u32_e32 v4, vcc, s4, v20
	s_mul_hi_u32 s4, s20, s26
	s_mul_i32 s5, s20, s27
	s_add_i32 s4, s4, s5
	s_mul_i32 s5, s21, s26
	s_add_i32 s5, s4, s5
	s_mul_i32 s4, s20, s26
	v_addc_co_u32_e32 v5, vcc, v3, v21, vcc
	s_lshl_b64 s[22:23], s[4:5], 3
	v_mov_b32_e32 v6, s23
	v_add_co_u32_e32 v3, vcc, s22, v4
	s_cmp_lg_u32 s24, 0
	v_addc_co_u32_e32 v4, vcc, v5, v6, vcc
	s_cselect_b64 s[30:31], -1, 0
	s_cmp_eq_u32 s24, 0
	s_cselect_b64 s[16:17], -1, 0
	s_mov_b64 s[4:5], -1
	s_and_b64 vcc, exec, s[30:31]
	s_cbranch_vccnz .LBB8_12
; %bb.11:
	s_lshl_b64 s[4:5], s[20:21], 6
	v_mov_b32_e32 v11, s5
	v_add_co_u32_e32 v5, vcc, s4, v3
	v_addc_co_u32_e32 v6, vcc, v4, v11, vcc
	v_add_co_u32_e32 v8, vcc, s4, v5
	v_addc_co_u32_e32 v9, vcc, v6, v11, vcc
	;; [unrolled: 2-line block ×3, first 2 shown]
	global_load_dwordx2 v[12:13], v[3:4], off
	global_load_dwordx2 v[14:15], v[5:6], off
	;; [unrolled: 1-line block ×4, first 2 shown]
	v_mul_u32_u24_e32 v5, 0x108, v7
	v_lshl_add_u32 v5, v2, 3, v5
	s_mov_b64 s[4:5], 0
	s_waitcnt vmcnt(3)
	ds_write_b64 v5, v[12:13]
	s_waitcnt vmcnt(2)
	ds_write_b64 v5, v[14:15] offset:2112
	s_waitcnt vmcnt(1)
	ds_write_b64 v5, v[16:17] offset:4224
	;; [unrolled: 2-line block ×3, first 2 shown]
.LBB8_12:
	s_andn2_b64 vcc, exec, s[4:5]
	v_lshlrev_b32_e32 v8, 3, v2
	s_cbranch_vccnz .LBB8_30
; %bb.13:
	v_lshlrev_b32_e32 v9, 3, v2
	v_sub_co_u32_e32 v5, vcc, v3, v9
	s_ashr_i32 s25, s24, 31
	v_subbrev_co_u32_e32 v6, vcc, 0, v4, vcc
	s_lshl_b64 s[8:9], s[24:25], 3
	v_mov_b32_e32 v10, s9
	v_add_co_u32_e32 v5, vcc, s8, v5
	v_addc_co_u32_e32 v6, vcc, v6, v10, vcc
	v_add_co_u32_e32 v5, vcc, -8, v5
	v_addc_co_u32_e32 v6, vcc, -1, v6, vcc
	v_cmp_gt_i32_e32 vcc, s24, v2
	v_cndmask_b32_e32 v6, v6, v4, vcc
	v_cndmask_b32_e32 v5, v5, v3, vcc
	v_cmp_le_i32_e64 s[4:5], s24, v7
	v_mul_u32_u24_e32 v10, 0x108, v7
	s_and_saveexec_b64 s[10:11], s[4:5]
	s_xor_b64 s[4:5], exec, s[10:11]
; %bb.14:
	v_mov_b32_e32 v11, 0
	v_add_u32_e32 v13, v8, v10
	v_mov_b32_e32 v12, v11
	ds_write_b64 v13, v[11:12]
; %bb.15:
	s_andn2_saveexec_b64 s[4:5], s[4:5]
	s_cbranch_execz .LBB8_17
; %bb.16:
	global_load_dwordx2 v[11:12], v[5:6], off
	v_add_u32_e32 v13, v8, v10
	s_waitcnt vmcnt(0)
	ds_write_b64 v13, v[11:12]
.LBB8_17:
	s_or_b64 exec, exec, s[4:5]
	v_add_u32_e32 v11, 8, v7
	v_cmp_le_i32_e64 s[4:5], s24, v11
	s_and_saveexec_b64 s[10:11], s[4:5]
	s_xor_b64 s[4:5], exec, s[10:11]
; %bb.18:
	v_mov_b32_e32 v11, 0
	v_add_u32_e32 v13, v10, v8
	v_mov_b32_e32 v12, v11
	ds_write_b64 v13, v[11:12] offset:2112
; %bb.19:
	s_andn2_saveexec_b64 s[10:11], s[4:5]
	s_cbranch_execz .LBB8_21
; %bb.20:
	s_lshl_b64 s[4:5], s[20:21], 6
	v_mov_b32_e32 v12, s5
	v_add_co_u32_e64 v11, s[4:5], s4, v5
	v_addc_co_u32_e64 v12, s[4:5], v6, v12, s[4:5]
	global_load_dwordx2 v[11:12], v[11:12], off
	v_add_u32_e32 v13, v10, v8
	s_waitcnt vmcnt(0)
	ds_write_b64 v13, v[11:12] offset:2112
.LBB8_21:
	s_or_b64 exec, exec, s[10:11]
	v_add_u32_e32 v11, 16, v7
	v_cmp_le_i32_e64 s[4:5], s24, v11
	s_and_saveexec_b64 s[10:11], s[4:5]
	s_xor_b64 s[4:5], exec, s[10:11]
; %bb.22:
	v_mov_b32_e32 v11, 0
	v_add_u32_e32 v13, v10, v8
	v_mov_b32_e32 v12, v11
	ds_write_b64 v13, v[11:12] offset:4224
; %bb.23:
	s_andn2_saveexec_b64 s[10:11], s[4:5]
	s_cbranch_execz .LBB8_25
; %bb.24:
	s_lshl_b64 s[4:5], s[20:21], 7
	v_mov_b32_e32 v12, s5
	v_add_co_u32_e64 v11, s[4:5], s4, v5
	v_addc_co_u32_e64 v12, s[4:5], v6, v12, s[4:5]
	global_load_dwordx2 v[11:12], v[11:12], off
	v_add_u32_e32 v13, v10, v8
	s_waitcnt vmcnt(0)
	ds_write_b64 v13, v[11:12] offset:4224
.LBB8_25:
	s_or_b64 exec, exec, s[10:11]
	v_add_u32_e32 v11, 24, v7
	v_cmp_le_i32_e64 s[4:5], s24, v11
	s_and_saveexec_b64 s[10:11], s[4:5]
	s_xor_b64 s[4:5], exec, s[10:11]
; %bb.26:
	v_add_u32_e32 v12, v10, v8
	v_mov_b32_e32 v10, 0
	v_mov_b32_e32 v11, v10
	ds_write_b64 v12, v[10:11] offset:6336
                                        ; implicit-def: $vgpr10
; %bb.27:
	s_andn2_saveexec_b64 s[4:5], s[4:5]
	s_cbranch_execz .LBB8_29
; %bb.28:
	v_mov_b32_e32 v11, 0xc0
	v_mad_u64_u32 v[11:12], s[10:11], s20, v11, v[5:6]
	s_mul_i32 s10, s21, 0xc0
	v_add_u32_e32 v10, v10, v8
	v_add_u32_e32 v12, s10, v12
	global_load_dwordx2 v[11:12], v[11:12], off
	s_waitcnt vmcnt(0)
	ds_write_b64 v10, v[11:12] offset:6336
.LBB8_29:
	s_or_b64 exec, exec, s[4:5]
	v_add_co_u32_e64 v5, s[4:5], v5, v9
	v_addc_co_u32_e64 v6, s[4:5], 0, v6, s[4:5]
	v_mov_b32_e32 v9, s9
	v_subrev_co_u32_e64 v5, s[4:5], s8, v5
	v_subb_co_u32_e64 v6, s[4:5], v6, v9, s[4:5]
	v_add_co_u32_e64 v5, s[4:5], 8, v5
	v_addc_co_u32_e64 v6, s[4:5], 0, v6, s[4:5]
	v_cndmask_b32_e32 v4, v6, v4, vcc
	v_cndmask_b32_e32 v3, v5, v3, vcc
.LBB8_30:
	v_lshlrev_b32_e32 v5, 2, v7
	v_mul_u32_u24_e32 v6, 0x108, v2
	v_cmp_ge_u32_e64 s[18:19], v5, v2
	s_mov_b64 s[4:5], 0
	s_waitcnt lgkmcnt(0)
	s_barrier
                                        ; implicit-def: $vgpr9
	s_and_saveexec_b64 s[8:9], s[18:19]
	s_xor_b64 s[8:9], exec, s[8:9]
	s_cbranch_execz .LBB8_34
; %bb.31:
	v_cmp_eq_u32_e32 vcc, v5, v2
                                        ; implicit-def: $vgpr9
	s_and_saveexec_b64 s[10:11], vcc
	s_xor_b64 s[10:11], exec, s[10:11]
; %bb.32:
	s_mov_b64 s[4:5], exec
	v_add_u32_e32 v9, v8, v6
; %bb.33:
	s_or_b64 exec, exec, s[10:11]
	s_and_b64 s[4:5], s[4:5], exec
.LBB8_34:
	s_or_saveexec_b64 s[8:9], s[8:9]
	v_lshl_or_b32 v12, v2, 8, v8
	v_mov_b32_e32 v10, 0
	s_xor_b64 exec, exec, s[8:9]
	s_cbranch_execz .LBB8_36
; %bb.35:
	s_movk_i32 s10, 0x420
	v_mad_u32_u24 v9, v7, s10, v8
	ds_read_b64 v[13:14], v9
	v_lshl_add_u32 v9, v5, 3, v12
	s_or_b64 s[4:5], s[4:5], exec
	s_waitcnt lgkmcnt(0)
	v_xor_b32_e32 v10, 0x80000000, v14
	ds_write_b32 v9, v13
.LBB8_36:
	s_or_b64 exec, exec, s[8:9]
	s_and_saveexec_b64 s[8:9], s[4:5]
; %bb.37:
	ds_write_b32 v9, v10 offset:4
; %bb.38:
	s_or_b64 exec, exec, s[8:9]
	v_or_b32_e32 v9, 1, v5
	v_cmp_ge_u32_e64 s[8:9], v9, v2
	s_mov_b64 s[4:5], 0
                                        ; implicit-def: $vgpr10
	s_and_saveexec_b64 s[10:11], s[8:9]
	s_xor_b64 s[10:11], exec, s[10:11]
	s_cbranch_execnz .LBB8_100
; %bb.39:
	s_or_saveexec_b64 s[10:11], s[10:11]
	v_mov_b32_e32 v11, 0
	s_xor_b64 exec, exec, s[10:11]
	s_cbranch_execnz .LBB8_103
.LBB8_40:
	s_or_b64 exec, exec, s[10:11]
	s_and_saveexec_b64 s[10:11], s[4:5]
.LBB8_41:
	ds_write_b32 v10, v11 offset:4
.LBB8_42:
	s_or_b64 exec, exec, s[10:11]
	v_or_b32_e32 v10, 2, v5
	v_cmp_ge_u32_e64 s[10:11], v10, v2
	s_mov_b64 s[4:5], 0
                                        ; implicit-def: $vgpr11
	s_and_saveexec_b64 s[12:13], s[10:11]
	s_xor_b64 s[12:13], exec, s[12:13]
	s_cbranch_execnz .LBB8_104
; %bb.43:
	s_or_saveexec_b64 s[12:13], s[12:13]
	v_mov_b32_e32 v13, 0
	s_xor_b64 exec, exec, s[12:13]
	s_cbranch_execnz .LBB8_107
.LBB8_44:
	s_or_b64 exec, exec, s[12:13]
	s_and_saveexec_b64 s[12:13], s[4:5]
.LBB8_45:
	ds_write_b32 v11, v13 offset:4
.LBB8_46:
	s_or_b64 exec, exec, s[12:13]
	v_or_b32_e32 v11, 3, v5
	v_cmp_ge_u32_e64 s[12:13], v11, v2
	s_mov_b64 s[4:5], 0
                                        ; implicit-def: $vgpr13
	s_and_saveexec_b64 s[14:15], s[12:13]
	s_xor_b64 s[14:15], exec, s[14:15]
	s_cbranch_execnz .LBB8_108
; %bb.47:
	s_or_saveexec_b64 s[14:15], s[14:15]
	v_mov_b32_e32 v14, 0
	s_xor_b64 exec, exec, s[14:15]
	s_cbranch_execnz .LBB8_111
.LBB8_48:
	s_or_b64 exec, exec, s[14:15]
	s_and_saveexec_b64 s[14:15], s[4:5]
.LBB8_49:
	ds_write_b32 v13, v14 offset:4
.LBB8_50:
	s_or_b64 exec, exec, s[14:15]
	s_movk_i32 s4, 0x420
	v_mad_u32_u24 v12, v7, s4, v8
	s_movk_i32 s4, 0x108
	s_waitcnt lgkmcnt(0)
	s_barrier
	v_lshlrev_b32_e32 v14, 3, v5
	ds_read_b64 v[12:13], v12
	ds_read_b128 v[25:28], v14 offset:9088
	ds_read_b128 v[29:32], v14 offset:9104
	v_mad_u32_u24 v16, v9, s4, v8
	ds_read2_b64 v[37:40], v16 offset1:33
	v_mov_b32_e32 v36, 0
	s_waitcnt lgkmcnt(2)
	v_mul_f32_e32 v15, v26, v13
	v_fma_f32 v15, v25, v12, -v15
	v_mul_f32_e32 v13, v25, v13
	v_fmac_f32_e32 v13, v26, v12
	v_add_f32_e32 v12, 0, v15
	s_waitcnt lgkmcnt(0)
	v_mul_f32_e32 v15, v28, v38
	v_mul_f32_e32 v17, v27, v38
	v_add_f32_e32 v13, 0, v13
	v_fma_f32 v15, v27, v37, -v15
	v_fmac_f32_e32 v17, v28, v37
	v_add_f32_e32 v15, v12, v15
	v_add_f32_e32 v17, v13, v17
	ds_read_b64 v[12:13], v16 offset:528
	v_mul_f32_e32 v16, v30, v40
	v_mul_f32_e32 v22, v29, v40
	v_fma_f32 v16, v29, v39, -v16
	v_fmac_f32_e32 v22, v30, v39
	v_add_f32_e32 v15, v15, v16
	v_add_f32_e32 v16, v17, v22
	s_waitcnt lgkmcnt(0)
	v_mul_f32_e32 v17, v32, v13
	v_fma_f32 v17, v31, v12, -v17
	v_mul_f32_e32 v13, v31, v13
	v_fmac_f32_e32 v13, v32, v12
	v_add_f32_e32 v12, v15, v17
	v_mul_u32_u24_e32 v15, 33, v2
	v_lshlrev_b32_e32 v25, 3, v15
	v_add_f32_e32 v13, v16, v13
	v_lshl_add_u32 v26, v7, 3, v25
	v_cmp_gt_u32_e64 s[4:5], 32, v24
	v_mov_b32_e32 v37, 0
	s_barrier
	ds_write_b64 v26, v[12:13]
	s_waitcnt lgkmcnt(0)
	s_barrier
	s_and_saveexec_b64 s[14:15], s[4:5]
	s_cbranch_execz .LBB8_52
; %bb.51:
	ds_read2_b64 v[27:30], v25 offset1:7
	ds_read2_b64 v[36:39], v25 offset0:1 offset1:2
	ds_read2_b64 v[40:43], v25 offset0:3 offset1:4
	s_waitcnt lgkmcnt(1)
	v_add_f32_e32 v12, v36, v27
	v_add_f32_e32 v13, v37, v28
	;; [unrolled: 1-line block ×4, first 2 shown]
	ds_read2_b64 v[36:39], v25 offset0:5 offset1:6
	s_waitcnt lgkmcnt(1)
	v_add_f32_e32 v12, v12, v40
	v_add_f32_e32 v13, v13, v41
	;; [unrolled: 1-line block ×4, first 2 shown]
	s_waitcnt lgkmcnt(0)
	v_add_f32_e32 v12, v12, v36
	v_add_f32_e32 v13, v13, v37
	;; [unrolled: 1-line block ×6, first 2 shown]
.LBB8_52:
	s_or_b64 exec, exec, s[14:15]
	s_lshl_b64 s[14:15], s[20:21], 8
	v_mov_b32_e32 v12, s15
	v_add_co_u32_e32 v3, vcc, s14, v3
	v_addc_co_u32_e32 v4, vcc, v4, v12, vcc
	v_add_co_u32_e32 v12, vcc, 0x100, v3
	v_addc_co_u32_e32 v13, vcc, 0, v4, vcc
	v_cndmask_b32_e64 v15, 0, 1, s[16:17]
	v_cmp_ne_u32_e64 s[14:15], 1, v15
	s_andn2_b64 vcc, exec, s[16:17]
	s_mov_b64 s[16:17], -1
	s_barrier
	s_cbranch_vccnz .LBB8_54
; %bb.53:
	s_lshl_b64 s[16:17], s[20:21], 6
	v_mov_b32_e32 v17, s17
	v_add_co_u32_e32 v15, vcc, s16, v3
	v_addc_co_u32_e32 v16, vcc, v4, v17, vcc
	v_add_co_u32_e32 v22, vcc, s16, v15
	v_addc_co_u32_e32 v23, vcc, v16, v17, vcc
	;; [unrolled: 2-line block ×3, first 2 shown]
	global_load_dwordx2 v[29:30], v[3:4], off offset:256
	global_load_dwordx2 v[31:32], v[15:16], off offset:256
	;; [unrolled: 1-line block ×4, first 2 shown]
	s_movk_i32 s16, 0x108
	v_mad_u32_u24 v15, v7, s16, v8
	s_mov_b64 s[16:17], 0
	s_waitcnt vmcnt(3)
	ds_write_b64 v15, v[29:30]
	s_waitcnt vmcnt(2)
	ds_write_b64 v15, v[31:32] offset:2112
	s_waitcnt vmcnt(1)
	ds_write_b64 v15, v[38:39] offset:4224
	;; [unrolled: 2-line block ×3, first 2 shown]
.LBB8_54:
	s_andn2_b64 vcc, exec, s[16:17]
	s_cbranch_vccnz .LBB8_72
; %bb.55:
	v_lshlrev_b32_e32 v15, 3, v2
	v_sub_co_u32_e32 v3, vcc, v3, v15
	s_ashr_i32 s25, s24, 31
	v_subbrev_co_u32_e32 v4, vcc, 0, v4, vcc
	s_lshl_b64 s[34:35], s[24:25], 3
	v_mov_b32_e32 v17, s35
	v_add_co_u32_e32 v3, vcc, s34, v3
	v_addc_co_u32_e32 v4, vcc, v4, v17, vcc
	v_or_b32_e32 v16, 32, v2
	v_add_co_u32_e32 v3, vcc, -8, v3
	v_addc_co_u32_e32 v4, vcc, -1, v4, vcc
	v_cmp_gt_i32_e64 s[16:17], s24, v16
	s_sub_i32 s25, s24, 32
	v_cndmask_b32_e64 v4, v4, v13, s[16:17]
	v_cndmask_b32_e64 v3, v3, v12, s[16:17]
	v_cmp_le_i32_e32 vcc, s25, v7
	v_mul_u32_u24_e32 v16, 0x108, v7
	s_and_saveexec_b64 s[38:39], vcc
	s_xor_b64 s[38:39], exec, s[38:39]
; %bb.56:
	v_mov_b32_e32 v22, 0
	v_add_u32_e32 v17, v8, v16
	v_mov_b32_e32 v23, v22
	ds_write_b64 v17, v[22:23]
; %bb.57:
	s_andn2_saveexec_b64 s[38:39], s[38:39]
	s_cbranch_execz .LBB8_59
; %bb.58:
	global_load_dwordx2 v[22:23], v[3:4], off
	v_add_u32_e32 v17, v8, v16
	s_waitcnt vmcnt(0)
	ds_write_b64 v17, v[22:23]
.LBB8_59:
	s_or_b64 exec, exec, s[38:39]
	v_add_u32_e32 v17, 8, v7
	v_cmp_le_i32_e32 vcc, s25, v17
	s_and_saveexec_b64 s[38:39], vcc
	s_xor_b64 s[38:39], exec, s[38:39]
; %bb.60:
	v_mov_b32_e32 v22, 0
	v_add_u32_e32 v17, v16, v8
	v_mov_b32_e32 v23, v22
	ds_write_b64 v17, v[22:23] offset:2112
; %bb.61:
	s_andn2_saveexec_b64 s[38:39], s[38:39]
	s_cbranch_execz .LBB8_63
; %bb.62:
	s_lshl_b64 s[42:43], s[20:21], 6
	v_mov_b32_e32 v17, s43
	v_add_co_u32_e32 v22, vcc, s42, v3
	v_addc_co_u32_e32 v23, vcc, v4, v17, vcc
	global_load_dwordx2 v[22:23], v[22:23], off
	v_add_u32_e32 v17, v16, v8
	s_waitcnt vmcnt(0)
	ds_write_b64 v17, v[22:23] offset:2112
.LBB8_63:
	s_or_b64 exec, exec, s[38:39]
	v_add_u32_e32 v17, 16, v7
	v_cmp_le_i32_e32 vcc, s25, v17
	s_and_saveexec_b64 s[38:39], vcc
	s_xor_b64 s[38:39], exec, s[38:39]
; %bb.64:
	v_mov_b32_e32 v22, 0
	v_add_u32_e32 v17, v16, v8
	v_mov_b32_e32 v23, v22
	ds_write_b64 v17, v[22:23] offset:4224
; %bb.65:
	s_andn2_saveexec_b64 s[38:39], s[38:39]
	s_cbranch_execz .LBB8_67
; %bb.66:
	s_lshl_b64 s[42:43], s[20:21], 7
	v_mov_b32_e32 v17, s43
	v_add_co_u32_e32 v22, vcc, s42, v3
	v_addc_co_u32_e32 v23, vcc, v4, v17, vcc
	global_load_dwordx2 v[22:23], v[22:23], off
	v_add_u32_e32 v17, v16, v8
	s_waitcnt vmcnt(0)
	ds_write_b64 v17, v[22:23] offset:4224
.LBB8_67:
	s_or_b64 exec, exec, s[38:39]
	v_add_u32_e32 v17, 24, v7
	v_cmp_le_i32_e32 vcc, s25, v17
	s_and_saveexec_b64 s[38:39], vcc
	s_xor_b64 s[38:39], exec, s[38:39]
; %bb.68:
	v_add_u32_e32 v22, v16, v8
	v_mov_b32_e32 v16, 0
	v_mov_b32_e32 v17, v16
	ds_write_b64 v22, v[16:17] offset:6336
                                        ; implicit-def: $vgpr16
; %bb.69:
	s_andn2_saveexec_b64 s[38:39], s[38:39]
	s_cbranch_execz .LBB8_71
; %bb.70:
	v_mov_b32_e32 v17, 0xc0
	v_mad_u64_u32 v[22:23], s[42:43], s20, v17, v[3:4]
	s_mul_i32 s25, s21, 0xc0
	v_add_u32_e32 v16, v16, v8
	v_add_u32_e32 v23, s25, v23
	global_load_dwordx2 v[22:23], v[22:23], off
	s_waitcnt vmcnt(0)
	ds_write_b64 v16, v[22:23] offset:6336
.LBB8_71:
	s_or_b64 exec, exec, s[38:39]
	v_add_co_u32_e32 v3, vcc, v3, v15
	v_addc_co_u32_e32 v4, vcc, 0, v4, vcc
	v_mov_b32_e32 v15, s35
	v_subrev_co_u32_e32 v3, vcc, s34, v3
	v_subb_co_u32_e32 v4, vcc, v4, v15, vcc
	v_add_co_u32_e32 v3, vcc, 0x108, v3
	v_addc_co_u32_e32 v4, vcc, 0, v4, vcc
	v_cndmask_b32_e64 v13, v4, v13, s[16:17]
	v_cndmask_b32_e64 v12, v3, v12, s[16:17]
.LBB8_72:
	v_mul_u32_u24_e32 v3, 0x420, v7
	v_add_u32_e32 v4, 0x2380, v14
	v_mul_u32_u24_e32 v14, 0x108, v9
	s_lshl_b64 s[16:17], s[20:21], 5
	s_mov_b64 s[34:35], 0
	s_waitcnt lgkmcnt(0)
	s_barrier
                                        ; implicit-def: $vgpr15
	s_and_saveexec_b64 s[38:39], s[18:19]
	s_xor_b64 s[18:19], exec, s[38:39]
	s_cbranch_execz .LBB8_76
; %bb.73:
	v_cmp_eq_u32_e32 vcc, v5, v2
                                        ; implicit-def: $vgpr15
	s_and_saveexec_b64 s[38:39], vcc
	s_xor_b64 s[38:39], exec, s[38:39]
; %bb.74:
	s_mov_b64 s[34:35], exec
	v_add_u32_e32 v15, v8, v6
; %bb.75:
	s_or_b64 exec, exec, s[38:39]
	s_and_b64 s[34:35], s[34:35], exec
.LBB8_76:
	s_or_saveexec_b64 s[18:19], s[18:19]
	v_mov_b32_e32 v16, 0
	v_add_u32_e32 v3, v8, v3
	s_xor_b64 exec, exec, s[18:19]
	s_cbranch_execz .LBB8_78
; %bb.77:
	ds_read_b64 v[22:23], v3
	v_lshl_add_u32 v15, v5, 3, v25
	s_or_b64 s[34:35], s[34:35], exec
	s_waitcnt lgkmcnt(0)
	v_xor_b32_e32 v16, 0x80000000, v23
	ds_write_b32 v15, v22
.LBB8_78:
	s_or_b64 exec, exec, s[18:19]
	s_and_saveexec_b64 s[18:19], s[34:35]
; %bb.79:
	ds_write_b32 v15, v16 offset:4
; %bb.80:
	s_or_b64 exec, exec, s[18:19]
	s_mov_b64 s[18:19], 0
                                        ; implicit-def: $vgpr15
	s_and_saveexec_b64 s[34:35], s[8:9]
	s_xor_b64 s[8:9], exec, s[34:35]
	s_cbranch_execz .LBB8_84
; %bb.81:
	v_cmp_eq_u32_e32 vcc, v9, v2
                                        ; implicit-def: $vgpr15
	s_and_saveexec_b64 s[34:35], vcc
; %bb.82:
	s_mov_b64 s[18:19], exec
	v_add_u32_e32 v15, v8, v6
; %bb.83:
	s_or_b64 exec, exec, s[34:35]
	s_and_b64 s[18:19], s[18:19], exec
.LBB8_84:
	s_or_saveexec_b64 s[8:9], s[8:9]
	v_mov_b32_e32 v16, 0
	v_add_u32_e32 v9, v8, v14
	s_xor_b64 exec, exec, s[8:9]
	s_cbranch_execz .LBB8_86
; %bb.85:
	ds_read_b64 v[22:23], v9
	v_lshl_add_u32 v14, v5, 3, v25
	v_add_u32_e32 v15, 8, v14
	s_or_b64 s[18:19], s[18:19], exec
	s_waitcnt lgkmcnt(0)
	v_xor_b32_e32 v16, 0x80000000, v23
	ds_write_b32 v14, v22 offset:8
.LBB8_86:
	s_or_b64 exec, exec, s[8:9]
	s_and_saveexec_b64 s[8:9], s[18:19]
; %bb.87:
	ds_write_b32 v15, v16 offset:4
; %bb.88:
	s_or_b64 exec, exec, s[8:9]
	s_mov_b64 s[8:9], 0
                                        ; implicit-def: $vgpr14
	s_and_saveexec_b64 s[18:19], s[10:11]
	s_xor_b64 s[10:11], exec, s[18:19]
	s_cbranch_execnz .LBB8_112
; %bb.89:
	s_or_saveexec_b64 s[10:11], s[10:11]
	v_mov_b32_e32 v10, 0
	s_xor_b64 exec, exec, s[10:11]
	s_cbranch_execnz .LBB8_115
.LBB8_90:
	s_or_b64 exec, exec, s[10:11]
	s_and_saveexec_b64 s[10:11], s[8:9]
.LBB8_91:
	ds_write_b32 v14, v10 offset:4
.LBB8_92:
	s_or_b64 exec, exec, s[10:11]
	s_mov_b64 s[8:9], 0
                                        ; implicit-def: $vgpr10
	s_and_saveexec_b64 s[10:11], s[12:13]
	s_xor_b64 s[10:11], exec, s[10:11]
	s_cbranch_execnz .LBB8_116
; %bb.93:
	s_or_saveexec_b64 s[10:11], s[10:11]
	v_mov_b32_e32 v6, 0
	s_xor_b64 exec, exec, s[10:11]
	s_cbranch_execnz .LBB8_119
.LBB8_94:
	s_or_b64 exec, exec, s[10:11]
	s_and_saveexec_b64 s[10:11], s[8:9]
.LBB8_95:
	ds_write_b32 v10, v6 offset:4
.LBB8_96:
	s_or_b64 exec, exec, s[10:11]
	s_waitcnt lgkmcnt(0)
	s_barrier
	ds_read_b64 v[10:11], v3
	ds_read_b128 v[14:17], v4 offset:256
	ds_read_b128 v[27:30], v4 offset:272
	ds_read_b64 v[22:23], v9 offset:528
	ds_read2_b64 v[38:41], v9 offset1:33
	v_cmp_eq_u32_e64 s[10:11], 1, v7
	s_waitcnt lgkmcnt(3)
	v_mul_f32_e32 v3, v15, v11
	v_mul_f32_e32 v6, v14, v11
	v_fma_f32 v3, v14, v10, -v3
	v_fmac_f32_e32 v6, v15, v10
	s_waitcnt lgkmcnt(0)
	v_mul_f32_e32 v9, v17, v39
	v_mul_f32_e32 v10, v16, v39
	v_add_f32_e32 v3, 0, v3
	v_add_f32_e32 v6, 0, v6
	v_fma_f32 v9, v16, v38, -v9
	v_fmac_f32_e32 v10, v17, v38
	v_add_f32_e32 v3, v3, v9
	v_add_f32_e32 v6, v6, v10
	v_mul_f32_e32 v9, v28, v41
	v_mul_f32_e32 v10, v27, v41
	v_fma_f32 v9, v27, v40, -v9
	v_fmac_f32_e32 v10, v28, v40
	v_add_f32_e32 v3, v3, v9
	v_add_f32_e32 v6, v6, v10
	v_mul_f32_e32 v9, v30, v23
	v_mul_f32_e32 v10, v29, v23
	v_fma_f32 v9, v29, v22, -v9
	v_fmac_f32_e32 v10, v30, v22
	v_add_f32_e32 v9, v3, v9
	v_add_f32_e32 v10, v6, v10
	s_barrier
	ds_write_b64 v26, v[9:10]
	s_waitcnt lgkmcnt(0)
	s_barrier
	s_and_saveexec_b64 s[8:9], s[10:11]
	s_cbranch_execz .LBB8_98
; %bb.97:
	ds_read2_b64 v[14:17], v25 offset1:7
	ds_read2_b64 v[27:30], v25 offset0:1 offset1:2
	ds_read2_b64 v[36:39], v25 offset0:3 offset1:4
	s_waitcnt lgkmcnt(1)
	v_add_f32_e32 v3, v27, v14
	v_add_f32_e32 v6, v28, v15
	;; [unrolled: 1-line block ×4, first 2 shown]
	ds_read2_b64 v[27:30], v25 offset0:5 offset1:6
	s_waitcnt lgkmcnt(1)
	v_add_f32_e32 v3, v3, v36
	v_add_f32_e32 v6, v6, v37
	;; [unrolled: 1-line block ×4, first 2 shown]
	s_waitcnt lgkmcnt(0)
	v_add_f32_e32 v3, v3, v27
	v_add_f32_e32 v6, v6, v28
	;; [unrolled: 1-line block ×6, first 2 shown]
.LBB8_98:
	s_or_b64 exec, exec, s[8:9]
	s_lshl_b64 s[8:9], s[16:17], 3
	v_mov_b32_e32 v3, s9
	v_subrev_co_u32_e64 v22, s[8:9], s8, v12
	s_and_b64 vcc, exec, s[14:15]
	v_subb_co_u32_e64 v23, s[8:9], v13, v3, s[8:9]
	s_barrier
	s_cbranch_vccnz .LBB8_120
; %bb.99:
	s_lshl_b64 s[8:9], s[20:21], 6
	v_mov_b32_e32 v3, s9
	v_add_co_u32_e32 v9, vcc, s8, v22
	v_addc_co_u32_e32 v10, vcc, v23, v3, vcc
	v_add_co_u32_e32 v11, vcc, s8, v9
	v_addc_co_u32_e32 v12, vcc, v10, v3, vcc
	;; [unrolled: 2-line block ×3, first 2 shown]
	global_load_dwordx2 v[15:16], v[22:23], off
	global_load_dwordx2 v[27:28], v[9:10], off
	;; [unrolled: 1-line block ×4, first 2 shown]
	s_movk_i32 s8, 0x108
	v_mov_b32_e32 v3, 0x840
	v_mov_b32_e32 v13, 0x1080
	;; [unrolled: 1-line block ×3, first 2 shown]
	v_mul_u32_u24_e32 v6, 0x108, v7
	v_add_u32_e32 v9, 8, v7
	v_add_u32_e32 v10, 16, v7
	;; [unrolled: 1-line block ×3, first 2 shown]
	v_mad_u32_u24 v17, v7, s8, v8
	v_mad_u32_u24 v11, v7, s8, v3
	;; [unrolled: 1-line block ×4, first 2 shown]
	v_add_u32_e32 v14, v8, v11
	v_add_u32_e32 v33, v8, v3
	;; [unrolled: 1-line block ×3, first 2 shown]
	s_waitcnt vmcnt(3)
	ds_write_b64 v17, v[15:16]
	s_waitcnt vmcnt(2)
	ds_write_b64 v14, v[27:28]
	;; [unrolled: 2-line block ×4, first 2 shown]
	s_cbranch_execz .LBB8_121
	s_branch .LBB8_138
.LBB8_100:
	v_cmp_eq_u32_e32 vcc, v9, v2
                                        ; implicit-def: $vgpr10
	s_and_saveexec_b64 s[12:13], vcc
; %bb.101:
	s_mov_b64 s[4:5], exec
	v_add_u32_e32 v10, v8, v6
; %bb.102:
	s_or_b64 exec, exec, s[12:13]
	s_and_b64 s[4:5], s[4:5], exec
	s_or_saveexec_b64 s[10:11], s[10:11]
	v_mov_b32_e32 v11, 0
	s_xor_b64 exec, exec, s[10:11]
	s_cbranch_execz .LBB8_40
.LBB8_103:
	s_movk_i32 s12, 0x108
	v_mad_u32_u24 v10, v9, s12, v8
	ds_read_b64 v[13:14], v10
	v_lshl_add_u32 v15, v5, 3, v12
	v_add_u32_e32 v10, 8, v15
	s_or_b64 s[4:5], s[4:5], exec
	s_waitcnt lgkmcnt(0)
	v_xor_b32_e32 v11, 0x80000000, v14
	ds_write_b32 v15, v13 offset:8
	s_or_b64 exec, exec, s[10:11]
	s_and_saveexec_b64 s[10:11], s[4:5]
	s_cbranch_execnz .LBB8_41
	s_branch .LBB8_42
.LBB8_104:
	v_cmp_eq_u32_e32 vcc, v10, v2
                                        ; implicit-def: $vgpr11
	s_and_saveexec_b64 s[14:15], vcc
; %bb.105:
	s_mov_b64 s[4:5], exec
	v_add_u32_e32 v11, v8, v6
; %bb.106:
	s_or_b64 exec, exec, s[14:15]
	s_and_b64 s[4:5], s[4:5], exec
	s_or_saveexec_b64 s[12:13], s[12:13]
	v_mov_b32_e32 v13, 0
	s_xor_b64 exec, exec, s[12:13]
	s_cbranch_execz .LBB8_44
.LBB8_107:
	s_movk_i32 s14, 0x108
	v_mad_u32_u24 v11, v10, s14, v8
	ds_read_b64 v[14:15], v11
	v_lshl_add_u32 v16, v5, 3, v12
	v_add_u32_e32 v11, 16, v16
	s_or_b64 s[4:5], s[4:5], exec
	s_waitcnt lgkmcnt(0)
	v_xor_b32_e32 v13, 0x80000000, v15
	ds_write_b32 v16, v14 offset:16
	s_or_b64 exec, exec, s[12:13]
	s_and_saveexec_b64 s[12:13], s[4:5]
	s_cbranch_execnz .LBB8_45
	s_branch .LBB8_46
.LBB8_108:
	v_cmp_eq_u32_e32 vcc, v11, v2
                                        ; implicit-def: $vgpr13
	s_and_saveexec_b64 s[34:35], vcc
; %bb.109:
	s_mov_b64 s[4:5], exec
	v_add_u32_e32 v13, v8, v6
; %bb.110:
	s_or_b64 exec, exec, s[34:35]
	s_and_b64 s[4:5], s[4:5], exec
                                        ; implicit-def: $vgpr12
	s_or_saveexec_b64 s[14:15], s[14:15]
	v_mov_b32_e32 v14, 0
	s_xor_b64 exec, exec, s[14:15]
	s_cbranch_execz .LBB8_48
.LBB8_111:
	s_movk_i32 s25, 0x108
	v_mad_u32_u24 v13, v11, s25, v8
	ds_read_b64 v[15:16], v13
	v_lshl_add_u32 v12, v5, 3, v12
	v_add_u32_e32 v13, 24, v12
	s_or_b64 s[4:5], s[4:5], exec
	s_waitcnt lgkmcnt(0)
	v_xor_b32_e32 v14, 0x80000000, v16
	ds_write_b32 v12, v15 offset:24
	s_or_b64 exec, exec, s[14:15]
	s_and_saveexec_b64 s[14:15], s[4:5]
	s_cbranch_execnz .LBB8_49
	s_branch .LBB8_50
.LBB8_112:
	v_cmp_eq_u32_e32 vcc, v10, v2
                                        ; implicit-def: $vgpr14
	s_and_saveexec_b64 s[18:19], vcc
; %bb.113:
	s_mov_b64 s[8:9], exec
	v_add_u32_e32 v14, v8, v6
; %bb.114:
	s_or_b64 exec, exec, s[18:19]
	s_and_b64 s[8:9], s[8:9], exec
	s_or_saveexec_b64 s[10:11], s[10:11]
	v_mov_b32_e32 v10, 0
	s_xor_b64 exec, exec, s[10:11]
	s_cbranch_execz .LBB8_90
.LBB8_115:
	ds_read_b64 v[15:16], v9 offset:264
	v_lshl_add_u32 v17, v5, 3, v25
	v_add_u32_e32 v14, 16, v17
	s_or_b64 s[8:9], s[8:9], exec
	s_waitcnt lgkmcnt(0)
	v_xor_b32_e32 v10, 0x80000000, v16
	ds_write_b32 v17, v15 offset:16
	s_or_b64 exec, exec, s[10:11]
	s_and_saveexec_b64 s[10:11], s[8:9]
	s_cbranch_execnz .LBB8_91
	s_branch .LBB8_92
.LBB8_116:
	v_cmp_eq_u32_e32 vcc, v11, v2
                                        ; implicit-def: $vgpr10
	s_and_saveexec_b64 s[12:13], vcc
; %bb.117:
	s_mov_b64 s[8:9], exec
	v_add_u32_e32 v10, v8, v6
; %bb.118:
	s_or_b64 exec, exec, s[12:13]
	s_and_b64 s[8:9], s[8:9], exec
	s_or_saveexec_b64 s[10:11], s[10:11]
	v_mov_b32_e32 v6, 0
	s_xor_b64 exec, exec, s[10:11]
	s_cbranch_execz .LBB8_94
.LBB8_119:
	ds_read_b64 v[14:15], v9 offset:528
	v_lshl_add_u32 v11, v5, 3, v25
	v_add_u32_e32 v10, 24, v11
	s_or_b64 s[8:9], s[8:9], exec
	s_waitcnt lgkmcnt(0)
	v_xor_b32_e32 v6, 0x80000000, v15
	ds_write_b32 v11, v14 offset:24
	s_or_b64 exec, exec, s[10:11]
	s_and_saveexec_b64 s[10:11], s[8:9]
	s_cbranch_execnz .LBB8_95
	s_branch .LBB8_96
.LBB8_120:
                                        ; implicit-def: $vgpr6
                                        ; implicit-def: $vgpr9
                                        ; implicit-def: $vgpr11
                                        ; implicit-def: $vgpr10
                                        ; implicit-def: $vgpr3
                                        ; implicit-def: $vgpr12
                                        ; implicit-def: $vgpr13
.LBB8_121:
	v_lshlrev_b32_e32 v11, 3, v2
	v_or_b32_e32 v3, 32, v2
	v_sub_co_u32_e32 v2, vcc, v22, v11
	s_ashr_i32 s25, s24, 31
	v_subbrev_co_u32_e32 v6, vcc, 0, v23, vcc
	s_lshl_b64 s[12:13], s[24:25], 3
	v_mov_b32_e32 v9, s13
	v_add_co_u32_e32 v2, vcc, s12, v2
	v_addc_co_u32_e32 v6, vcc, v6, v9, vcc
	v_add_co_u32_e32 v2, vcc, 0xfffffef8, v2
	v_addc_co_u32_e32 v6, vcc, -1, v6, vcc
	v_cmp_gt_i32_e64 s[8:9], s24, v3
	v_cndmask_b32_e64 v3, v6, v23, s[8:9]
	v_cndmask_b32_e64 v2, v2, v22, s[8:9]
	v_cmp_le_i32_e32 vcc, s24, v7
	v_mul_u32_u24_e32 v6, 0x108, v7
	s_and_saveexec_b64 s[14:15], vcc
	s_xor_b64 s[14:15], exec, s[14:15]
; %bb.122:
	v_mov_b32_e32 v9, 0
	v_add_u32_e32 v12, v8, v6
	v_mov_b32_e32 v10, v9
	ds_write_b64 v12, v[9:10]
; %bb.123:
	s_andn2_saveexec_b64 s[14:15], s[14:15]
	s_cbranch_execz .LBB8_125
; %bb.124:
	global_load_dwordx2 v[9:10], v[2:3], off
	v_add_u32_e32 v12, v8, v6
	s_waitcnt vmcnt(0)
	ds_write_b64 v12, v[9:10]
.LBB8_125:
	s_or_b64 exec, exec, s[14:15]
	v_add_u32_e32 v9, 8, v7
	v_cmp_le_i32_e32 vcc, s24, v9
	s_and_saveexec_b64 s[14:15], vcc
	s_xor_b64 s[14:15], exec, s[14:15]
; %bb.126:
	v_mov_b32_e32 v12, 0
	v_add_u32_e32 v10, v6, v8
	v_mov_b32_e32 v13, v12
	ds_write_b64 v10, v[12:13] offset:2112
; %bb.127:
	s_andn2_saveexec_b64 s[14:15], s[14:15]
	s_cbranch_execz .LBB8_129
; %bb.128:
	s_lshl_b64 s[16:17], s[20:21], 6
	v_mov_b32_e32 v10, s17
	v_add_co_u32_e32 v12, vcc, s16, v2
	v_addc_co_u32_e32 v13, vcc, v3, v10, vcc
	global_load_dwordx2 v[12:13], v[12:13], off
	v_add_u32_e32 v10, v6, v8
	s_waitcnt vmcnt(0)
	ds_write_b64 v10, v[12:13] offset:2112
.LBB8_129:
	s_or_b64 exec, exec, s[14:15]
	v_add_u32_e32 v10, 16, v7
	v_cmp_le_i32_e32 vcc, s24, v10
	s_and_saveexec_b64 s[14:15], vcc
	s_xor_b64 s[14:15], exec, s[14:15]
; %bb.130:
	v_mov_b32_e32 v12, 0
	v_add_u32_e32 v14, v6, v8
	v_mov_b32_e32 v13, v12
	ds_write_b64 v14, v[12:13] offset:4224
; %bb.131:
	s_andn2_saveexec_b64 s[14:15], s[14:15]
	s_cbranch_execz .LBB8_133
; %bb.132:
	s_lshl_b64 s[16:17], s[20:21], 7
	v_mov_b32_e32 v13, s17
	v_add_co_u32_e32 v12, vcc, s16, v2
	v_addc_co_u32_e32 v13, vcc, v3, v13, vcc
	global_load_dwordx2 v[12:13], v[12:13], off
	v_add_u32_e32 v14, v6, v8
	s_waitcnt vmcnt(0)
	ds_write_b64 v14, v[12:13] offset:4224
.LBB8_133:
	s_or_b64 exec, exec, s[14:15]
	v_add_u32_e32 v12, 24, v7
	v_cmp_le_i32_e32 vcc, s24, v12
                                        ; implicit-def: $vgpr13
	s_and_saveexec_b64 s[14:15], vcc
	s_xor_b64 s[14:15], exec, s[14:15]
; %bb.134:
	v_add_u32_e32 v13, 0x18c0, v6
	v_mov_b32_e32 v14, 0
	v_add_u32_e32 v16, v8, v13
	v_mov_b32_e32 v15, v14
	ds_write_b64 v16, v[14:15]
; %bb.135:
	s_andn2_saveexec_b64 s[14:15], s[14:15]
	s_cbranch_execz .LBB8_137
; %bb.136:
	v_mov_b32_e32 v13, 0xc0
	v_mad_u64_u32 v[13:14], s[16:17], s20, v13, v[2:3]
	s_mul_i32 s16, s21, 0xc0
	v_add_u32_e32 v14, s16, v14
	global_load_dwordx2 v[14:15], v[13:14], off
	v_add_u32_e32 v13, 0x18c0, v6
	v_add_u32_e32 v16, v8, v13
	s_waitcnt vmcnt(0)
	ds_write_b64 v16, v[14:15]
.LBB8_137:
	s_or_b64 exec, exec, s[14:15]
	v_add_co_u32_e32 v2, vcc, v2, v11
	v_addc_co_u32_e32 v3, vcc, 0, v3, vcc
	v_mov_b32_e32 v11, s13
	v_subrev_co_u32_e32 v2, vcc, s12, v2
	v_subb_co_u32_e32 v3, vcc, v3, v11, vcc
	v_add_co_u32_e32 v2, vcc, 0x108, v2
	v_addc_co_u32_e32 v3, vcc, 0, v3, vcc
	v_cndmask_b32_e64 v23, v3, v23, s[8:9]
	v_cndmask_b32_e64 v22, v2, v22, s[8:9]
	v_add_u32_e32 v11, 0x840, v6
	v_add_u32_e32 v3, 0x1080, v6
.LBB8_138:
	v_add_u32_e32 v2, v8, v6
	v_lshlrev_b32_e32 v14, 3, v7
	s_waitcnt lgkmcnt(0)
	s_barrier
	ds_read_b64 v[6:7], v2
	ds_read_b64 v[14:15], v14 offset:9088
	v_add_u32_e32 v2, v8, v11
	v_lshlrev_b32_e32 v9, 3, v9
	ds_read_b64 v[27:28], v2
	ds_read_b64 v[29:30], v9 offset:9088
	v_add_u32_e32 v3, v8, v3
	v_lshlrev_b32_e32 v10, 3, v10
	;; [unrolled: 4-line block ×3, first 2 shown]
	ds_read2_b32 v[40:41], v3 offset1:1
	ds_read_b64 v[42:43], v8 offset:9088
	s_waitcnt lgkmcnt(6)
	v_mul_f32_e32 v2, v15, v7
	v_fma_f32 v2, v14, v6, -v2
	s_waitcnt lgkmcnt(4)
	v_mul_f32_e32 v9, v30, v28
	v_add_f32_e32 v2, 0, v2
	v_fma_f32 v9, v29, v27, -v9
	s_waitcnt lgkmcnt(2)
	v_mul_f32_e32 v3, v39, v32
	v_add_f32_e32 v2, v2, v9
	v_fma_f32 v3, v38, v31, -v3
	v_mul_f32_e32 v33, v14, v7
	v_add_f32_e32 v2, v2, v3
	s_waitcnt lgkmcnt(0)
	v_mul_f32_e32 v3, v43, v41
	v_fmac_f32_e32 v33, v15, v6
	v_mul_f32_e32 v28, v29, v28
	v_fma_f32 v3, v42, v40, -v3
	v_lshl_add_u32 v8, v5, 3, v25
	v_add_f32_e32 v33, 0, v33
	v_fmac_f32_e32 v28, v30, v27
	v_add_f32_e32 v44, v2, v3
	ds_read_b128 v[10:13], v4 offset:256
	ds_read_b128 v[2:5], v4 offset:272
	ds_read2_b64 v[14:17], v8 offset1:1
	ds_read2_b64 v[6:9], v8 offset0:2 offset1:3
	v_add_f32_e32 v27, v33, v28
	v_mul_f32_e32 v28, v38, v32
	v_fmac_f32_e32 v28, v39, v31
	v_add_f32_e32 v27, v27, v28
	v_mul_f32_e32 v28, v42, v41
	v_fmac_f32_e32 v28, v43, v40
	v_add_f32_e32 v45, v27, v28
	s_waitcnt lgkmcnt(0)
	s_barrier
	ds_write_b64 v26, v[44:45]
	s_waitcnt lgkmcnt(0)
	s_barrier
	s_and_saveexec_b64 s[8:9], s[10:11]
	s_cbranch_execz .LBB8_140
; %bb.139:
	ds_read2_b64 v[27:30], v25 offset1:1
	ds_read2_b64 v[38:41], v25 offset0:2 offset1:3
	ds_read2_b64 v[42:45], v25 offset0:4 offset1:5
	s_waitcnt lgkmcnt(2)
	v_add_f32_e32 v27, v36, v27
	v_add_f32_e32 v28, v37, v28
	;; [unrolled: 1-line block ×4, first 2 shown]
	s_waitcnt lgkmcnt(1)
	v_add_f32_e32 v27, v27, v38
	v_add_f32_e32 v28, v28, v39
	;; [unrolled: 1-line block ×4, first 2 shown]
	ds_read2_b64 v[27:30], v25 offset0:6 offset1:7
	s_waitcnt lgkmcnt(1)
	v_add_f32_e32 v31, v31, v42
	v_add_f32_e32 v32, v32, v43
	v_add_f32_e32 v31, v31, v44
	v_add_f32_e32 v32, v32, v45
	s_waitcnt lgkmcnt(0)
	v_add_f32_e32 v27, v31, v27
	v_add_f32_e32 v28, v32, v28
	;; [unrolled: 1-line block ×4, first 2 shown]
.LBB8_140:
	s_or_b64 exec, exec, s[8:9]
	v_mul_f32_e32 v27, v15, v11
	v_fmac_f32_e32 v27, v14, v10
	v_mul_f32_e32 v10, v15, v10
	v_fma_f32 v10, v14, v11, -v10
	v_mul_f32_e32 v14, v17, v13
	v_fmac_f32_e32 v14, v16, v12
	v_mul_f32_e32 v12, v17, v12
	v_add_f32_e32 v10, 0, v10
	v_fma_f32 v12, v16, v13, -v12
	v_add_f32_e32 v10, v10, v12
	v_mul_f32_e32 v12, v7, v3
	v_fmac_f32_e32 v12, v6, v2
	v_mul_f32_e32 v2, v7, v2
	v_fma_f32 v2, v6, v3, -v2
	v_add_f32_e32 v11, 0, v27
	v_add_f32_e32 v6, v10, v2
	v_mul_f32_e32 v2, v9, v5
	v_add_f32_e32 v11, v11, v14
	v_fmac_f32_e32 v2, v8, v4
	v_mul_f32_e32 v4, v9, v4
	v_add_f32_e32 v3, v11, v12
	v_fma_f32 v4, v8, v5, -v4
	v_add_f32_e32 v2, v3, v2
	v_add_f32_e32 v3, v6, v4
	s_barrier
	ds_write_b64 v26, v[2:3]
	s_waitcnt lgkmcnt(0)
	s_barrier
	s_and_saveexec_b64 s[8:9], s[4:5]
	s_cbranch_execz .LBB8_142
; %bb.141:
	ds_read2_b64 v[2:5], v25 offset1:1
	ds_read2_b64 v[6:9], v25 offset0:2 offset1:3
	ds_read2_b64 v[10:13], v25 offset0:4 offset1:5
	s_waitcnt lgkmcnt(2)
	v_add_f32_e32 v2, v36, v2
	v_add_f32_e32 v3, v37, v3
	;; [unrolled: 1-line block ×4, first 2 shown]
	s_waitcnt lgkmcnt(1)
	v_add_f32_e32 v2, v2, v6
	v_add_f32_e32 v3, v3, v7
	v_add_f32_e32 v6, v2, v8
	v_add_f32_e32 v7, v3, v9
	ds_read2_b64 v[2:5], v25 offset0:6 offset1:7
	s_waitcnt lgkmcnt(1)
	v_add_f32_e32 v6, v6, v10
	v_add_f32_e32 v7, v7, v11
	;; [unrolled: 1-line block ×4, first 2 shown]
	s_waitcnt lgkmcnt(0)
	v_add_f32_e32 v2, v6, v2
	v_add_f32_e32 v3, v7, v3
	v_add_f32_e32 v36, v2, v4
	v_add_f32_e32 v37, v3, v5
.LBB8_142:
	s_or_b64 exec, exec, s[8:9]
	s_mul_hi_u32 s4, s33, s7
	s_mul_i32 s41, s41, s7
	s_add_i32 s4, s4, s41
	s_mul_i32 s7, s33, s7
	s_mul_i32 s4, s4, s40
	s_mul_hi_u32 s5, s7, s40
	s_add_i32 s5, s5, s4
	s_mul_i32 s4, s7, s40
	s_lshl_b64 s[4:5], s[4:5], 3
	s_add_u32 s7, s28, s4
	s_mul_i32 s4, s33, s6
	s_addc_u32 s8, s29, s5
	s_ashr_i32 s5, s4, 31
	s_lshl_b64 s[4:5], s[4:5], 3
	s_add_u32 s7, s7, s4
	v_cmp_le_i32_e32 vcc, s24, v0
	s_addc_u32 s14, s8, s5
	s_and_b64 vcc, s[30:31], vcc
	s_cmp_lt_i32 s6, 1
	v_lshlrev_b32_e32 v74, 3, v0
	s_barrier
	s_cbranch_scc1 .LBB8_149
; %bb.143:
	s_mul_i32 s4, s36, s27
	s_mul_hi_u32 s5, s36, s26
	s_add_i32 s4, s5, s4
	s_mul_i32 s5, s37, s26
	s_add_i32 s5, s4, s5
	s_mul_i32 s4, s36, s26
	s_lshl_b64 s[4:5], s[4:5], 3
	v_mov_b32_e32 v2, s5
	v_subrev_co_u32_e64 v75, s[4:5], s4, v18
	v_lshlrev_b32_e32 v7, 2, v1
	v_subb_co_u32_e64 v76, s[4:5], v19, v2, s[4:5]
	v_mad_u64_u32 v[2:3], s[4:5], s20, v7, 0
	v_mov_b32_e32 v4, s23
	v_subrev_co_u32_e64 v8, s[4:5], s22, v22
	v_subb_co_u32_e64 v9, s[4:5], v23, v4, s[4:5]
	v_mad_u64_u32 v[3:4], s[4:5], s21, v7, v[3:4]
	v_sub_co_u32_e64 v4, s[4:5], v8, v20
	v_lshlrev_b64 v[2:3], 3, v[2:3]
	v_subb_co_u32_e64 v7, s[4:5], v9, v21, s[4:5]
	v_add_co_u32_e64 v2, s[4:5], v4, v2
	v_addc_co_u32_e64 v3, s[4:5], v7, v3, s[4:5]
	s_ashr_i32 s25, s24, 31
	s_lshl_b64 s[4:5], s[24:25], 3
	v_mov_b32_e32 v4, s5
	v_add_co_u32_e64 v7, s[4:5], s4, v2
	v_addc_co_u32_e64 v4, s[4:5], v3, v4, s[4:5]
	s_movk_i32 s4, 0xfef8
	v_add_co_u32_e64 v7, s[4:5], s4, v7
	v_addc_co_u32_e64 v4, s[4:5], -1, v4, s[4:5]
	v_add_co_u32_e64 v2, s[4:5], v2, v74
	v_addc_co_u32_e64 v3, s[4:5], 0, v3, s[4:5]
	s_movk_i32 s4, 0xff00
	v_add_co_u32_e64 v2, s[4:5], s4, v2
	v_addc_co_u32_e64 v3, s[4:5], -1, v3, s[4:5]
	v_lshrrev_b32_e32 v5, 4, v24
	v_cndmask_b32_e32 v3, v3, v4, vcc
	v_mov_b32_e32 v4, 0x2180
	v_and_b32_e32 v6, 15, v0
	v_lshl_add_u32 v78, v1, 5, v4
	v_lshlrev_b32_e32 v4, 5, v5
	s_movk_i32 s8, 0x218
	v_mad_u32_u24 v81, v6, s8, v4
	v_mul_i32_i24_e32 v4, 0xffffffe8, v5
	v_and_b32_e32 v5, 48, v0
	v_lshlrev_b32_e32 v5, 3, v5
	v_mad_u32_u24 v82, v6, s8, v5
	v_or_b32_e32 v5, 0x78, v74
	v_mad_u32_u24 v83, v6, s8, v5
	s_mul_i32 s8, s21, 0x68
	s_mul_hi_u32 s9, s20, 0x68
	s_movk_i32 s4, 0x860
	s_lshl_b64 s[10:11], s[20:21], 3
	s_add_i32 s8, s9, s8
	v_mov_b32_e32 v39, 0
	v_cndmask_b32_e32 v2, v2, v7, vcc
	v_add_u32_e32 v77, 0x2180, v74
	v_add_u32_e32 v79, 0x2380, v74
	v_mad_u32_u24 v80, v1, s4, v74
	v_cmp_gt_u32_e64 s[4:5], 64, v24
	s_mul_i32 s15, s20, 0x68
	s_mov_b32 s16, 0
	v_mov_b32_e32 v84, s11
	v_mov_b32_e32 v85, s8
	v_add_u32_e32 v86, v81, v4
	s_branch .LBB8_145
.LBB8_144:                              ;   in Loop: Header=BB8_145 Depth=1
	s_or_b64 exec, exec, s[12:13]
	v_mul_f32_e32 v38, v41, v7
	v_fma_f32 v38, v40, v6, -v38
	v_add_f32_e32 v36, v36, v38
	v_mul_f32_e32 v38, v43, v9
	v_mul_f32_e32 v7, v40, v7
	v_fma_f32 v38, v42, v8, -v38
	v_mul_f32_e32 v9, v42, v9
	v_add_f32_e32 v36, v36, v38
	v_mul_f32_e32 v38, v45, v3
	v_fmac_f32_e32 v7, v41, v6
	v_fma_f32 v38, v44, v2, -v38
	v_mul_f32_e32 v3, v44, v3
	v_add_f32_e32 v6, v37, v7
	v_fmac_f32_e32 v9, v43, v8
	v_add_f32_e32 v36, v36, v38
	v_mul_f32_e32 v38, v47, v5
	v_mul_f32_e32 v5, v46, v5
	v_add_f32_e32 v6, v6, v9
	v_fmac_f32_e32 v3, v45, v2
	v_fma_f32 v38, v46, v4, -v38
	v_add_f32_e32 v2, v6, v3
	v_fmac_f32_e32 v5, v47, v4
	v_mul_f32_e32 v3, v49, v15
	v_add_f32_e32 v36, v36, v38
	v_add_f32_e32 v2, v2, v5
	v_fma_f32 v3, v48, v14, -v3
	v_mul_f32_e32 v5, v53, v17
	v_add_f32_e32 v3, v36, v3
	v_fma_f32 v5, v52, v16, -v5
	v_add_f32_e32 v3, v3, v5
	v_mul_f32_e32 v5, v51, v11
	v_mul_f32_e32 v4, v48, v15
	v_fma_f32 v5, v50, v10, -v5
	v_add_f32_e32 v3, v3, v5
	v_mul_f32_e32 v5, v55, v13
	v_fmac_f32_e32 v4, v49, v14
	v_fma_f32 v5, v54, v12, -v5
	v_add_f32_e32 v2, v2, v4
	v_mul_f32_e32 v4, v61, v23
	v_add_f32_e32 v3, v3, v5
	v_fma_f32 v4, v60, v22, -v4
	v_add_f32_e32 v3, v3, v4
	v_mul_f32_e32 v4, v57, v25
	v_mul_f32_e32 v6, v52, v17
	v_fma_f32 v4, v56, v24, -v4
	v_mul_f32_e32 v7, v50, v11
	v_fmac_f32_e32 v6, v53, v16
	v_add_f32_e32 v3, v3, v4
	v_mul_f32_e32 v4, v59, v19
	v_mul_f32_e32 v8, v54, v13
	v_add_f32_e32 v2, v2, v6
	v_fmac_f32_e32 v7, v51, v10
	v_fma_f32 v4, v58, v18, -v4
	v_add_f32_e32 v2, v2, v7
	v_fmac_f32_e32 v8, v55, v12
	v_mul_f32_e32 v5, v60, v23
	v_add_f32_e32 v3, v3, v4
	v_mul_f32_e32 v4, v63, v21
	v_add_f32_e32 v2, v2, v8
	v_mul_f32_e32 v6, v56, v25
	v_fma_f32 v4, v62, v20, -v4
	v_fmac_f32_e32 v5, v61, v22
	v_mul_f32_e32 v7, v58, v19
	v_add_f32_e32 v3, v3, v4
	v_add_f32_e32 v2, v2, v5
	v_fmac_f32_e32 v6, v57, v24
	v_mul_f32_e32 v4, v69, v31
	v_mul_f32_e32 v8, v62, v21
	v_add_f32_e32 v2, v2, v6
	v_fmac_f32_e32 v7, v59, v18
	v_fma_f32 v4, v68, v30, -v4
	v_add_f32_e32 v2, v2, v7
	v_fmac_f32_e32 v8, v63, v20
	v_mul_f32_e32 v5, v68, v31
	v_add_f32_e32 v3, v3, v4
	v_mul_f32_e32 v4, v67, v33
	v_add_f32_e32 v2, v2, v8
	v_fma_f32 v4, v66, v32, -v4
	v_mul_f32_e32 v6, v66, v33
	v_fmac_f32_e32 v5, v69, v30
	v_add_f32_e32 v3, v3, v4
	v_mul_f32_e32 v4, v71, v27
	v_mul_f32_e32 v7, v70, v27
	v_fmac_f32_e32 v6, v67, v32
	v_add_f32_e32 v2, v2, v5
	v_fma_f32 v4, v70, v26, -v4
	v_mul_f32_e32 v8, v72, v29
	v_fmac_f32_e32 v7, v71, v26
	v_add_f32_e32 v2, v2, v6
	v_add_f32_e32 v3, v3, v4
	v_mul_f32_e32 v4, v73, v29
	v_fmac_f32_e32 v8, v73, v28
	v_add_f32_e32 v2, v2, v7
	v_fma_f32 v4, v72, v28, -v4
	v_add_f32_e32 v37, v2, v8
	s_add_i32 s16, s16, 64
	s_add_i32 s6, s6, -1
	v_add_co_u32_e64 v2, s[8:9], s15, v64
	v_add_f32_e32 v36, v3, v4
	s_cmp_eq_u32 s6, 0
	v_addc_co_u32_e64 v3, s[8:9], v65, v85, s[8:9]
	s_waitcnt vmcnt(0)
	s_barrier
	s_cbranch_scc1 .LBB8_149
.LBB8_145:                              ; =>This Inner Loop Header: Depth=1
	s_and_saveexec_b64 s[12:13], s[2:3]
	s_cbranch_execz .LBB8_147
; %bb.146:                              ;   in Loop: Header=BB8_145 Depth=1
	s_mul_i32 s8, s37, s16
	s_mul_hi_u32 s9, s36, s16
	s_add_i32 s9, s9, s8
	s_mul_i32 s8, s36, s16
	s_lshl_b64 s[8:9], s[8:9], 3
	v_mov_b32_e32 v5, s9
	v_add_co_u32_e64 v4, s[8:9], s8, v75
	v_addc_co_u32_e64 v5, s[8:9], v76, v5, s[8:9]
	global_load_dwordx2 v[4:5], v[4:5], off
	s_waitcnt vmcnt(0)
	ds_write_b64 v77, v[4:5]
.LBB8_147:                              ;   in Loop: Header=BB8_145 Depth=1
	s_or_b64 exec, exec, s[12:13]
	s_waitcnt lgkmcnt(0)
	s_barrier
	global_load_dwordx2 v[40:41], v[2:3], off
	v_add_co_u32_e64 v2, s[8:9], s10, v2
	v_addc_co_u32_e64 v3, s[8:9], v3, v84, s[8:9]
	global_load_dwordx2 v[42:43], v[2:3], off
	v_add_co_u32_e64 v2, s[8:9], s10, v2
	v_addc_co_u32_e64 v3, s[8:9], v3, v84, s[8:9]
	v_add_co_u32_e64 v10, s[8:9], s10, v2
	v_addc_co_u32_e64 v11, s[8:9], v3, v84, s[8:9]
	global_load_dwordx2 v[44:45], v[2:3], off
	global_load_dwordx2 v[46:47], v[10:11], off
	ds_read_b64 v[12:13], v79
	ds_read_b128 v[6:9], v78
	ds_read_b128 v[2:5], v78 offset:16
	v_add_co_u32_e64 v10, s[8:9], s15, v10
	v_addc_co_u32_e64 v11, s[8:9], v11, v85, s[8:9]
	v_add_co_u32_e64 v14, s[8:9], s10, v10
	v_addc_co_u32_e64 v15, s[8:9], v11, v84, s[8:9]
	v_add_co_u32_e64 v16, s[8:9], s10, v14
	v_addc_co_u32_e64 v17, s[8:9], v15, v84, s[8:9]
	s_waitcnt vmcnt(3) lgkmcnt(2)
	v_mul_f32_e32 v18, v41, v13
	v_mul_f32_e32 v19, v41, v12
	v_fmac_f32_e32 v18, v40, v12
	v_fma_f32 v19, v40, v13, -v19
	s_waitcnt vmcnt(2)
	v_mul_f32_e32 v20, v43, v13
	v_mul_f32_e32 v21, v43, v12
	v_fmac_f32_e32 v20, v42, v12
	v_fma_f32 v21, v42, v13, -v21
	ds_write2_b64 v80, v[18:19], v[20:21] offset1:67
	s_waitcnt vmcnt(1)
	v_mul_f32_e32 v22, v45, v13
	v_mul_f32_e32 v23, v45, v12
	s_waitcnt vmcnt(0)
	v_mul_f32_e32 v18, v47, v13
	v_mul_f32_e32 v19, v47, v12
	v_fmac_f32_e32 v22, v44, v12
	v_fma_f32 v23, v44, v13, -v23
	v_fmac_f32_e32 v18, v46, v12
	v_fma_f32 v19, v46, v13, -v19
	ds_write2_b64 v80, v[22:23], v[18:19] offset0:134 offset1:201
	s_waitcnt lgkmcnt(0)
	s_barrier
	ds_read2_b64 v[26:29], v81 offset1:1
	ds_read2_b64 v[30:33], v81 offset0:2 offset1:3
	s_waitcnt lgkmcnt(0)
	s_barrier
	global_load_dwordx2 v[48:49], v[10:11], off
	global_load_dwordx2 v[52:53], v[14:15], off
	;; [unrolled: 1-line block ×3, first 2 shown]
	v_add_co_u32_e64 v10, s[8:9], s10, v16
	v_addc_co_u32_e64 v11, s[8:9], v17, v84, s[8:9]
	global_load_dwordx2 v[54:55], v[10:11], off
	ds_read_b64 v[22:23], v79
	v_add_co_u32_e64 v18, s[8:9], s15, v10
	v_addc_co_u32_e64 v19, s[8:9], v11, v85, s[8:9]
	v_add_co_u32_e64 v20, s[8:9], s10, v18
	v_addc_co_u32_e64 v21, s[8:9], v19, v84, s[8:9]
	;; [unrolled: 2-line block ×3, first 2 shown]
	ds_read_b128 v[14:17], v78 offset:128
	ds_read_b128 v[10:13], v78 offset:144
	v_add_f32_e32 v26, 0, v26
	v_add_f32_e32 v27, 0, v27
	;; [unrolled: 1-line block ×6, first 2 shown]
	s_waitcnt vmcnt(3) lgkmcnt(2)
	v_mul_f32_e32 v56, v49, v23
	v_mul_f32_e32 v38, v49, v22
	s_waitcnt vmcnt(2)
	v_mul_f32_e32 v58, v53, v23
	v_mul_f32_e32 v59, v53, v22
	s_waitcnt vmcnt(1)
	v_mul_f32_e32 v60, v51, v23
	v_mul_f32_e32 v61, v51, v22
	v_fma_f32 v57, v48, v23, -v38
	s_waitcnt vmcnt(0)
	v_mul_f32_e32 v63, v55, v22
	v_mul_f32_e32 v62, v55, v23
	v_fma_f32 v59, v52, v23, -v59
	v_fma_f32 v61, v50, v23, -v61
	v_fmac_f32_e32 v56, v48, v22
	v_fmac_f32_e32 v58, v52, v22
	v_fmac_f32_e32 v60, v50, v22
	v_fma_f32 v63, v54, v23, -v63
	v_fmac_f32_e32 v62, v54, v22
	ds_write2_b64 v80, v[56:57], v[58:59] offset1:67
	ds_write2_b64 v80, v[60:61], v[62:63] offset0:134 offset1:201
	s_waitcnt lgkmcnt(0)
	s_barrier
	ds_read2_b64 v[87:90], v81 offset1:1
	ds_read2_b64 v[91:94], v81 offset0:2 offset1:3
	s_waitcnt lgkmcnt(0)
	s_barrier
	global_load_dwordx2 v[60:61], v[18:19], off
	global_load_dwordx2 v[56:57], v[20:21], off
	;; [unrolled: 1-line block ×3, first 2 shown]
	v_add_co_u32_e64 v18, s[8:9], s10, v24
	v_addc_co_u32_e64 v19, s[8:9], v25, v84, s[8:9]
	global_load_dwordx2 v[62:63], v[18:19], off
	ds_read_b64 v[66:67], v79
	v_add_co_u32_e64 v64, s[8:9], s15, v18
	v_addc_co_u32_e64 v65, s[8:9], v19, v85, s[8:9]
	v_add_co_u32_e64 v72, s[8:9], s10, v64
	v_addc_co_u32_e64 v73, s[8:9], v65, v84, s[8:9]
	v_add_co_u32_e64 v103, s[8:9], s10, v72
	v_addc_co_u32_e64 v104, s[8:9], v73, v84, s[8:9]
	ds_read_b128 v[22:25], v78 offset:256
	ds_read_b128 v[18:21], v78 offset:272
	s_waitcnt vmcnt(3) lgkmcnt(2)
	v_mul_f32_e32 v38, v61, v66
	v_mul_f32_e32 v68, v61, v67
	s_waitcnt vmcnt(2)
	v_mul_f32_e32 v71, v57, v66
	v_mul_f32_e32 v70, v57, v67
	s_waitcnt vmcnt(1)
	v_mul_f32_e32 v96, v59, v66
	v_mul_f32_e32 v95, v59, v67
	v_fma_f32 v69, v60, v67, -v38
	s_waitcnt vmcnt(0)
	v_mul_f32_e32 v98, v63, v66
	v_mul_f32_e32 v97, v63, v67
	v_fma_f32 v71, v56, v67, -v71
	v_fma_f32 v96, v58, v67, -v96
	;; [unrolled: 1-line block ×3, first 2 shown]
	v_fmac_f32_e32 v68, v60, v66
	v_fmac_f32_e32 v70, v56, v66
	;; [unrolled: 1-line block ×4, first 2 shown]
	ds_write2_b64 v80, v[68:69], v[70:71] offset1:67
	ds_write2_b64 v80, v[95:96], v[97:98] offset0:134 offset1:201
	s_waitcnt lgkmcnt(0)
	s_barrier
	ds_read2_b64 v[95:98], v81 offset1:1
	ds_read2_b64 v[99:102], v81 offset0:2 offset1:3
	s_waitcnt lgkmcnt(0)
	s_barrier
	global_load_dwordx2 v[68:69], v[64:65], off
	global_load_dwordx2 v[66:67], v[72:73], off
	;; [unrolled: 1-line block ×3, first 2 shown]
	v_add_co_u32_e64 v64, s[8:9], s10, v103
	v_addc_co_u32_e64 v65, s[8:9], v104, v84, s[8:9]
	global_load_dwordx2 v[72:73], v[64:65], off
	v_add_f32_e32 v103, v26, v32
	v_add_f32_e32 v104, v27, v33
	;; [unrolled: 1-line block ×10, first 2 shown]
	ds_read_b64 v[87:88], v79
	ds_read_b128 v[30:33], v78 offset:384
	ds_read_b128 v[26:29], v78 offset:400
	v_add_f32_e32 v38, 0, v95
	v_add_f32_e32 v89, 0, v96
	;; [unrolled: 1-line block ×8, first 2 shown]
	s_waitcnt vmcnt(3) lgkmcnt(2)
	v_mul_f32_e32 v38, v69, v87
	v_mul_f32_e32 v89, v69, v88
	s_waitcnt vmcnt(2)
	v_mul_f32_e32 v92, v67, v87
	v_mul_f32_e32 v91, v67, v88
	s_waitcnt vmcnt(1)
	v_mul_f32_e32 v94, v71, v87
	v_mul_f32_e32 v93, v71, v88
	v_fma_f32 v90, v68, v88, -v38
	s_waitcnt vmcnt(0)
	v_mul_f32_e32 v98, v73, v87
	v_mul_f32_e32 v97, v73, v88
	v_fma_f32 v92, v66, v88, -v92
	v_fmac_f32_e32 v89, v68, v87
	v_fmac_f32_e32 v91, v66, v87
	v_fma_f32 v94, v70, v88, -v94
	v_fmac_f32_e32 v93, v70, v87
	v_fma_f32 v98, v72, v88, -v98
	v_fmac_f32_e32 v97, v72, v87
	ds_write2_b64 v80, v[89:90], v[91:92] offset1:67
	ds_write2_b64 v80, v[93:94], v[97:98] offset0:134 offset1:201
	s_waitcnt lgkmcnt(0)
	s_barrier
	ds_read2_b64 v[87:90], v81 offset1:1
	ds_read2_b64 v[91:94], v81 offset0:2 offset1:3
	s_waitcnt lgkmcnt(0)
	s_barrier
	v_add_f32_e32 v38, 0, v87
	v_add_f32_e32 v87, 0, v88
	;; [unrolled: 1-line block ×8, first 2 shown]
	ds_write2_b64 v86, v[103:104], v[105:106] offset1:16
	ds_write2_b64 v86, v[95:96], v[87:88] offset0:32 offset1:48
	s_waitcnt lgkmcnt(0)
	s_barrier
	s_and_saveexec_b64 s[12:13], s[4:5]
	s_cbranch_execz .LBB8_144
; %bb.148:                              ;   in Loop: Header=BB8_145 Depth=1
	ds_read_b64 v[95:96], v82
	ds_read2_b64 v[87:90], v82 offset0:1 offset1:2
	ds_read2_b64 v[91:94], v82 offset0:3 offset1:4
	s_waitcnt lgkmcnt(1)
	v_add_f32_e32 v38, v87, v95
	v_add_f32_e32 v87, v88, v96
	v_add_f32_e32 v38, v89, v38
	v_add_f32_e32 v95, v90, v87
	ds_read2_b64 v[87:90], v82 offset0:5 offset1:6
	s_waitcnt lgkmcnt(1)
	v_add_f32_e32 v38, v38, v91
	v_add_f32_e32 v91, v95, v92
	v_add_f32_e32 v38, v38, v93
	v_add_f32_e32 v95, v91, v94
	;; [unrolled: 6-line block ×6, first 2 shown]
	ds_read_b64 v[91:92], v83
	s_waitcnt lgkmcnt(1)
	v_add_f32_e32 v38, v38, v87
	v_add_f32_e32 v87, v93, v88
	v_add_f32_e32 v38, v38, v89
	v_add_f32_e32 v88, v87, v90
	s_waitcnt lgkmcnt(0)
	v_add_f32_e32 v87, v38, v91
	v_add_u32_e32 v38, s16, v0
	v_lshlrev_b64 v[89:90], 3, v[38:39]
	v_mov_b32_e32 v38, s14
	v_add_co_u32_e64 v89, s[8:9], s7, v89
	v_add_f32_e32 v88, v88, v92
	v_addc_co_u32_e64 v90, s[8:9], v38, v90, s[8:9]
	global_store_dwordx2 v[89:90], v[87:88], off
	s_branch .LBB8_144
.LBB8_149:
	s_movk_i32 s2, 0x218
	v_mad_u32_u24 v0, v1, s2, v74
	s_nor_b64 s[0:1], s[0:1], vcc
	ds_write_b64 v0, v[36:37]
	s_waitcnt lgkmcnt(0)
	s_barrier
	s_and_saveexec_b64 s[2:3], s[0:1]
	s_cbranch_execz .LBB8_151
; %bb.150:
	ds_read2_b64 v[0:3], v74 offset1:67
	ds_read2_b64 v[4:7], v74 offset0:134 offset1:201
	s_waitcnt lgkmcnt(1)
	v_add_f32_e32 v0, v2, v0
	v_add_f32_e32 v1, v3, v1
	v_lshlrev_b64 v[2:3], 3, v[34:35]
	s_waitcnt lgkmcnt(0)
	v_add_f32_e32 v0, v4, v0
	v_add_f32_e32 v1, v5, v1
	v_mov_b32_e32 v4, s14
	v_add_co_u32_e32 v2, vcc, s7, v2
	v_add_f32_e32 v0, v0, v6
	v_add_f32_e32 v1, v1, v7
	v_addc_co_u32_e32 v3, vcc, v4, v3, vcc
	global_store_dwordx2 v[2:3], v[0:1], off
.LBB8_151:
	s_endpgm
	.section	.rodata,"a",@progbits
	.p2align	6, 0x0
	.amdhsa_kernel _ZL26rocblas_hemvn_kernel_lowerILb1ELi64ELi4ELi33ELi32ELi16ElPK19rocblas_complex_numIfES3_PS1_EviT6_lT7_lT5_lS6_lS7_lS5_lT8_i
		.amdhsa_group_segment_fixed_size 9600
		.amdhsa_private_segment_fixed_size 0
		.amdhsa_kernarg_size 376
		.amdhsa_user_sgpr_count 6
		.amdhsa_user_sgpr_private_segment_buffer 1
		.amdhsa_user_sgpr_dispatch_ptr 0
		.amdhsa_user_sgpr_queue_ptr 0
		.amdhsa_user_sgpr_kernarg_segment_ptr 1
		.amdhsa_user_sgpr_dispatch_id 0
		.amdhsa_user_sgpr_flat_scratch_init 0
		.amdhsa_user_sgpr_private_segment_size 0
		.amdhsa_uses_dynamic_stack 0
		.amdhsa_system_sgpr_private_segment_wavefront_offset 0
		.amdhsa_system_sgpr_workgroup_id_x 1
		.amdhsa_system_sgpr_workgroup_id_y 0
		.amdhsa_system_sgpr_workgroup_id_z 1
		.amdhsa_system_sgpr_workgroup_info 0
		.amdhsa_system_vgpr_workitem_id 1
		.amdhsa_next_free_vgpr 107
		.amdhsa_next_free_sgpr 93
		.amdhsa_reserve_vcc 1
		.amdhsa_reserve_flat_scratch 0
		.amdhsa_float_round_mode_32 0
		.amdhsa_float_round_mode_16_64 0
		.amdhsa_float_denorm_mode_32 3
		.amdhsa_float_denorm_mode_16_64 3
		.amdhsa_dx10_clamp 1
		.amdhsa_ieee_mode 1
		.amdhsa_fp16_overflow 0
		.amdhsa_exception_fp_ieee_invalid_op 0
		.amdhsa_exception_fp_denorm_src 0
		.amdhsa_exception_fp_ieee_div_zero 0
		.amdhsa_exception_fp_ieee_overflow 0
		.amdhsa_exception_fp_ieee_underflow 0
		.amdhsa_exception_fp_ieee_inexact 0
		.amdhsa_exception_int_div_zero 0
	.end_amdhsa_kernel
	.section	.text._ZL26rocblas_hemvn_kernel_lowerILb1ELi64ELi4ELi33ELi32ELi16ElPK19rocblas_complex_numIfES3_PS1_EviT6_lT7_lT5_lS6_lS7_lS5_lT8_i,"axG",@progbits,_ZL26rocblas_hemvn_kernel_lowerILb1ELi64ELi4ELi33ELi32ELi16ElPK19rocblas_complex_numIfES3_PS1_EviT6_lT7_lT5_lS6_lS7_lS5_lT8_i,comdat
.Lfunc_end8:
	.size	_ZL26rocblas_hemvn_kernel_lowerILb1ELi64ELi4ELi33ELi32ELi16ElPK19rocblas_complex_numIfES3_PS1_EviT6_lT7_lT5_lS6_lS7_lS5_lT8_i, .Lfunc_end8-_ZL26rocblas_hemvn_kernel_lowerILb1ELi64ELi4ELi33ELi32ELi16ElPK19rocblas_complex_numIfES3_PS1_EviT6_lT7_lT5_lS6_lS7_lS5_lT8_i
                                        ; -- End function
	.set _ZL26rocblas_hemvn_kernel_lowerILb1ELi64ELi4ELi33ELi32ELi16ElPK19rocblas_complex_numIfES3_PS1_EviT6_lT7_lT5_lS6_lS7_lS5_lT8_i.num_vgpr, 107
	.set _ZL26rocblas_hemvn_kernel_lowerILb1ELi64ELi4ELi33ELi32ELi16ElPK19rocblas_complex_numIfES3_PS1_EviT6_lT7_lT5_lS6_lS7_lS5_lT8_i.num_agpr, 0
	.set _ZL26rocblas_hemvn_kernel_lowerILb1ELi64ELi4ELi33ELi32ELi16ElPK19rocblas_complex_numIfES3_PS1_EviT6_lT7_lT5_lS6_lS7_lS5_lT8_i.numbered_sgpr, 44
	.set _ZL26rocblas_hemvn_kernel_lowerILb1ELi64ELi4ELi33ELi32ELi16ElPK19rocblas_complex_numIfES3_PS1_EviT6_lT7_lT5_lS6_lS7_lS5_lT8_i.num_named_barrier, 0
	.set _ZL26rocblas_hemvn_kernel_lowerILb1ELi64ELi4ELi33ELi32ELi16ElPK19rocblas_complex_numIfES3_PS1_EviT6_lT7_lT5_lS6_lS7_lS5_lT8_i.private_seg_size, 0
	.set _ZL26rocblas_hemvn_kernel_lowerILb1ELi64ELi4ELi33ELi32ELi16ElPK19rocblas_complex_numIfES3_PS1_EviT6_lT7_lT5_lS6_lS7_lS5_lT8_i.uses_vcc, 1
	.set _ZL26rocblas_hemvn_kernel_lowerILb1ELi64ELi4ELi33ELi32ELi16ElPK19rocblas_complex_numIfES3_PS1_EviT6_lT7_lT5_lS6_lS7_lS5_lT8_i.uses_flat_scratch, 0
	.set _ZL26rocblas_hemvn_kernel_lowerILb1ELi64ELi4ELi33ELi32ELi16ElPK19rocblas_complex_numIfES3_PS1_EviT6_lT7_lT5_lS6_lS7_lS5_lT8_i.has_dyn_sized_stack, 0
	.set _ZL26rocblas_hemvn_kernel_lowerILb1ELi64ELi4ELi33ELi32ELi16ElPK19rocblas_complex_numIfES3_PS1_EviT6_lT7_lT5_lS6_lS7_lS5_lT8_i.has_recursion, 0
	.set _ZL26rocblas_hemvn_kernel_lowerILb1ELi64ELi4ELi33ELi32ELi16ElPK19rocblas_complex_numIfES3_PS1_EviT6_lT7_lT5_lS6_lS7_lS5_lT8_i.has_indirect_call, 0
	.section	.AMDGPU.csdata,"",@progbits
; Kernel info:
; codeLenInByte = 8016
; TotalNumSgprs: 48
; NumVgprs: 107
; ScratchSize: 0
; MemoryBound: 1
; FloatMode: 240
; IeeeMode: 1
; LDSByteSize: 9600 bytes/workgroup (compile time only)
; SGPRBlocks: 12
; VGPRBlocks: 26
; NumSGPRsForWavesPerEU: 97
; NumVGPRsForWavesPerEU: 107
; Occupancy: 2
; WaveLimiterHint : 0
; COMPUTE_PGM_RSRC2:SCRATCH_EN: 0
; COMPUTE_PGM_RSRC2:USER_SGPR: 6
; COMPUTE_PGM_RSRC2:TRAP_HANDLER: 0
; COMPUTE_PGM_RSRC2:TGID_X_EN: 1
; COMPUTE_PGM_RSRC2:TGID_Y_EN: 0
; COMPUTE_PGM_RSRC2:TGID_Z_EN: 1
; COMPUTE_PGM_RSRC2:TIDIG_COMP_CNT: 1
	.section	.text._ZL36rocblas_hemvn_kernel_lower_block_sumILi64ElPK19rocblas_complex_numIfEPS1_S1_EviT1_lS5_lT2_lT0_lPT3_i,"axG",@progbits,_ZL36rocblas_hemvn_kernel_lower_block_sumILi64ElPK19rocblas_complex_numIfEPS1_S1_EviT1_lS5_lT2_lT0_lPT3_i,comdat
	.globl	_ZL36rocblas_hemvn_kernel_lower_block_sumILi64ElPK19rocblas_complex_numIfEPS1_S1_EviT1_lS5_lT2_lT0_lPT3_i ; -- Begin function _ZL36rocblas_hemvn_kernel_lower_block_sumILi64ElPK19rocblas_complex_numIfEPS1_S1_EviT1_lS5_lT2_lT0_lPT3_i
	.p2align	8
	.type	_ZL36rocblas_hemvn_kernel_lower_block_sumILi64ElPK19rocblas_complex_numIfEPS1_S1_EviT1_lS5_lT2_lT0_lPT3_i,@function
_ZL36rocblas_hemvn_kernel_lower_block_sumILi64ElPK19rocblas_complex_numIfEPS1_S1_EviT1_lS5_lT2_lT0_lPT3_i: ; @_ZL36rocblas_hemvn_kernel_lower_block_sumILi64ElPK19rocblas_complex_numIfEPS1_S1_EviT1_lS5_lT2_lT0_lPT3_i
; %bb.0:
	s_load_dwordx8 s[8:15], s[4:5], 0x8
	s_waitcnt lgkmcnt(0)
	s_mul_i32 s0, s11, s7
	s_mul_hi_u32 s1, s10, s7
	s_add_i32 s1, s1, s0
	s_mul_i32 s0, s10, s7
	s_lshl_b64 s[0:1], s[0:1], 3
	s_add_u32 s0, s8, s0
	s_addc_u32 s1, s9, s1
	s_load_dwordx2 s[10:11], s[0:1], 0x0
	s_mul_i32 s0, s15, s7
	s_mul_hi_u32 s1, s14, s7
	s_add_i32 s1, s1, s0
	s_mul_i32 s0, s14, s7
	s_lshl_b64 s[0:1], s[0:1], 3
	s_add_u32 s0, s12, s0
	s_addc_u32 s1, s13, s1
	s_load_dwordx2 s[8:9], s[0:1], 0x0
	s_waitcnt lgkmcnt(0)
	s_or_b32 s0, s10, s11
	s_bitset0_b32 s0, 31
	s_cmp_eq_u32 s0, 0
	s_cselect_b64 s[14:15], -1, 0
	s_cmp_lg_u32 s0, 0
	s_mov_b64 s[0:1], -1
	s_cbranch_scc1 .LBB9_2
; %bb.1:
	v_cmp_neq_f32_e64 s[0:1], s8, 1.0
	v_cmp_neq_f32_e64 s[2:3], s9, 0
	s_or_b64 s[0:1], s[0:1], s[2:3]
.LBB9_2:
	s_andn2_b64 vcc, exec, s[0:1]
	s_cbranch_vccnz .LBB9_19
; %bb.3:
	s_load_dwordx2 s[16:17], s[4:5], 0x40
	s_load_dwordx4 s[0:3], s[4:5], 0x30
	s_load_dwordx2 s[18:19], s[4:5], 0x28
	s_load_dword s12, s[4:5], 0x0
	v_lshl_or_b32 v4, s6, 6, v0
	s_waitcnt lgkmcnt(0)
	s_mul_i32 s13, s17, s7
	s_mul_hi_u32 s17, s16, s7
	s_add_i32 s17, s17, s13
	s_mul_i32 s16, s16, s7
	s_lshl_b64 s[16:17], s[16:17], 3
	s_add_u32 s13, s18, s16
	s_addc_u32 s16, s19, s17
	s_lshl_b64 s[0:1], s[0:1], 3
	s_add_u32 s18, s13, s0
	s_addc_u32 s19, s16, s1
	s_mov_b64 s[16:17], -1
	s_andn2_b64 vcc, exec, s[14:15]
	v_cmp_gt_i32_e64 s[0:1], s12, v4
	s_cbranch_vccnz .LBB9_9
; %bb.4:
	s_and_saveexec_b64 s[14:15], s[0:1]
	s_cbranch_execz .LBB9_8
; %bb.5:
	v_ashrrev_i32_e32 v0, 31, v4
	v_mul_lo_u32 v3, s3, v4
	v_mul_lo_u32 v5, s2, v0
	v_mad_u64_u32 v[1:2], s[0:1], s2, v4, 0
	v_cmp_neq_f32_e64 s[0:1], s8, 0
	v_cmp_neq_f32_e64 s[16:17], s9, 0
	v_add3_u32 v2, v2, v5, v3
	s_or_b64 s[0:1], s[0:1], s[16:17]
	v_lshlrev_b64 v[2:3], 3, v[1:2]
	v_mov_b32_e32 v0, 0
	s_andn2_b64 vcc, exec, s[0:1]
	v_mov_b32_e32 v1, 0
	s_cbranch_vccnz .LBB9_7
; %bb.6:
	v_mov_b32_e32 v1, s19
	v_add_co_u32_e32 v0, vcc, s18, v2
	v_addc_co_u32_e32 v1, vcc, v1, v3, vcc
	global_load_dwordx2 v[5:6], v[0:1], off
	s_waitcnt vmcnt(0)
	v_mul_f32_e32 v0, s9, v6
	v_mul_f32_e32 v1, s8, v6
	v_fma_f32 v0, v5, s8, -v0
	v_fmac_f32_e32 v1, s9, v5
.LBB9_7:
	v_mov_b32_e32 v5, s19
	v_add_co_u32_e32 v2, vcc, s18, v2
	v_addc_co_u32_e32 v3, vcc, v5, v3, vcc
	global_store_dwordx2 v[2:3], v[0:1], off
.LBB9_8:
	s_or_b64 exec, exec, s[14:15]
	s_mov_b64 s[16:17], 0
.LBB9_9:
	s_andn2_b64 vcc, exec, s[16:17]
	s_cbranch_vccnz .LBB9_19
; %bb.10:
	v_cmp_gt_i32_e32 vcc, s12, v4
	s_and_saveexec_b64 s[0:1], vcc
	s_cbranch_execz .LBB9_19
; %bb.11:
	s_load_dword s14, s[4:5], 0x58
	v_mov_b32_e32 v2, 0
	v_mov_b32_e32 v3, 0
	s_waitcnt lgkmcnt(0)
	s_cmp_ge_i32 s6, s14
	s_cbranch_scc1 .LBB9_14
; %bb.12:
	s_load_dwordx2 s[0:1], s[4:5], 0x48
	s_ashr_i32 s13, s12, 31
	s_mul_i32 s4, s12, s6
	v_add_u32_e32 v0, s4, v4
	s_mul_hi_u32 s4, s12, s7
	s_mul_i32 s5, s13, s7
	s_add_i32 s4, s4, s5
	s_mul_i32 s7, s12, s7
	s_mul_i32 s4, s4, s14
	s_mul_hi_u32 s5, s7, s14
	s_add_i32 s5, s5, s4
	s_mul_i32 s4, s7, s14
	v_ashrrev_i32_e32 v1, 31, v0
	s_lshl_b64 s[4:5], s[4:5], 3
	v_lshlrev_b64 v[0:1], 3, v[0:1]
	s_waitcnt lgkmcnt(0)
	s_add_u32 s0, s0, s4
	s_addc_u32 s1, s1, s5
	v_mov_b32_e32 v2, s1
	v_add_co_u32_e32 v0, vcc, s0, v0
	v_addc_co_u32_e32 v1, vcc, v2, v1, vcc
	v_add_co_u32_e32 v0, vcc, 4, v0
	s_lshl_b64 s[0:1], s[12:13], 3
	v_addc_co_u32_e32 v1, vcc, 0, v1, vcc
	v_mov_b32_e32 v2, 0
	v_mov_b32_e32 v5, s1
	;; [unrolled: 1-line block ×3, first 2 shown]
.LBB9_13:                               ; =>This Inner Loop Header: Depth=1
	global_load_dwordx2 v[6:7], v[0:1], off offset:-4
	s_add_i32 s6, s6, 1
	v_add_co_u32_e32 v0, vcc, s0, v0
	v_addc_co_u32_e32 v1, vcc, v1, v5, vcc
	s_cmp_ge_i32 s6, s14
	s_waitcnt vmcnt(0)
	v_add_f32_e32 v3, v3, v6
	v_add_f32_e32 v2, v2, v7
	s_cbranch_scc0 .LBB9_13
.LBB9_14:
	v_ashrrev_i32_e32 v1, 31, v4
	v_mul_lo_u32 v5, s3, v4
	v_mul_lo_u32 v6, s2, v1
	v_cmp_neq_f32_e64 s[0:1], s8, 0
	v_cmp_neq_f32_e64 s[4:5], s9, 0
	s_or_b64 s[0:1], s[0:1], s[4:5]
	v_mul_f32_e32 v0, s11, v2
	v_mul_f32_e32 v1, s10, v2
	s_andn2_b64 vcc, exec, s[0:1]
	v_fma_f32 v0, v3, s10, -v0
	v_fmac_f32_e32 v1, s11, v3
	s_cbranch_vccz .LBB9_16
; %bb.15:
	v_mad_u64_u32 v[2:3], s[0:1], s2, v4, 0
	v_add3_u32 v3, v3, v6, v5
	s_cbranch_execz .LBB9_17
	s_branch .LBB9_18
.LBB9_16:
                                        ; implicit-def: $vgpr2_vgpr3
.LBB9_17:
	v_mad_u64_u32 v[2:3], s[0:1], s2, v4, 0
	v_mov_b32_e32 v7, s19
	v_add3_u32 v3, v3, v6, v5
	v_lshlrev_b64 v[4:5], 3, v[2:3]
	v_add_co_u32_e32 v4, vcc, s18, v4
	v_addc_co_u32_e32 v5, vcc, v7, v5, vcc
	global_load_dwordx2 v[4:5], v[4:5], off
	s_waitcnt vmcnt(0)
	v_mul_f32_e32 v6, s9, v5
	v_mul_f32_e32 v5, s8, v5
	v_fma_f32 v6, v4, s8, -v6
	v_fmac_f32_e32 v5, s9, v4
	v_add_f32_e32 v0, v0, v6
	v_add_f32_e32 v1, v1, v5
.LBB9_18:
	v_lshlrev_b64 v[2:3], 3, v[2:3]
	v_mov_b32_e32 v4, s19
	v_add_co_u32_e32 v2, vcc, s18, v2
	v_addc_co_u32_e32 v3, vcc, v4, v3, vcc
	global_store_dwordx2 v[2:3], v[0:1], off
.LBB9_19:
	s_endpgm
	.section	.rodata,"a",@progbits
	.p2align	6, 0x0
	.amdhsa_kernel _ZL36rocblas_hemvn_kernel_lower_block_sumILi64ElPK19rocblas_complex_numIfEPS1_S1_EviT1_lS5_lT2_lT0_lPT3_i
		.amdhsa_group_segment_fixed_size 0
		.amdhsa_private_segment_fixed_size 0
		.amdhsa_kernarg_size 344
		.amdhsa_user_sgpr_count 6
		.amdhsa_user_sgpr_private_segment_buffer 1
		.amdhsa_user_sgpr_dispatch_ptr 0
		.amdhsa_user_sgpr_queue_ptr 0
		.amdhsa_user_sgpr_kernarg_segment_ptr 1
		.amdhsa_user_sgpr_dispatch_id 0
		.amdhsa_user_sgpr_flat_scratch_init 0
		.amdhsa_user_sgpr_private_segment_size 0
		.amdhsa_uses_dynamic_stack 0
		.amdhsa_system_sgpr_private_segment_wavefront_offset 0
		.amdhsa_system_sgpr_workgroup_id_x 1
		.amdhsa_system_sgpr_workgroup_id_y 0
		.amdhsa_system_sgpr_workgroup_id_z 1
		.amdhsa_system_sgpr_workgroup_info 0
		.amdhsa_system_vgpr_workitem_id 0
		.amdhsa_next_free_vgpr 8
		.amdhsa_next_free_sgpr 20
		.amdhsa_reserve_vcc 1
		.amdhsa_reserve_flat_scratch 0
		.amdhsa_float_round_mode_32 0
		.amdhsa_float_round_mode_16_64 0
		.amdhsa_float_denorm_mode_32 3
		.amdhsa_float_denorm_mode_16_64 3
		.amdhsa_dx10_clamp 1
		.amdhsa_ieee_mode 1
		.amdhsa_fp16_overflow 0
		.amdhsa_exception_fp_ieee_invalid_op 0
		.amdhsa_exception_fp_denorm_src 0
		.amdhsa_exception_fp_ieee_div_zero 0
		.amdhsa_exception_fp_ieee_overflow 0
		.amdhsa_exception_fp_ieee_underflow 0
		.amdhsa_exception_fp_ieee_inexact 0
		.amdhsa_exception_int_div_zero 0
	.end_amdhsa_kernel
	.section	.text._ZL36rocblas_hemvn_kernel_lower_block_sumILi64ElPK19rocblas_complex_numIfEPS1_S1_EviT1_lS5_lT2_lT0_lPT3_i,"axG",@progbits,_ZL36rocblas_hemvn_kernel_lower_block_sumILi64ElPK19rocblas_complex_numIfEPS1_S1_EviT1_lS5_lT2_lT0_lPT3_i,comdat
.Lfunc_end9:
	.size	_ZL36rocblas_hemvn_kernel_lower_block_sumILi64ElPK19rocblas_complex_numIfEPS1_S1_EviT1_lS5_lT2_lT0_lPT3_i, .Lfunc_end9-_ZL36rocblas_hemvn_kernel_lower_block_sumILi64ElPK19rocblas_complex_numIfEPS1_S1_EviT1_lS5_lT2_lT0_lPT3_i
                                        ; -- End function
	.set _ZL36rocblas_hemvn_kernel_lower_block_sumILi64ElPK19rocblas_complex_numIfEPS1_S1_EviT1_lS5_lT2_lT0_lPT3_i.num_vgpr, 8
	.set _ZL36rocblas_hemvn_kernel_lower_block_sumILi64ElPK19rocblas_complex_numIfEPS1_S1_EviT1_lS5_lT2_lT0_lPT3_i.num_agpr, 0
	.set _ZL36rocblas_hemvn_kernel_lower_block_sumILi64ElPK19rocblas_complex_numIfEPS1_S1_EviT1_lS5_lT2_lT0_lPT3_i.numbered_sgpr, 20
	.set _ZL36rocblas_hemvn_kernel_lower_block_sumILi64ElPK19rocblas_complex_numIfEPS1_S1_EviT1_lS5_lT2_lT0_lPT3_i.num_named_barrier, 0
	.set _ZL36rocblas_hemvn_kernel_lower_block_sumILi64ElPK19rocblas_complex_numIfEPS1_S1_EviT1_lS5_lT2_lT0_lPT3_i.private_seg_size, 0
	.set _ZL36rocblas_hemvn_kernel_lower_block_sumILi64ElPK19rocblas_complex_numIfEPS1_S1_EviT1_lS5_lT2_lT0_lPT3_i.uses_vcc, 1
	.set _ZL36rocblas_hemvn_kernel_lower_block_sumILi64ElPK19rocblas_complex_numIfEPS1_S1_EviT1_lS5_lT2_lT0_lPT3_i.uses_flat_scratch, 0
	.set _ZL36rocblas_hemvn_kernel_lower_block_sumILi64ElPK19rocblas_complex_numIfEPS1_S1_EviT1_lS5_lT2_lT0_lPT3_i.has_dyn_sized_stack, 0
	.set _ZL36rocblas_hemvn_kernel_lower_block_sumILi64ElPK19rocblas_complex_numIfEPS1_S1_EviT1_lS5_lT2_lT0_lPT3_i.has_recursion, 0
	.set _ZL36rocblas_hemvn_kernel_lower_block_sumILi64ElPK19rocblas_complex_numIfEPS1_S1_EviT1_lS5_lT2_lT0_lPT3_i.has_indirect_call, 0
	.section	.AMDGPU.csdata,"",@progbits
; Kernel info:
; codeLenInByte = 812
; TotalNumSgprs: 24
; NumVgprs: 8
; ScratchSize: 0
; MemoryBound: 0
; FloatMode: 240
; IeeeMode: 1
; LDSByteSize: 0 bytes/workgroup (compile time only)
; SGPRBlocks: 2
; VGPRBlocks: 1
; NumSGPRsForWavesPerEU: 24
; NumVGPRsForWavesPerEU: 8
; Occupancy: 10
; WaveLimiterHint : 0
; COMPUTE_PGM_RSRC2:SCRATCH_EN: 0
; COMPUTE_PGM_RSRC2:USER_SGPR: 6
; COMPUTE_PGM_RSRC2:TRAP_HANDLER: 0
; COMPUTE_PGM_RSRC2:TGID_X_EN: 1
; COMPUTE_PGM_RSRC2:TGID_Y_EN: 0
; COMPUTE_PGM_RSRC2:TGID_Z_EN: 1
; COMPUTE_PGM_RSRC2:TIDIG_COMP_CNT: 0
	.section	.text._ZL26rocblas_hemvn_kernel_lowerILb1ELi64ELi4ELi33ELi32ELi16EiPK19rocblas_complex_numIfES3_PS1_EviT6_lT7_lT5_lS6_lS7_lS5_lT8_i,"axG",@progbits,_ZL26rocblas_hemvn_kernel_lowerILb1ELi64ELi4ELi33ELi32ELi16EiPK19rocblas_complex_numIfES3_PS1_EviT6_lT7_lT5_lS6_lS7_lS5_lT8_i,comdat
	.globl	_ZL26rocblas_hemvn_kernel_lowerILb1ELi64ELi4ELi33ELi32ELi16EiPK19rocblas_complex_numIfES3_PS1_EviT6_lT7_lT5_lS6_lS7_lS5_lT8_i ; -- Begin function _ZL26rocblas_hemvn_kernel_lowerILb1ELi64ELi4ELi33ELi32ELi16EiPK19rocblas_complex_numIfES3_PS1_EviT6_lT7_lT5_lS6_lS7_lS5_lT8_i
	.p2align	8
	.type	_ZL26rocblas_hemvn_kernel_lowerILb1ELi64ELi4ELi33ELi32ELi16EiPK19rocblas_complex_numIfES3_PS1_EviT6_lT7_lT5_lS6_lS7_lS5_lT8_i,@function
_ZL26rocblas_hemvn_kernel_lowerILb1ELi64ELi4ELi33ELi32ELi16EiPK19rocblas_complex_numIfES3_PS1_EviT6_lT7_lT5_lS6_lS7_lS5_lT8_i: ; @_ZL26rocblas_hemvn_kernel_lowerILb1ELi64ELi4ELi33ELi32ELi16EiPK19rocblas_complex_numIfES3_PS1_EviT6_lT7_lT5_lS6_lS7_lS5_lT8_i
; %bb.0:
	s_load_dwordx2 s[2:3], s[4:5], 0x84
	s_add_u32 s0, s4, 0x78
	s_addc_u32 s1, s5, 0
	s_waitcnt lgkmcnt(0)
	s_lshr_b32 s8, s2, 16
	s_and_b32 s2, s2, 0xffff
	s_and_b32 s3, s3, 0xffff
	s_mul_i32 s2, s8, s2
	s_mul_i32 s2, s2, s3
	s_cmpk_lg_i32 s2, 0x100
	s_cbranch_scc1 .LBB10_151
; %bb.1:
	s_load_dwordx8 s[8:15], s[4:5], 0x8
	v_mov_b32_e32 v2, v1
	s_waitcnt lgkmcnt(0)
	s_mul_i32 s3, s11, s7
	s_mul_hi_u32 s11, s10, s7
	s_mul_i32 s2, s10, s7
	s_add_i32 s3, s11, s3
	s_lshl_b64 s[2:3], s[2:3], 3
	s_add_u32 s2, s8, s2
	s_addc_u32 s3, s9, s3
	s_load_dwordx2 s[8:9], s[2:3], 0x0
	s_load_dwordx8 s[16:23], s[4:5], 0x50
	s_waitcnt lgkmcnt(0)
	s_or_b32 s2, s8, s9
	s_bitset0_b32 s2, 31
	s_cmp_lg_u32 s2, 0
	s_cselect_b64 s[2:3], -1, 0
	s_mov_b64 s[8:9], -1
	s_and_b64 vcc, exec, s[2:3]
	s_cbranch_vccnz .LBB10_3
; %bb.2:
	s_mul_i32 s8, s21, s7
	s_mul_hi_u32 s9, s20, s7
	s_add_i32 s9, s9, s8
	s_mul_i32 s8, s20, s7
	s_lshl_b64 s[8:9], s[8:9], 3
	s_add_u32 s8, s18, s8
	s_addc_u32 s9, s19, s9
	s_load_dwordx2 s[10:11], s[8:9], 0x0
	s_waitcnt lgkmcnt(0)
	v_cmp_neq_f32_e64 s[8:9], s10, 1.0
	v_cmp_neq_f32_e64 s[10:11], s11, 0
	s_or_b64 s[8:9], s[8:9], s[10:11]
.LBB10_3:
	s_andn2_b64 vcc, exec, s[8:9]
	s_cbranch_vccnz .LBB10_151
; %bb.4:
	s_andn2_b64 vcc, exec, s[2:3]
	s_cbranch_vccnz .LBB10_151
; %bb.5:
	s_load_dword s41, s[0:1], 0x0
	s_load_dword s40, s[4:5], 0x0
	s_load_dwordx4 s[8:11], s[4:5], 0x30
	s_load_dwordx2 s[2:3], s[4:5], 0x40
	s_load_dword s33, s[4:5], 0x48
	s_mul_i32 s0, s17, s7
	s_mul_hi_u32 s1, s16, s7
	s_add_i32 s1, s1, s0
	s_mul_i32 s0, s16, s7
	s_lshl_b64 s[0:1], s[0:1], 3
	s_waitcnt lgkmcnt(0)
	s_add_u32 s10, s10, s0
	s_addc_u32 s11, s11, s1
	s_lshl_b64 s[0:1], s[2:3], 3
	s_add_u32 s0, s10, s0
	s_addc_u32 s1, s11, s1
	s_lshl_b32 s24, s6, 6
	v_add_u32_e32 v35, s24, v0
	v_mul_lo_u32 v3, s33, v35
	s_ashr_i32 s42, s40, 31
	s_lshr_b32 s3, s42, 26
	s_add_i32 s3, s40, s3
	v_ashrrev_i32_e32 v4, 31, v3
	s_andn2_b32 s3, s3, 63
	v_lshlrev_b64 v[3:4], 3, v[3:4]
	s_add_i32 s2, s41, -1
	s_sub_i32 s3, s40, s3
	s_cmp_eq_u32 s6, s2
	v_mov_b32_e32 v1, s1
	v_add_co_u32_e32 v19, vcc, s0, v3
	s_cselect_b32 s20, s3, 0
	v_addc_co_u32_e32 v20, vcc, v1, v4, vcc
	v_cmp_ne_u32_e64 s[0:1], 0, v2
	v_cmp_eq_u32_e64 s[2:3], 0, v2
	s_and_saveexec_b64 s[10:11], s[2:3]
	s_cbranch_execz .LBB10_10
; %bb.6:
	s_cmp_lg_u32 s20, 0
	s_cselect_b64 s[16:17], -1, 0
	v_cmp_le_i32_e32 vcc, s20, v0
	v_mov_b32_e32 v1, 0x2380
	s_and_b64 s[16:17], s[16:17], vcc
	v_lshl_add_u32 v1, v0, 3, v1
	s_and_saveexec_b64 s[18:19], s[16:17]
	s_xor_b64 s[16:17], exec, s[18:19]
; %bb.7:
	v_mov_b32_e32 v3, 0
	v_mov_b32_e32 v4, v3
	ds_write_b64 v1, v[3:4]
                                        ; implicit-def: $vgpr1
; %bb.8:
	s_andn2_saveexec_b64 s[16:17], s[16:17]
	s_cbranch_execz .LBB10_10
; %bb.9:
	global_load_dwordx2 v[3:4], v[19:20], off
	s_waitcnt vmcnt(0)
	ds_write_b64 v1, v[3:4]
.LBB10_10:
	s_or_b64 exec, exec, s[10:11]
	s_load_dword s26, s[4:5], 0x28
	v_lshl_add_u32 v25, v2, 6, v0
	s_mul_i32 s9, s9, s7
	s_mul_hi_u32 s10, s8, s7
	v_and_b32_e32 v1, 31, v0
	v_lshrrev_b32_e32 v7, 5, v25
	s_add_i32 s9, s10, s9
	s_mul_i32 s8, s8, s7
	s_lshl_b64 s[8:9], s[8:9], 3
	s_waitcnt lgkmcnt(0)
	v_mad_u64_u32 v[3:4], s[4:5], s26, v7, v[1:2]
	s_add_u32 s10, s12, s8
	s_addc_u32 s11, s13, s9
	s_lshl_b64 s[8:9], s[14:15], 3
	s_add_u32 s8, s10, s8
	s_addc_u32 s9, s11, s9
	s_ashr_i32 s25, s24, 31
	v_ashrrev_i32_e32 v4, 31, v3
	s_lshl_b64 s[4:5], s[24:25], 3
	v_lshlrev_b64 v[21:22], 3, v[3:4]
	s_add_u32 s4, s8, s4
	s_addc_u32 s5, s9, s5
	v_add_co_u32_e32 v4, vcc, s4, v21
	s_mul_i32 s4, s26, s24
	v_mov_b32_e32 v3, s5
	s_ashr_i32 s5, s4, 31
	v_addc_co_u32_e32 v5, vcc, v3, v22, vcc
	s_lshl_b64 s[28:29], s[4:5], 3
	v_mov_b32_e32 v6, s29
	v_add_co_u32_e32 v3, vcc, s28, v4
	s_cmp_lg_u32 s20, 0
	v_addc_co_u32_e32 v4, vcc, v5, v6, vcc
	s_cselect_b64 s[30:31], -1, 0
	s_cmp_eq_u32 s20, 0
	s_cselect_b64 s[16:17], -1, 0
	s_mov_b64 s[4:5], -1
	s_and_b64 vcc, exec, s[30:31]
	s_cbranch_vccnz .LBB10_12
; %bb.11:
	s_lshl_b32 s4, s26, 3
	s_ashr_i32 s5, s4, 31
	s_lshl_b64 s[4:5], s[4:5], 3
	v_mov_b32_e32 v6, s5
	v_add_co_u32_e32 v5, vcc, s4, v3
	s_ashr_i32 s27, s26, 31
	v_addc_co_u32_e32 v6, vcc, v4, v6, vcc
	s_lshl_b64 s[4:5], s[26:27], 6
	v_mov_b32_e32 v11, s5
	v_add_co_u32_e32 v8, vcc, s4, v5
	v_addc_co_u32_e32 v9, vcc, v6, v11, vcc
	v_add_co_u32_e32 v10, vcc, s4, v8
	v_addc_co_u32_e32 v11, vcc, v9, v11, vcc
	global_load_dwordx2 v[12:13], v[3:4], off
	global_load_dwordx2 v[14:15], v[5:6], off
	;; [unrolled: 1-line block ×4, first 2 shown]
	v_mul_u32_u24_e32 v5, 0x108, v7
	v_lshl_add_u32 v5, v1, 3, v5
	s_mov_b64 s[4:5], 0
	s_waitcnt vmcnt(3)
	ds_write_b64 v5, v[12:13]
	s_waitcnt vmcnt(2)
	ds_write_b64 v5, v[14:15] offset:2112
	s_waitcnt vmcnt(1)
	ds_write_b64 v5, v[16:17] offset:4224
	;; [unrolled: 2-line block ×3, first 2 shown]
.LBB10_12:
	s_andn2_b64 vcc, exec, s[4:5]
	v_lshlrev_b32_e32 v8, 3, v1
	s_cbranch_vccnz .LBB10_30
; %bb.13:
	v_sub_co_u32_e32 v5, vcc, v3, v8
	s_ashr_i32 s21, s20, 31
	v_subbrev_co_u32_e32 v6, vcc, 0, v4, vcc
	s_lshl_b64 s[8:9], s[20:21], 3
	v_mov_b32_e32 v9, s9
	v_add_co_u32_e32 v5, vcc, s8, v5
	v_addc_co_u32_e32 v6, vcc, v6, v9, vcc
	v_add_co_u32_e32 v5, vcc, -8, v5
	v_addc_co_u32_e32 v6, vcc, -1, v6, vcc
	v_cmp_gt_i32_e32 vcc, s20, v1
	v_cndmask_b32_e32 v6, v6, v4, vcc
	v_cndmask_b32_e32 v5, v5, v3, vcc
	v_cmp_le_i32_e64 s[4:5], s20, v7
	v_mul_u32_u24_e32 v9, 0x108, v7
	s_and_saveexec_b64 s[10:11], s[4:5]
	s_xor_b64 s[4:5], exec, s[10:11]
; %bb.14:
	v_mov_b32_e32 v10, 0
	v_add_u32_e32 v12, v8, v9
	v_mov_b32_e32 v11, v10
	ds_write_b64 v12, v[10:11]
; %bb.15:
	s_andn2_saveexec_b64 s[4:5], s[4:5]
	s_cbranch_execz .LBB10_17
; %bb.16:
	global_load_dwordx2 v[10:11], v[5:6], off
	v_add_u32_e32 v12, v8, v9
	s_waitcnt vmcnt(0)
	ds_write_b64 v12, v[10:11]
.LBB10_17:
	s_or_b64 exec, exec, s[4:5]
	v_add_u32_e32 v10, 8, v7
	v_cmp_le_i32_e64 s[4:5], s20, v10
	s_and_saveexec_b64 s[10:11], s[4:5]
	s_xor_b64 s[4:5], exec, s[10:11]
; %bb.18:
	v_mov_b32_e32 v10, 0
	v_add_u32_e32 v12, v9, v8
	v_mov_b32_e32 v11, v10
	ds_write_b64 v12, v[10:11] offset:2112
; %bb.19:
	s_andn2_saveexec_b64 s[10:11], s[4:5]
	s_cbranch_execz .LBB10_21
; %bb.20:
	s_lshl_b32 s4, s26, 3
	s_ashr_i32 s5, s4, 31
	s_lshl_b64 s[4:5], s[4:5], 3
	v_mov_b32_e32 v11, s5
	v_add_co_u32_e64 v10, s[4:5], s4, v5
	v_addc_co_u32_e64 v11, s[4:5], v6, v11, s[4:5]
	global_load_dwordx2 v[10:11], v[10:11], off
	v_add_u32_e32 v12, v9, v8
	s_waitcnt vmcnt(0)
	ds_write_b64 v12, v[10:11] offset:2112
.LBB10_21:
	s_or_b64 exec, exec, s[10:11]
	v_add_u32_e32 v10, 16, v7
	v_cmp_le_i32_e64 s[4:5], s20, v10
	s_and_saveexec_b64 s[10:11], s[4:5]
	s_xor_b64 s[4:5], exec, s[10:11]
; %bb.22:
	v_mov_b32_e32 v10, 0
	v_add_u32_e32 v12, v9, v8
	v_mov_b32_e32 v11, v10
	ds_write_b64 v12, v[10:11] offset:4224
; %bb.23:
	s_andn2_saveexec_b64 s[10:11], s[4:5]
	s_cbranch_execz .LBB10_25
; %bb.24:
	s_lshl_b32 s4, s26, 4
	s_ashr_i32 s5, s4, 31
	s_lshl_b64 s[4:5], s[4:5], 3
	v_mov_b32_e32 v11, s5
	v_add_co_u32_e64 v10, s[4:5], s4, v5
	v_addc_co_u32_e64 v11, s[4:5], v6, v11, s[4:5]
	global_load_dwordx2 v[10:11], v[10:11], off
	v_add_u32_e32 v12, v9, v8
	s_waitcnt vmcnt(0)
	ds_write_b64 v12, v[10:11] offset:4224
.LBB10_25:
	s_or_b64 exec, exec, s[10:11]
	v_add_u32_e32 v10, 24, v7
	v_cmp_le_i32_e64 s[4:5], s20, v10
	s_and_saveexec_b64 s[10:11], s[4:5]
	s_xor_b64 s[4:5], exec, s[10:11]
; %bb.26:
	v_add_u32_e32 v11, v9, v8
	v_mov_b32_e32 v9, 0
	v_mov_b32_e32 v10, v9
	ds_write_b64 v11, v[9:10] offset:6336
                                        ; implicit-def: $vgpr9
; %bb.27:
	s_andn2_saveexec_b64 s[10:11], s[4:5]
	s_cbranch_execz .LBB10_29
; %bb.28:
	s_mul_i32 s4, s26, 24
	s_ashr_i32 s5, s4, 31
	s_lshl_b64 s[4:5], s[4:5], 3
	v_mov_b32_e32 v11, s5
	v_add_co_u32_e64 v10, s[4:5], s4, v5
	v_addc_co_u32_e64 v11, s[4:5], v6, v11, s[4:5]
	global_load_dwordx2 v[10:11], v[10:11], off
	v_add_u32_e32 v9, v9, v8
	s_waitcnt vmcnt(0)
	ds_write_b64 v9, v[10:11] offset:6336
.LBB10_29:
	s_or_b64 exec, exec, s[10:11]
	v_add_co_u32_e64 v5, s[4:5], v5, v8
	v_addc_co_u32_e64 v6, s[4:5], 0, v6, s[4:5]
	v_mov_b32_e32 v9, s9
	v_subrev_co_u32_e64 v5, s[4:5], s8, v5
	v_subb_co_u32_e64 v6, s[4:5], v6, v9, s[4:5]
	v_add_co_u32_e64 v5, s[4:5], 8, v5
	v_addc_co_u32_e64 v6, s[4:5], 0, v6, s[4:5]
	v_cndmask_b32_e32 v4, v6, v4, vcc
	v_cndmask_b32_e32 v3, v5, v3, vcc
.LBB10_30:
	v_lshlrev_b32_e32 v5, 2, v7
	v_mul_u32_u24_e32 v6, 0x108, v1
	v_cmp_ge_u32_e64 s[18:19], v5, v1
	s_mov_b64 s[4:5], 0
	s_waitcnt lgkmcnt(0)
	s_barrier
                                        ; implicit-def: $vgpr10
	s_and_saveexec_b64 s[8:9], s[18:19]
	s_xor_b64 s[8:9], exec, s[8:9]
	s_cbranch_execz .LBB10_34
; %bb.31:
	v_cmp_eq_u32_e32 vcc, v5, v1
                                        ; implicit-def: $vgpr10
	s_and_saveexec_b64 s[10:11], vcc
	s_xor_b64 s[10:11], exec, s[10:11]
; %bb.32:
	s_mov_b64 s[4:5], exec
	v_add_u32_e32 v10, v8, v6
; %bb.33:
	s_or_b64 exec, exec, s[10:11]
	s_and_b64 s[4:5], s[4:5], exec
.LBB10_34:
	s_or_saveexec_b64 s[8:9], s[8:9]
	v_lshl_or_b32 v9, v1, 8, v8
	v_mov_b32_e32 v11, 0
	s_xor_b64 exec, exec, s[8:9]
	s_cbranch_execz .LBB10_36
; %bb.35:
	s_movk_i32 s10, 0x420
	v_mad_u32_u24 v10, v7, s10, v8
	ds_read_b64 v[12:13], v10
	v_lshl_add_u32 v10, v5, 3, v9
	s_or_b64 s[4:5], s[4:5], exec
	s_waitcnt lgkmcnt(0)
	v_xor_b32_e32 v11, 0x80000000, v13
	ds_write_b32 v10, v12
.LBB10_36:
	s_or_b64 exec, exec, s[8:9]
	s_and_saveexec_b64 s[8:9], s[4:5]
; %bb.37:
	ds_write_b32 v10, v11 offset:4
; %bb.38:
	s_or_b64 exec, exec, s[8:9]
	v_or_b32_e32 v10, 1, v5
	v_cmp_ge_u32_e64 s[8:9], v10, v1
	s_mov_b64 s[4:5], 0
                                        ; implicit-def: $vgpr11
	s_and_saveexec_b64 s[10:11], s[8:9]
	s_xor_b64 s[10:11], exec, s[10:11]
	s_cbranch_execnz .LBB10_100
; %bb.39:
	s_or_saveexec_b64 s[10:11], s[10:11]
	v_mov_b32_e32 v12, 0
	s_xor_b64 exec, exec, s[10:11]
	s_cbranch_execnz .LBB10_103
.LBB10_40:
	s_or_b64 exec, exec, s[10:11]
	s_and_saveexec_b64 s[10:11], s[4:5]
.LBB10_41:
	ds_write_b32 v11, v12 offset:4
.LBB10_42:
	s_or_b64 exec, exec, s[10:11]
	v_or_b32_e32 v11, 2, v5
	v_cmp_ge_u32_e64 s[10:11], v11, v1
	s_mov_b64 s[4:5], 0
                                        ; implicit-def: $vgpr12
	s_and_saveexec_b64 s[12:13], s[10:11]
	s_xor_b64 s[12:13], exec, s[12:13]
	s_cbranch_execnz .LBB10_104
; %bb.43:
	s_or_saveexec_b64 s[12:13], s[12:13]
	v_mov_b32_e32 v13, 0
	s_xor_b64 exec, exec, s[12:13]
	s_cbranch_execnz .LBB10_107
.LBB10_44:
	s_or_b64 exec, exec, s[12:13]
	s_and_saveexec_b64 s[12:13], s[4:5]
.LBB10_45:
	ds_write_b32 v12, v13 offset:4
.LBB10_46:
	s_or_b64 exec, exec, s[12:13]
	v_or_b32_e32 v12, 3, v5
	v_cmp_ge_u32_e64 s[12:13], v12, v1
	s_mov_b64 s[4:5], 0
                                        ; implicit-def: $vgpr13
	s_and_saveexec_b64 s[14:15], s[12:13]
	s_xor_b64 s[14:15], exec, s[14:15]
	s_cbranch_execnz .LBB10_108
; %bb.47:
	s_or_saveexec_b64 s[14:15], s[14:15]
	v_mov_b32_e32 v14, 0
	s_xor_b64 exec, exec, s[14:15]
	s_cbranch_execnz .LBB10_111
.LBB10_48:
	s_or_b64 exec, exec, s[14:15]
	s_and_saveexec_b64 s[14:15], s[4:5]
.LBB10_49:
	ds_write_b32 v13, v14 offset:4
.LBB10_50:
	s_or_b64 exec, exec, s[14:15]
	s_movk_i32 s4, 0x420
	v_mad_u32_u24 v13, v7, s4, v8
	s_waitcnt lgkmcnt(0)
	s_barrier
	v_lshlrev_b32_e32 v9, 3, v5
	ds_read_b64 v[17:18], v13
	ds_read_b128 v[13:16], v9 offset:9088
	ds_read_b128 v[26:29], v9 offset:9104
	s_movk_i32 s4, 0x108
	v_mov_b32_e32 v36, 0
	v_mov_b32_e32 v37, 0
	s_waitcnt lgkmcnt(1)
	v_mul_f32_e32 v23, v14, v18
	v_fma_f32 v23, v13, v17, -v23
	v_mul_f32_e32 v13, v13, v18
	v_mad_u32_u24 v18, v10, s4, v8
	ds_read2_b64 v[30:33], v18 offset1:33
	v_fmac_f32_e32 v13, v14, v17
	v_add_f32_e32 v14, 0, v23
	v_add_f32_e32 v13, 0, v13
	v_cmp_gt_u32_e64 s[4:5], 32, v25
	s_waitcnt lgkmcnt(0)
	v_mul_f32_e32 v17, v16, v31
	v_fma_f32 v17, v15, v30, -v17
	v_mul_f32_e32 v15, v15, v31
	v_fmac_f32_e32 v15, v16, v30
	v_add_f32_e32 v16, v14, v17
	v_add_f32_e32 v15, v13, v15
	ds_read_b64 v[13:14], v18 offset:528
	v_mul_f32_e32 v17, v27, v33
	v_fma_f32 v17, v26, v32, -v17
	v_mul_f32_e32 v18, v26, v33
	v_fmac_f32_e32 v18, v27, v32
	v_add_f32_e32 v16, v16, v17
	s_waitcnt lgkmcnt(0)
	v_mul_f32_e32 v17, v29, v14
	v_mul_f32_e32 v14, v28, v14
	v_add_f32_e32 v15, v15, v18
	v_fmac_f32_e32 v14, v29, v13
	v_add_f32_e32 v14, v15, v14
	v_mul_u32_u24_e32 v15, 33, v1
	v_fma_f32 v17, v28, v13, -v17
	v_lshlrev_b32_e32 v26, 3, v15
	v_add_f32_e32 v13, v16, v17
	v_lshl_add_u32 v27, v7, 3, v26
	s_barrier
	ds_write_b64 v27, v[13:14]
	s_waitcnt lgkmcnt(0)
	s_barrier
	s_and_saveexec_b64 s[14:15], s[4:5]
	s_cbranch_execz .LBB10_52
; %bb.51:
	ds_read2_b64 v[13:16], v26 offset1:7
	ds_read2_b64 v[28:31], v26 offset0:1 offset1:2
	ds_read2_b64 v[36:39], v26 offset0:3 offset1:4
	s_waitcnt lgkmcnt(1)
	v_add_f32_e32 v13, v28, v13
	v_add_f32_e32 v14, v29, v14
	;; [unrolled: 1-line block ×4, first 2 shown]
	ds_read2_b64 v[28:31], v26 offset0:5 offset1:6
	s_waitcnt lgkmcnt(1)
	v_add_f32_e32 v13, v13, v36
	v_add_f32_e32 v14, v14, v37
	;; [unrolled: 1-line block ×4, first 2 shown]
	s_waitcnt lgkmcnt(0)
	v_add_f32_e32 v13, v13, v28
	v_add_f32_e32 v14, v14, v29
	;; [unrolled: 1-line block ×6, first 2 shown]
.LBB10_52:
	s_or_b64 exec, exec, s[14:15]
	s_lshl_b32 s14, s26, 5
	s_ashr_i32 s15, s14, 31
	s_lshl_b64 s[34:35], s[14:15], 3
	v_mov_b32_e32 v13, s35
	v_add_co_u32_e32 v3, vcc, s34, v3
	v_addc_co_u32_e32 v4, vcc, v4, v13, vcc
	v_add_co_u32_e32 v13, vcc, 0x100, v3
	v_addc_co_u32_e32 v14, vcc, 0, v4, vcc
	v_cndmask_b32_e64 v15, 0, 1, s[16:17]
	v_cmp_ne_u32_e64 s[14:15], 1, v15
	s_andn2_b64 vcc, exec, s[16:17]
	s_mov_b64 s[16:17], -1
	s_barrier
	s_cbranch_vccnz .LBB10_54
; %bb.53:
	s_lshl_b32 s16, s26, 3
	s_ashr_i32 s17, s16, 31
	s_lshl_b64 s[16:17], s[16:17], 3
	v_mov_b32_e32 v16, s17
	v_add_co_u32_e32 v15, vcc, s16, v3
	s_ashr_i32 s27, s26, 31
	v_addc_co_u32_e32 v16, vcc, v4, v16, vcc
	s_lshl_b64 s[16:17], s[26:27], 6
	v_mov_b32_e32 v24, s17
	v_add_co_u32_e32 v17, vcc, s16, v15
	v_addc_co_u32_e32 v18, vcc, v16, v24, vcc
	v_add_co_u32_e32 v23, vcc, s16, v17
	v_addc_co_u32_e32 v24, vcc, v18, v24, vcc
	global_load_dwordx2 v[28:29], v[3:4], off offset:256
	global_load_dwordx2 v[30:31], v[15:16], off offset:256
	;; [unrolled: 1-line block ×4, first 2 shown]
	s_movk_i32 s16, 0x108
	v_mad_u32_u24 v15, v7, s16, v8
	s_mov_b64 s[16:17], 0
	s_waitcnt vmcnt(3)
	ds_write_b64 v15, v[28:29]
	s_waitcnt vmcnt(2)
	ds_write_b64 v15, v[30:31] offset:2112
	s_waitcnt vmcnt(1)
	ds_write_b64 v15, v[32:33] offset:4224
	;; [unrolled: 2-line block ×3, first 2 shown]
.LBB10_54:
	s_andn2_b64 vcc, exec, s[16:17]
	s_cbranch_vccnz .LBB10_72
; %bb.55:
	v_sub_co_u32_e32 v3, vcc, v3, v8
	s_ashr_i32 s21, s20, 31
	v_subbrev_co_u32_e32 v4, vcc, 0, v4, vcc
	s_lshl_b64 s[36:37], s[20:21], 3
	v_mov_b32_e32 v16, s37
	v_add_co_u32_e32 v3, vcc, s36, v3
	v_addc_co_u32_e32 v4, vcc, v4, v16, vcc
	v_or_b32_e32 v15, 32, v1
	v_add_co_u32_e32 v3, vcc, -8, v3
	v_addc_co_u32_e32 v4, vcc, -1, v4, vcc
	v_cmp_gt_i32_e64 s[16:17], s20, v15
	s_sub_i32 s21, s20, 32
	v_cndmask_b32_e64 v4, v4, v14, s[16:17]
	v_cndmask_b32_e64 v3, v3, v13, s[16:17]
	v_cmp_le_i32_e32 vcc, s21, v7
	v_mul_u32_u24_e32 v15, 0x108, v7
	s_and_saveexec_b64 s[38:39], vcc
	s_xor_b64 s[38:39], exec, s[38:39]
; %bb.56:
	v_mov_b32_e32 v16, 0
	v_add_u32_e32 v18, v8, v15
	v_mov_b32_e32 v17, v16
	ds_write_b64 v18, v[16:17]
; %bb.57:
	s_andn2_saveexec_b64 s[38:39], s[38:39]
	s_cbranch_execz .LBB10_59
; %bb.58:
	global_load_dwordx2 v[16:17], v[3:4], off
	v_add_u32_e32 v18, v8, v15
	s_waitcnt vmcnt(0)
	ds_write_b64 v18, v[16:17]
.LBB10_59:
	s_or_b64 exec, exec, s[38:39]
	v_add_u32_e32 v16, 8, v7
	v_cmp_le_i32_e32 vcc, s21, v16
	s_and_saveexec_b64 s[38:39], vcc
	s_xor_b64 s[38:39], exec, s[38:39]
; %bb.60:
	v_mov_b32_e32 v16, 0
	v_add_u32_e32 v18, v15, v8
	v_mov_b32_e32 v17, v16
	ds_write_b64 v18, v[16:17] offset:2112
; %bb.61:
	s_andn2_saveexec_b64 s[38:39], s[38:39]
	s_cbranch_execz .LBB10_63
; %bb.62:
	s_lshl_b32 s44, s26, 3
	s_ashr_i32 s45, s44, 31
	s_lshl_b64 s[44:45], s[44:45], 3
	v_mov_b32_e32 v17, s45
	v_add_co_u32_e32 v16, vcc, s44, v3
	v_addc_co_u32_e32 v17, vcc, v4, v17, vcc
	global_load_dwordx2 v[16:17], v[16:17], off
	v_add_u32_e32 v18, v15, v8
	s_waitcnt vmcnt(0)
	ds_write_b64 v18, v[16:17] offset:2112
.LBB10_63:
	s_or_b64 exec, exec, s[38:39]
	v_add_u32_e32 v16, 16, v7
	v_cmp_le_i32_e32 vcc, s21, v16
	s_and_saveexec_b64 s[38:39], vcc
	s_xor_b64 s[38:39], exec, s[38:39]
; %bb.64:
	v_mov_b32_e32 v16, 0
	v_add_u32_e32 v18, v15, v8
	v_mov_b32_e32 v17, v16
	ds_write_b64 v18, v[16:17] offset:4224
; %bb.65:
	s_andn2_saveexec_b64 s[38:39], s[38:39]
	s_cbranch_execz .LBB10_67
; %bb.66:
	s_lshl_b32 s44, s26, 4
	s_ashr_i32 s45, s44, 31
	s_lshl_b64 s[44:45], s[44:45], 3
	v_mov_b32_e32 v17, s45
	v_add_co_u32_e32 v16, vcc, s44, v3
	v_addc_co_u32_e32 v17, vcc, v4, v17, vcc
	global_load_dwordx2 v[16:17], v[16:17], off
	v_add_u32_e32 v18, v15, v8
	s_waitcnt vmcnt(0)
	ds_write_b64 v18, v[16:17] offset:4224
.LBB10_67:
	s_or_b64 exec, exec, s[38:39]
	v_add_u32_e32 v16, 24, v7
	v_cmp_le_i32_e32 vcc, s21, v16
	s_and_saveexec_b64 s[38:39], vcc
	s_xor_b64 s[38:39], exec, s[38:39]
; %bb.68:
	v_add_u32_e32 v17, v15, v8
	v_mov_b32_e32 v15, 0
	v_mov_b32_e32 v16, v15
	ds_write_b64 v17, v[15:16] offset:6336
                                        ; implicit-def: $vgpr15
; %bb.69:
	s_andn2_saveexec_b64 s[38:39], s[38:39]
	s_cbranch_execz .LBB10_71
; %bb.70:
	s_mul_i32 s44, s26, 24
	s_ashr_i32 s45, s44, 31
	s_lshl_b64 s[44:45], s[44:45], 3
	v_mov_b32_e32 v17, s45
	v_add_co_u32_e32 v16, vcc, s44, v3
	v_addc_co_u32_e32 v17, vcc, v4, v17, vcc
	global_load_dwordx2 v[16:17], v[16:17], off
	v_add_u32_e32 v15, v15, v8
	s_waitcnt vmcnt(0)
	ds_write_b64 v15, v[16:17] offset:6336
.LBB10_71:
	s_or_b64 exec, exec, s[38:39]
	v_add_co_u32_e32 v3, vcc, v3, v8
	v_addc_co_u32_e32 v4, vcc, 0, v4, vcc
	v_mov_b32_e32 v15, s37
	v_subrev_co_u32_e32 v3, vcc, s36, v3
	v_subb_co_u32_e32 v4, vcc, v4, v15, vcc
	v_add_co_u32_e32 v3, vcc, 0x108, v3
	v_addc_co_u32_e32 v4, vcc, 0, v4, vcc
	v_cndmask_b32_e64 v14, v4, v14, s[16:17]
	v_cndmask_b32_e64 v13, v3, v13, s[16:17]
.LBB10_72:
	v_mul_u32_u24_e32 v3, 0x420, v7
	v_add_u32_e32 v9, 0x2380, v9
	v_mul_u32_u24_e32 v4, 0x108, v10
	s_mov_b64 s[16:17], 0
	s_waitcnt lgkmcnt(0)
	s_barrier
                                        ; implicit-def: $vgpr15
	s_and_saveexec_b64 s[36:37], s[18:19]
	s_xor_b64 s[18:19], exec, s[36:37]
	s_cbranch_execz .LBB10_76
; %bb.73:
	v_cmp_eq_u32_e32 vcc, v5, v1
                                        ; implicit-def: $vgpr15
	s_and_saveexec_b64 s[36:37], vcc
	s_xor_b64 s[36:37], exec, s[36:37]
; %bb.74:
	s_mov_b64 s[16:17], exec
	v_add_u32_e32 v15, v8, v6
; %bb.75:
	s_or_b64 exec, exec, s[36:37]
	s_and_b64 s[16:17], s[16:17], exec
.LBB10_76:
	s_or_saveexec_b64 s[18:19], s[18:19]
	v_mov_b32_e32 v16, 0
	v_add_u32_e32 v3, v8, v3
	s_xor_b64 exec, exec, s[18:19]
	s_cbranch_execz .LBB10_78
; %bb.77:
	ds_read_b64 v[17:18], v3
	v_lshl_add_u32 v15, v5, 3, v26
	s_or_b64 s[16:17], s[16:17], exec
	s_waitcnt lgkmcnt(0)
	v_xor_b32_e32 v16, 0x80000000, v18
	ds_write_b32 v15, v17
.LBB10_78:
	s_or_b64 exec, exec, s[18:19]
	s_and_saveexec_b64 s[18:19], s[16:17]
; %bb.79:
	ds_write_b32 v15, v16 offset:4
; %bb.80:
	s_or_b64 exec, exec, s[18:19]
	s_mov_b64 s[16:17], 0
                                        ; implicit-def: $vgpr15
	s_and_saveexec_b64 s[18:19], s[8:9]
	s_xor_b64 s[8:9], exec, s[18:19]
	s_cbranch_execz .LBB10_84
; %bb.81:
	v_cmp_eq_u32_e32 vcc, v10, v1
                                        ; implicit-def: $vgpr15
	s_and_saveexec_b64 s[18:19], vcc
; %bb.82:
	s_mov_b64 s[16:17], exec
	v_add_u32_e32 v15, v8, v6
; %bb.83:
	s_or_b64 exec, exec, s[18:19]
	s_and_b64 s[16:17], s[16:17], exec
.LBB10_84:
	s_or_saveexec_b64 s[8:9], s[8:9]
	v_mov_b32_e32 v10, 0
	v_add_u32_e32 v4, v8, v4
	s_xor_b64 exec, exec, s[8:9]
	s_cbranch_execz .LBB10_86
; %bb.85:
	ds_read_b64 v[16:17], v4
	v_lshl_add_u32 v18, v5, 3, v26
	v_add_u32_e32 v15, 8, v18
	s_or_b64 s[16:17], s[16:17], exec
	s_waitcnt lgkmcnt(0)
	v_xor_b32_e32 v10, 0x80000000, v17
	ds_write_b32 v18, v16 offset:8
.LBB10_86:
	s_or_b64 exec, exec, s[8:9]
	s_and_saveexec_b64 s[8:9], s[16:17]
; %bb.87:
	ds_write_b32 v15, v10 offset:4
; %bb.88:
	s_or_b64 exec, exec, s[8:9]
	s_mov_b64 s[8:9], 0
                                        ; implicit-def: $vgpr10
	s_and_saveexec_b64 s[16:17], s[10:11]
	s_xor_b64 s[10:11], exec, s[16:17]
	s_cbranch_execnz .LBB10_112
; %bb.89:
	s_or_saveexec_b64 s[10:11], s[10:11]
	v_mov_b32_e32 v11, 0
	s_xor_b64 exec, exec, s[10:11]
	s_cbranch_execnz .LBB10_115
.LBB10_90:
	s_or_b64 exec, exec, s[10:11]
	s_and_saveexec_b64 s[10:11], s[8:9]
.LBB10_91:
	ds_write_b32 v10, v11 offset:4
.LBB10_92:
	s_or_b64 exec, exec, s[10:11]
	s_mov_b64 s[8:9], 0
                                        ; implicit-def: $vgpr10
	s_and_saveexec_b64 s[10:11], s[12:13]
	s_xor_b64 s[10:11], exec, s[10:11]
	s_cbranch_execnz .LBB10_116
; %bb.93:
	s_or_saveexec_b64 s[10:11], s[10:11]
	v_mov_b32_e32 v6, 0
	s_xor_b64 exec, exec, s[10:11]
	s_cbranch_execnz .LBB10_119
.LBB10_94:
	s_or_b64 exec, exec, s[10:11]
	s_and_saveexec_b64 s[10:11], s[8:9]
.LBB10_95:
	ds_write_b32 v10, v6 offset:4
.LBB10_96:
	s_or_b64 exec, exec, s[10:11]
	s_waitcnt lgkmcnt(0)
	s_barrier
	ds_read_b64 v[10:11], v3
	ds_read_b128 v[15:18], v9 offset:256
	ds_read_b128 v[28:31], v9 offset:272
	ds_read_b64 v[23:24], v4 offset:528
	ds_read2_b64 v[38:41], v4 offset1:33
	v_cmp_eq_u32_e64 s[10:11], 1, v7
	s_waitcnt lgkmcnt(3)
	v_mul_f32_e32 v3, v16, v11
	v_mul_f32_e32 v4, v15, v11
	v_fma_f32 v3, v15, v10, -v3
	v_fmac_f32_e32 v4, v16, v10
	s_waitcnt lgkmcnt(0)
	v_mul_f32_e32 v6, v18, v39
	v_mul_f32_e32 v10, v17, v39
	v_add_f32_e32 v3, 0, v3
	v_add_f32_e32 v4, 0, v4
	v_fma_f32 v6, v17, v38, -v6
	v_fmac_f32_e32 v10, v18, v38
	v_add_f32_e32 v3, v3, v6
	v_add_f32_e32 v4, v4, v10
	v_mul_f32_e32 v6, v29, v41
	v_mul_f32_e32 v10, v28, v41
	v_fma_f32 v6, v28, v40, -v6
	v_fmac_f32_e32 v10, v29, v40
	v_add_f32_e32 v3, v3, v6
	v_add_f32_e32 v4, v4, v10
	v_mul_f32_e32 v6, v31, v24
	v_mul_f32_e32 v10, v30, v24
	v_fma_f32 v6, v30, v23, -v6
	v_fmac_f32_e32 v10, v31, v23
	v_add_f32_e32 v3, v3, v6
	v_add_f32_e32 v4, v4, v10
	s_barrier
	ds_write_b64 v27, v[3:4]
	s_waitcnt lgkmcnt(0)
	s_barrier
	s_and_saveexec_b64 s[8:9], s[10:11]
	s_cbranch_execz .LBB10_98
; %bb.97:
	ds_read2_b64 v[15:18], v26 offset1:7
	ds_read2_b64 v[28:31], v26 offset0:1 offset1:2
	ds_read2_b64 v[36:39], v26 offset0:3 offset1:4
	s_waitcnt lgkmcnt(1)
	v_add_f32_e32 v3, v28, v15
	v_add_f32_e32 v4, v29, v16
	;; [unrolled: 1-line block ×4, first 2 shown]
	ds_read2_b64 v[28:31], v26 offset0:5 offset1:6
	s_waitcnt lgkmcnt(1)
	v_add_f32_e32 v3, v3, v36
	v_add_f32_e32 v4, v4, v37
	;; [unrolled: 1-line block ×4, first 2 shown]
	s_waitcnt lgkmcnt(0)
	v_add_f32_e32 v3, v3, v28
	v_add_f32_e32 v4, v4, v29
	;; [unrolled: 1-line block ×6, first 2 shown]
.LBB10_98:
	s_or_b64 exec, exec, s[8:9]
	v_mov_b32_e32 v3, s35
	v_subrev_co_u32_e64 v23, s[8:9], s34, v13
	s_and_b64 vcc, exec, s[14:15]
	v_subb_co_u32_e64 v24, s[8:9], v14, v3, s[8:9]
	s_barrier
	s_cbranch_vccnz .LBB10_120
; %bb.99:
	s_lshl_b32 s8, s26, 3
	s_ashr_i32 s9, s8, 31
	s_lshl_b64 s[8:9], s[8:9], 3
	v_mov_b32_e32 v4, s9
	v_add_co_u32_e32 v3, vcc, s8, v23
	s_ashr_i32 s27, s26, 31
	v_addc_co_u32_e32 v4, vcc, v24, v4, vcc
	s_lshl_b64 s[8:9], s[26:27], 6
	v_mov_b32_e32 v6, s9
	v_add_co_u32_e32 v10, vcc, s8, v3
	v_addc_co_u32_e32 v11, vcc, v4, v6, vcc
	v_add_co_u32_e32 v12, vcc, s8, v10
	v_addc_co_u32_e32 v13, vcc, v11, v6, vcc
	global_load_dwordx2 v[14:15], v[23:24], off
	global_load_dwordx2 v[16:17], v[3:4], off
	global_load_dwordx2 v[28:29], v[10:11], off
	global_load_dwordx2 v[30:31], v[12:13], off
	s_movk_i32 s8, 0x108
	v_mov_b32_e32 v3, 0x840
	v_mov_b32_e32 v13, 0x1080
	;; [unrolled: 1-line block ×3, first 2 shown]
	v_mul_u32_u24_e32 v6, 0x108, v7
	v_add_u32_e32 v10, 8, v7
	v_add_u32_e32 v11, 16, v7
	;; [unrolled: 1-line block ×3, first 2 shown]
	v_mad_u32_u24 v32, v7, s8, v8
	v_mad_u32_u24 v4, v7, s8, v3
	;; [unrolled: 1-line block ×4, first 2 shown]
	v_add_u32_e32 v18, v8, v4
	v_add_u32_e32 v33, v8, v3
	;; [unrolled: 1-line block ×3, first 2 shown]
	s_waitcnt vmcnt(3)
	ds_write_b64 v32, v[14:15]
	s_waitcnt vmcnt(2)
	ds_write_b64 v18, v[16:17]
	;; [unrolled: 2-line block ×4, first 2 shown]
	s_cbranch_execz .LBB10_121
	s_branch .LBB10_138
.LBB10_100:
	v_cmp_eq_u32_e32 vcc, v10, v1
                                        ; implicit-def: $vgpr11
	s_and_saveexec_b64 s[12:13], vcc
; %bb.101:
	s_mov_b64 s[4:5], exec
	v_add_u32_e32 v11, v8, v6
; %bb.102:
	s_or_b64 exec, exec, s[12:13]
	s_and_b64 s[4:5], s[4:5], exec
	s_or_saveexec_b64 s[10:11], s[10:11]
	v_mov_b32_e32 v12, 0
	s_xor_b64 exec, exec, s[10:11]
	s_cbranch_execz .LBB10_40
.LBB10_103:
	s_movk_i32 s12, 0x108
	v_mad_u32_u24 v11, v10, s12, v8
	ds_read_b64 v[13:14], v11
	v_lshl_add_u32 v15, v5, 3, v9
	v_add_u32_e32 v11, 8, v15
	s_or_b64 s[4:5], s[4:5], exec
	s_waitcnt lgkmcnt(0)
	v_xor_b32_e32 v12, 0x80000000, v14
	ds_write_b32 v15, v13 offset:8
	s_or_b64 exec, exec, s[10:11]
	s_and_saveexec_b64 s[10:11], s[4:5]
	s_cbranch_execnz .LBB10_41
	s_branch .LBB10_42
.LBB10_104:
	v_cmp_eq_u32_e32 vcc, v11, v1
                                        ; implicit-def: $vgpr12
	s_and_saveexec_b64 s[14:15], vcc
; %bb.105:
	s_mov_b64 s[4:5], exec
	v_add_u32_e32 v12, v8, v6
; %bb.106:
	s_or_b64 exec, exec, s[14:15]
	s_and_b64 s[4:5], s[4:5], exec
	s_or_saveexec_b64 s[12:13], s[12:13]
	v_mov_b32_e32 v13, 0
	s_xor_b64 exec, exec, s[12:13]
	s_cbranch_execz .LBB10_44
.LBB10_107:
	s_movk_i32 s14, 0x108
	v_mad_u32_u24 v12, v11, s14, v8
	ds_read_b64 v[14:15], v12
	v_lshl_add_u32 v16, v5, 3, v9
	v_add_u32_e32 v12, 16, v16
	s_or_b64 s[4:5], s[4:5], exec
	s_waitcnt lgkmcnt(0)
	v_xor_b32_e32 v13, 0x80000000, v15
	ds_write_b32 v16, v14 offset:16
	s_or_b64 exec, exec, s[12:13]
	s_and_saveexec_b64 s[12:13], s[4:5]
	s_cbranch_execnz .LBB10_45
	s_branch .LBB10_46
.LBB10_108:
	v_cmp_eq_u32_e32 vcc, v12, v1
                                        ; implicit-def: $vgpr13
	s_and_saveexec_b64 s[34:35], vcc
; %bb.109:
	s_mov_b64 s[4:5], exec
	v_add_u32_e32 v13, v8, v6
; %bb.110:
	s_or_b64 exec, exec, s[34:35]
	s_and_b64 s[4:5], s[4:5], exec
                                        ; implicit-def: $vgpr9
	s_or_saveexec_b64 s[14:15], s[14:15]
	v_mov_b32_e32 v14, 0
	s_xor_b64 exec, exec, s[14:15]
	s_cbranch_execz .LBB10_48
.LBB10_111:
	s_movk_i32 s21, 0x108
	v_mad_u32_u24 v13, v12, s21, v8
	ds_read_b64 v[15:16], v13
	v_lshl_add_u32 v9, v5, 3, v9
	v_add_u32_e32 v13, 24, v9
	s_or_b64 s[4:5], s[4:5], exec
	s_waitcnt lgkmcnt(0)
	v_xor_b32_e32 v14, 0x80000000, v16
	ds_write_b32 v9, v15 offset:24
	s_or_b64 exec, exec, s[14:15]
	s_and_saveexec_b64 s[14:15], s[4:5]
	s_cbranch_execnz .LBB10_49
	s_branch .LBB10_50
.LBB10_112:
	v_cmp_eq_u32_e32 vcc, v11, v1
                                        ; implicit-def: $vgpr10
	s_and_saveexec_b64 s[16:17], vcc
; %bb.113:
	s_mov_b64 s[8:9], exec
	v_add_u32_e32 v10, v8, v6
; %bb.114:
	s_or_b64 exec, exec, s[16:17]
	s_and_b64 s[8:9], s[8:9], exec
	s_or_saveexec_b64 s[10:11], s[10:11]
	v_mov_b32_e32 v11, 0
	s_xor_b64 exec, exec, s[10:11]
	s_cbranch_execz .LBB10_90
.LBB10_115:
	ds_read_b64 v[15:16], v4 offset:264
	v_lshl_add_u32 v17, v5, 3, v26
	v_add_u32_e32 v10, 16, v17
	s_or_b64 s[8:9], s[8:9], exec
	s_waitcnt lgkmcnt(0)
	v_xor_b32_e32 v11, 0x80000000, v16
	ds_write_b32 v17, v15 offset:16
	s_or_b64 exec, exec, s[10:11]
	s_and_saveexec_b64 s[10:11], s[8:9]
	s_cbranch_execnz .LBB10_91
	s_branch .LBB10_92
.LBB10_116:
	v_cmp_eq_u32_e32 vcc, v12, v1
                                        ; implicit-def: $vgpr10
	s_and_saveexec_b64 s[12:13], vcc
; %bb.117:
	s_mov_b64 s[8:9], exec
	v_add_u32_e32 v10, v8, v6
; %bb.118:
	s_or_b64 exec, exec, s[12:13]
	s_and_b64 s[8:9], s[8:9], exec
	s_or_saveexec_b64 s[10:11], s[10:11]
	v_mov_b32_e32 v6, 0
	s_xor_b64 exec, exec, s[10:11]
	s_cbranch_execz .LBB10_94
.LBB10_119:
	ds_read_b64 v[11:12], v4 offset:528
	v_lshl_add_u32 v15, v5, 3, v26
	v_add_u32_e32 v10, 24, v15
	s_or_b64 s[8:9], s[8:9], exec
	s_waitcnt lgkmcnt(0)
	v_xor_b32_e32 v6, 0x80000000, v12
	ds_write_b32 v15, v11 offset:24
	s_or_b64 exec, exec, s[10:11]
	s_and_saveexec_b64 s[10:11], s[8:9]
	s_cbranch_execnz .LBB10_95
	s_branch .LBB10_96
.LBB10_120:
                                        ; implicit-def: $vgpr6
                                        ; implicit-def: $vgpr10
                                        ; implicit-def: $vgpr4
                                        ; implicit-def: $vgpr11
                                        ; implicit-def: $vgpr3
                                        ; implicit-def: $vgpr12
                                        ; implicit-def: $vgpr13
.LBB10_121:
	v_sub_co_u32_e32 v3, vcc, v23, v8
	s_ashr_i32 s21, s20, 31
	v_subbrev_co_u32_e32 v4, vcc, 0, v24, vcc
	s_lshl_b64 s[12:13], s[20:21], 3
	v_mov_b32_e32 v6, s13
	v_add_co_u32_e32 v3, vcc, s12, v3
	v_addc_co_u32_e32 v4, vcc, v4, v6, vcc
	v_or_b32_e32 v1, 32, v1
	v_add_co_u32_e32 v3, vcc, 0xfffffef8, v3
	v_addc_co_u32_e32 v4, vcc, -1, v4, vcc
	v_cmp_gt_i32_e64 s[8:9], s20, v1
	v_cndmask_b32_e64 v4, v4, v24, s[8:9]
	v_cndmask_b32_e64 v3, v3, v23, s[8:9]
	v_cmp_le_i32_e32 vcc, s20, v7
	v_mul_u32_u24_e32 v6, 0x108, v7
	s_and_saveexec_b64 s[14:15], vcc
	s_xor_b64 s[14:15], exec, s[14:15]
; %bb.122:
	v_mov_b32_e32 v10, 0
	v_add_u32_e32 v1, v8, v6
	v_mov_b32_e32 v11, v10
	ds_write_b64 v1, v[10:11]
; %bb.123:
	s_andn2_saveexec_b64 s[14:15], s[14:15]
	s_cbranch_execz .LBB10_125
; %bb.124:
	global_load_dwordx2 v[10:11], v[3:4], off
	v_add_u32_e32 v1, v8, v6
	s_waitcnt vmcnt(0)
	ds_write_b64 v1, v[10:11]
.LBB10_125:
	s_or_b64 exec, exec, s[14:15]
	v_add_u32_e32 v10, 8, v7
	v_cmp_le_i32_e32 vcc, s20, v10
	s_and_saveexec_b64 s[14:15], vcc
	s_xor_b64 s[14:15], exec, s[14:15]
; %bb.126:
	v_mov_b32_e32 v11, 0
	v_add_u32_e32 v1, v6, v8
	v_mov_b32_e32 v12, v11
	ds_write_b64 v1, v[11:12] offset:2112
; %bb.127:
	s_andn2_saveexec_b64 s[14:15], s[14:15]
	s_cbranch_execz .LBB10_129
; %bb.128:
	s_lshl_b32 s16, s26, 3
	s_ashr_i32 s17, s16, 31
	s_lshl_b64 s[16:17], s[16:17], 3
	v_mov_b32_e32 v1, s17
	v_add_co_u32_e32 v11, vcc, s16, v3
	v_addc_co_u32_e32 v12, vcc, v4, v1, vcc
	global_load_dwordx2 v[11:12], v[11:12], off
	v_add_u32_e32 v1, v6, v8
	s_waitcnt vmcnt(0)
	ds_write_b64 v1, v[11:12] offset:2112
.LBB10_129:
	s_or_b64 exec, exec, s[14:15]
	v_add_u32_e32 v11, 16, v7
	v_cmp_le_i32_e32 vcc, s20, v11
	s_and_saveexec_b64 s[14:15], vcc
	s_xor_b64 s[14:15], exec, s[14:15]
; %bb.130:
	v_mov_b32_e32 v12, 0
	v_add_u32_e32 v1, v6, v8
	v_mov_b32_e32 v13, v12
	ds_write_b64 v1, v[12:13] offset:4224
; %bb.131:
	s_andn2_saveexec_b64 s[14:15], s[14:15]
	s_cbranch_execz .LBB10_133
; %bb.132:
	s_lshl_b32 s16, s26, 4
	s_ashr_i32 s17, s16, 31
	s_lshl_b64 s[16:17], s[16:17], 3
	v_mov_b32_e32 v1, s17
	v_add_co_u32_e32 v12, vcc, s16, v3
	v_addc_co_u32_e32 v13, vcc, v4, v1, vcc
	global_load_dwordx2 v[12:13], v[12:13], off
	v_add_u32_e32 v1, v6, v8
	s_waitcnt vmcnt(0)
	ds_write_b64 v1, v[12:13] offset:4224
.LBB10_133:
	s_or_b64 exec, exec, s[14:15]
	v_add_u32_e32 v12, 24, v7
	v_cmp_le_i32_e32 vcc, s20, v12
                                        ; implicit-def: $vgpr13
	s_and_saveexec_b64 s[14:15], vcc
	s_xor_b64 s[14:15], exec, s[14:15]
; %bb.134:
	v_add_u32_e32 v13, 0x18c0, v6
	v_mov_b32_e32 v14, 0
	v_add_u32_e32 v1, v8, v13
	v_mov_b32_e32 v15, v14
	ds_write_b64 v1, v[14:15]
; %bb.135:
	s_andn2_saveexec_b64 s[14:15], s[14:15]
	s_cbranch_execz .LBB10_137
; %bb.136:
	s_mul_i32 s16, s26, 24
	s_ashr_i32 s17, s16, 31
	s_lshl_b64 s[16:17], s[16:17], 3
	v_mov_b32_e32 v1, s17
	v_add_co_u32_e32 v13, vcc, s16, v3
	v_addc_co_u32_e32 v14, vcc, v4, v1, vcc
	global_load_dwordx2 v[14:15], v[13:14], off
	v_add_u32_e32 v13, 0x18c0, v6
	v_add_u32_e32 v1, v8, v13
	s_waitcnt vmcnt(0)
	ds_write_b64 v1, v[14:15]
.LBB10_137:
	s_or_b64 exec, exec, s[14:15]
	v_add_co_u32_e32 v1, vcc, v3, v8
	v_addc_co_u32_e32 v3, vcc, 0, v4, vcc
	v_mov_b32_e32 v4, s13
	v_subrev_co_u32_e32 v1, vcc, s12, v1
	v_subb_co_u32_e32 v3, vcc, v3, v4, vcc
	v_add_co_u32_e32 v1, vcc, 0x108, v1
	v_addc_co_u32_e32 v3, vcc, 0, v3, vcc
	v_cndmask_b32_e64 v24, v3, v24, s[8:9]
	v_cndmask_b32_e64 v23, v1, v23, s[8:9]
	v_add_u32_e32 v4, 0x840, v6
	v_add_u32_e32 v3, 0x1080, v6
.LBB10_138:
	v_add_u32_e32 v1, v8, v6
	s_waitcnt lgkmcnt(0)
	s_barrier
	v_lshlrev_b32_e32 v6, 3, v7
	ds_read_b64 v[15:16], v1
	ds_read_b64 v[17:18], v6 offset:9088
	v_add_u32_e32 v1, v8, v4
	v_lshlrev_b32_e32 v4, 3, v10
	ds_read_b64 v[28:29], v1
	ds_read_b64 v[30:31], v4 offset:9088
	v_add_u32_e32 v3, v8, v3
	v_lshlrev_b32_e32 v6, 3, v11
	ds_read_b64 v[32:33], v3
	ds_read_b64 v[38:39], v6 offset:9088
	v_add_u32_e32 v3, v8, v13
	v_lshlrev_b32_e32 v6, 3, v12
	ds_read2_b32 v[40:41], v3 offset1:1
	ds_read_b64 v[42:43], v6 offset:9088
	s_waitcnt lgkmcnt(6)
	v_mul_f32_e32 v1, v18, v16
	v_fma_f32 v1, v17, v15, -v1
	s_waitcnt lgkmcnt(4)
	v_mul_f32_e32 v4, v31, v29
	v_add_f32_e32 v1, 0, v1
	v_fma_f32 v4, v30, v28, -v4
	s_waitcnt lgkmcnt(2)
	v_mul_f32_e32 v3, v39, v33
	v_add_f32_e32 v1, v1, v4
	v_fma_f32 v3, v38, v32, -v3
	v_add_f32_e32 v1, v1, v3
	s_waitcnt lgkmcnt(0)
	v_mul_f32_e32 v3, v43, v41
	v_fma_f32 v3, v42, v40, -v3
	v_mul_f32_e32 v34, v17, v16
	v_add_f32_e32 v44, v1, v3
	v_lshl_add_u32 v1, v5, 3, v26
	v_fmac_f32_e32 v34, v18, v15
	v_mul_f32_e32 v29, v30, v29
	ds_read_b128 v[11:14], v9 offset:256
	ds_read_b128 v[3:6], v9 offset:272
	ds_read2_b64 v[15:18], v1 offset1:1
	ds_read2_b64 v[7:10], v1 offset0:2 offset1:3
	v_add_f32_e32 v1, 0, v34
	v_fmac_f32_e32 v29, v31, v28
	v_mul_f32_e32 v28, v38, v33
	v_add_f32_e32 v1, v1, v29
	v_fmac_f32_e32 v28, v39, v32
	v_add_f32_e32 v1, v1, v28
	v_mul_f32_e32 v28, v42, v41
	v_fmac_f32_e32 v28, v43, v40
	v_add_f32_e32 v45, v1, v28
	s_waitcnt lgkmcnt(0)
	s_barrier
	ds_write_b64 v27, v[44:45]
	s_waitcnt lgkmcnt(0)
	s_barrier
	s_and_saveexec_b64 s[8:9], s[10:11]
	s_cbranch_execz .LBB10_140
; %bb.139:
	ds_read2_b64 v[28:31], v26 offset1:1
	ds_read2_b64 v[38:41], v26 offset0:2 offset1:3
	ds_read2_b64 v[42:45], v26 offset0:4 offset1:5
	s_waitcnt lgkmcnt(2)
	v_add_f32_e32 v1, v36, v28
	v_add_f32_e32 v28, v37, v29
	;; [unrolled: 1-line block ×3, first 2 shown]
	s_waitcnt lgkmcnt(1)
	v_add_f32_e32 v28, v28, v39
	v_add_f32_e32 v1, v1, v30
	;; [unrolled: 1-line block ×3, first 2 shown]
	ds_read2_b64 v[28:31], v26 offset0:6 offset1:7
	v_add_f32_e32 v1, v1, v38
	v_add_f32_e32 v1, v1, v40
	s_waitcnt lgkmcnt(1)
	v_add_f32_e32 v1, v1, v42
	v_add_f32_e32 v32, v32, v43
	;; [unrolled: 1-line block ×4, first 2 shown]
	s_waitcnt lgkmcnt(0)
	v_add_f32_e32 v1, v1, v28
	v_add_f32_e32 v28, v32, v29
	v_add_f32_e32 v36, v1, v30
	v_add_f32_e32 v37, v28, v31
.LBB10_140:
	s_or_b64 exec, exec, s[8:9]
	v_mul_f32_e32 v1, v16, v12
	v_fmac_f32_e32 v1, v15, v11
	v_mul_f32_e32 v11, v16, v11
	v_fma_f32 v11, v15, v12, -v11
	v_mul_f32_e32 v12, v18, v14
	v_add_f32_e32 v1, 0, v1
	v_fmac_f32_e32 v12, v17, v13
	v_mul_f32_e32 v13, v18, v13
	v_add_f32_e32 v1, v1, v12
	v_mul_f32_e32 v12, v8, v4
	v_add_f32_e32 v11, 0, v11
	v_fma_f32 v13, v17, v14, -v13
	v_fmac_f32_e32 v12, v7, v3
	v_mul_f32_e32 v3, v8, v3
	v_add_f32_e32 v11, v11, v13
	v_fma_f32 v3, v7, v4, -v3
	v_add_f32_e32 v4, v11, v3
	v_mul_f32_e32 v3, v10, v6
	v_fmac_f32_e32 v3, v9, v5
	v_mul_f32_e32 v5, v10, v5
	v_add_f32_e32 v1, v1, v12
	v_fma_f32 v5, v9, v6, -v5
	v_add_f32_e32 v3, v1, v3
	v_add_f32_e32 v4, v4, v5
	s_barrier
	ds_write_b64 v27, v[3:4]
	s_waitcnt lgkmcnt(0)
	s_barrier
	s_and_saveexec_b64 s[8:9], s[4:5]
	s_cbranch_execz .LBB10_142
; %bb.141:
	ds_read2_b64 v[3:6], v26 offset1:1
	ds_read2_b64 v[7:10], v26 offset0:2 offset1:3
	ds_read2_b64 v[11:14], v26 offset0:4 offset1:5
	s_waitcnt lgkmcnt(2)
	v_add_f32_e32 v1, v36, v3
	v_add_f32_e32 v3, v37, v4
	;; [unrolled: 1-line block ×4, first 2 shown]
	s_waitcnt lgkmcnt(1)
	v_add_f32_e32 v3, v3, v8
	v_add_f32_e32 v1, v1, v7
	;; [unrolled: 1-line block ×3, first 2 shown]
	ds_read2_b64 v[3:6], v26 offset0:6 offset1:7
	v_add_f32_e32 v1, v1, v9
	s_waitcnt lgkmcnt(1)
	v_add_f32_e32 v1, v1, v11
	v_add_f32_e32 v7, v7, v12
	;; [unrolled: 1-line block ×4, first 2 shown]
	s_waitcnt lgkmcnt(0)
	v_add_f32_e32 v1, v1, v3
	v_add_f32_e32 v3, v7, v4
	;; [unrolled: 1-line block ×4, first 2 shown]
.LBB10_142:
	s_or_b64 exec, exec, s[8:9]
	s_mul_hi_u32 s4, s40, s7
	s_mul_i32 s42, s42, s7
	s_add_i32 s4, s4, s42
	s_mul_i32 s7, s40, s7
	s_mul_i32 s4, s4, s41
	s_mul_hi_u32 s5, s7, s41
	s_add_i32 s5, s5, s4
	s_mul_i32 s4, s7, s41
	s_lshl_b64 s[4:5], s[4:5], 3
	s_add_u32 s7, s22, s4
	s_mul_i32 s4, s40, s6
	s_addc_u32 s8, s23, s5
	s_ashr_i32 s5, s4, 31
	s_lshl_b64 s[4:5], s[4:5], 3
	s_add_u32 s7, s7, s4
	v_cmp_le_i32_e32 vcc, s20, v0
	s_addc_u32 s16, s8, s5
	s_and_b64 vcc, s[30:31], vcc
	s_cmp_lt_i32 s6, 1
	v_lshlrev_b32_e32 v72, 3, v0
	s_barrier
	s_cbranch_scc1 .LBB10_149
; %bb.143:
	s_mul_i32 s4, s33, s24
	s_ashr_i32 s5, s4, 31
	s_lshl_b64 s[4:5], s[4:5], 3
	v_mov_b32_e32 v1, s5
	v_subrev_co_u32_e64 v73, s[4:5], s4, v19
	v_mul_lo_u32 v4, v2, s26
	v_subb_co_u32_e64 v74, s[4:5], v20, v1, s[4:5]
	v_mov_b32_e32 v1, s29
	v_subrev_co_u32_e64 v3, s[4:5], s28, v23
	v_subb_co_u32_e64 v1, s[4:5], v24, v1, s[4:5]
	v_sub_co_u32_e64 v7, s[4:5], v3, v21
	v_lshl_add_u32 v3, v4, 2, v0
	v_ashrrev_i32_e32 v4, 31, v3
	v_lshlrev_b64 v[3:4], 3, v[3:4]
	v_subb_co_u32_e64 v1, s[4:5], v1, v22, s[4:5]
	v_add_co_u32_e64 v3, s[4:5], v7, v3
	v_addc_co_u32_e64 v4, s[4:5], v1, v4, s[4:5]
	s_movk_i32 s4, 0xff00
	v_add_co_u32_e64 v7, s[4:5], s4, v3
	v_addc_co_u32_e64 v8, s[4:5], -1, v4, s[4:5]
	v_sub_co_u32_e64 v3, s[4:5], v3, v72
	v_subbrev_co_u32_e64 v4, s[4:5], 0, v4, s[4:5]
	s_ashr_i32 s21, s20, 31
	s_lshl_b64 s[4:5], s[20:21], 3
	v_mov_b32_e32 v9, s5
	v_add_co_u32_e64 v3, s[4:5], s4, v3
	v_addc_co_u32_e64 v4, s[4:5], v4, v9, s[4:5]
	s_movk_i32 s4, 0xfef8
	v_add_co_u32_e64 v3, s[4:5], s4, v3
	v_lshrrev_b32_e32 v5, 4, v25
	v_cndmask_b32_e32 v3, v7, v3, vcc
	v_mov_b32_e32 v7, 0x2180
	v_and_b32_e32 v6, 15, v0
	v_lshl_add_u32 v76, v2, 5, v7
	v_lshlrev_b32_e32 v7, 5, v5
	s_movk_i32 s8, 0x218
	v_mad_u32_u24 v79, v6, s8, v7
	v_and_b32_e32 v7, 48, v0
	v_lshlrev_b32_e32 v7, 3, v7
	v_addc_co_u32_e64 v4, s[4:5], -1, v4, s[4:5]
	v_mad_u32_u24 v80, v6, s8, v7
	v_or_b32_e32 v7, 0x78, v72
	s_ashr_i32 s27, s26, 31
	s_movk_i32 s4, 0x860
	v_mul_i32_i24_e32 v5, 0xffffffe8, v5
	v_mad_u32_u24 v81, v6, s8, v7
	s_lshl_b64 s[10:11], s[26:27], 3
	s_mul_hi_i32 s8, s26, 0x68
	v_mov_b32_e32 v1, 0
	v_cndmask_b32_e32 v4, v8, v4, vcc
	s_lshl_b32 s17, s33, 6
	v_add_u32_e32 v75, 0x2180, v72
	v_add_u32_e32 v77, 0x2380, v72
	v_mad_u32_u24 v78, v2, s4, v72
	v_cmp_gt_u32_e64 s[4:5], 64, v25
	s_mul_i32 s18, s26, 0x68
	s_mov_b32 s12, 0
	v_mov_b32_e32 v82, s11
	v_mov_b32_e32 v83, s8
	v_add_u32_e32 v84, v79, v5
	s_branch .LBB10_145
.LBB10_144:                             ;   in Loop: Header=BB10_145 Depth=1
	s_or_b64 exec, exec, s[14:15]
	v_mul_f32_e32 v85, v39, v8
	v_fma_f32 v85, v38, v7, -v85
	v_mul_f32_e32 v8, v38, v8
	v_mul_f32_e32 v38, v41, v10
	v_add_f32_e32 v36, v36, v85
	v_fma_f32 v38, v40, v9, -v38
	v_mul_f32_e32 v10, v40, v10
	v_add_f32_e32 v36, v36, v38
	v_mul_f32_e32 v38, v43, v4
	v_fmac_f32_e32 v8, v39, v7
	v_fma_f32 v38, v42, v3, -v38
	v_mul_f32_e32 v4, v42, v4
	v_add_f32_e32 v7, v37, v8
	v_fmac_f32_e32 v10, v41, v9
	v_add_f32_e32 v36, v36, v38
	v_mul_f32_e32 v38, v45, v6
	v_mul_f32_e32 v6, v44, v6
	v_add_f32_e32 v7, v7, v10
	v_fmac_f32_e32 v4, v43, v3
	v_fma_f32 v38, v44, v5, -v38
	v_add_f32_e32 v3, v7, v4
	v_fmac_f32_e32 v6, v45, v5
	v_mul_f32_e32 v4, v47, v16
	v_add_f32_e32 v36, v36, v38
	v_add_f32_e32 v3, v3, v6
	v_fma_f32 v4, v46, v15, -v4
	v_mul_f32_e32 v6, v51, v18
	v_add_f32_e32 v4, v36, v4
	v_fma_f32 v6, v50, v17, -v6
	v_add_f32_e32 v4, v4, v6
	v_mul_f32_e32 v6, v49, v12
	v_mul_f32_e32 v5, v46, v16
	v_fma_f32 v6, v48, v11, -v6
	v_add_f32_e32 v4, v4, v6
	v_mul_f32_e32 v6, v53, v14
	v_fmac_f32_e32 v5, v47, v15
	v_fma_f32 v6, v52, v13, -v6
	v_add_f32_e32 v3, v3, v5
	v_mul_f32_e32 v5, v59, v24
	v_add_f32_e32 v4, v4, v6
	v_fma_f32 v5, v58, v23, -v5
	v_add_f32_e32 v4, v4, v5
	v_mul_f32_e32 v5, v55, v26
	v_mul_f32_e32 v7, v50, v18
	v_fma_f32 v5, v54, v25, -v5
	v_mul_f32_e32 v8, v48, v12
	v_fmac_f32_e32 v7, v51, v17
	v_add_f32_e32 v4, v4, v5
	v_mul_f32_e32 v5, v57, v20
	v_mul_f32_e32 v9, v52, v14
	v_add_f32_e32 v3, v3, v7
	v_fmac_f32_e32 v8, v49, v11
	v_fma_f32 v5, v56, v19, -v5
	v_add_f32_e32 v3, v3, v8
	v_fmac_f32_e32 v9, v53, v13
	v_mul_f32_e32 v6, v58, v24
	v_add_f32_e32 v4, v4, v5
	v_mul_f32_e32 v5, v61, v22
	v_add_f32_e32 v3, v3, v9
	v_mul_f32_e32 v7, v54, v26
	v_fma_f32 v5, v60, v21, -v5
	v_fmac_f32_e32 v6, v59, v23
	v_mul_f32_e32 v8, v56, v20
	v_add_f32_e32 v4, v4, v5
	v_add_f32_e32 v3, v3, v6
	v_fmac_f32_e32 v7, v55, v25
	v_mul_f32_e32 v5, v67, v32
	v_mul_f32_e32 v9, v60, v22
	v_add_f32_e32 v3, v3, v7
	v_fmac_f32_e32 v8, v57, v19
	v_fma_f32 v5, v66, v31, -v5
	v_add_f32_e32 v3, v3, v8
	v_fmac_f32_e32 v9, v61, v21
	v_mul_f32_e32 v6, v66, v32
	v_add_f32_e32 v4, v4, v5
	v_mul_f32_e32 v5, v65, v34
	v_add_f32_e32 v3, v3, v9
	v_fma_f32 v5, v64, v33, -v5
	v_mul_f32_e32 v7, v64, v34
	v_fmac_f32_e32 v6, v67, v31
	v_add_f32_e32 v4, v4, v5
	v_mul_f32_e32 v5, v69, v28
	v_mul_f32_e32 v8, v68, v28
	v_fmac_f32_e32 v7, v65, v33
	v_add_f32_e32 v3, v3, v6
	v_fma_f32 v5, v68, v27, -v5
	v_mul_f32_e32 v9, v70, v30
	v_fmac_f32_e32 v8, v69, v27
	v_add_f32_e32 v3, v3, v7
	v_add_f32_e32 v4, v4, v5
	v_mul_f32_e32 v5, v71, v30
	v_fmac_f32_e32 v9, v71, v29
	v_add_f32_e32 v3, v3, v8
	v_fma_f32 v5, v70, v29, -v5
	v_add_f32_e32 v37, v3, v9
	s_add_i32 s6, s6, -1
	s_add_i32 s12, s12, s17
	v_add_co_u32_e64 v3, s[8:9], s18, v62
	v_add_f32_e32 v36, v4, v5
	v_add_u32_e32 v0, 64, v0
	s_cmp_eq_u32 s6, 0
	v_addc_co_u32_e64 v4, s[8:9], v63, v83, s[8:9]
	s_waitcnt vmcnt(0)
	s_barrier
	s_cbranch_scc1 .LBB10_149
.LBB10_145:                             ; =>This Inner Loop Header: Depth=1
	s_and_saveexec_b64 s[14:15], s[2:3]
	s_cbranch_execz .LBB10_147
; %bb.146:                              ;   in Loop: Header=BB10_145 Depth=1
	s_ashr_i32 s13, s12, 31
	s_lshl_b64 s[8:9], s[12:13], 3
	v_mov_b32_e32 v6, s9
	v_add_co_u32_e64 v5, s[8:9], s8, v73
	v_addc_co_u32_e64 v6, s[8:9], v74, v6, s[8:9]
	global_load_dwordx2 v[5:6], v[5:6], off
	s_waitcnt vmcnt(0)
	ds_write_b64 v75, v[5:6]
.LBB10_147:                             ;   in Loop: Header=BB10_145 Depth=1
	s_or_b64 exec, exec, s[14:15]
	s_waitcnt lgkmcnt(0)
	s_barrier
	global_load_dwordx2 v[38:39], v[3:4], off
	v_add_co_u32_e64 v3, s[8:9], s10, v3
	v_addc_co_u32_e64 v4, s[8:9], v4, v82, s[8:9]
	global_load_dwordx2 v[40:41], v[3:4], off
	v_add_co_u32_e64 v3, s[8:9], s10, v3
	v_addc_co_u32_e64 v4, s[8:9], v4, v82, s[8:9]
	v_add_co_u32_e64 v11, s[8:9], s10, v3
	v_addc_co_u32_e64 v12, s[8:9], v4, v82, s[8:9]
	global_load_dwordx2 v[42:43], v[3:4], off
	global_load_dwordx2 v[44:45], v[11:12], off
	ds_read_b64 v[13:14], v77
	ds_read_b128 v[7:10], v76
	ds_read_b128 v[3:6], v76 offset:16
	v_add_co_u32_e64 v11, s[8:9], s18, v11
	v_addc_co_u32_e64 v12, s[8:9], v12, v83, s[8:9]
	v_add_co_u32_e64 v15, s[8:9], s10, v11
	v_addc_co_u32_e64 v16, s[8:9], v12, v82, s[8:9]
	;; [unrolled: 2-line block ×3, first 2 shown]
	s_waitcnt vmcnt(3) lgkmcnt(2)
	v_mul_f32_e32 v19, v39, v14
	v_mul_f32_e32 v20, v39, v13
	v_fmac_f32_e32 v19, v38, v13
	v_fma_f32 v20, v38, v14, -v20
	s_waitcnt vmcnt(2)
	v_mul_f32_e32 v21, v41, v14
	v_mul_f32_e32 v22, v41, v13
	v_fmac_f32_e32 v21, v40, v13
	v_fma_f32 v22, v40, v14, -v22
	ds_write2_b64 v78, v[19:20], v[21:22] offset1:67
	s_waitcnt vmcnt(1)
	v_mul_f32_e32 v23, v43, v14
	v_mul_f32_e32 v24, v43, v13
	s_waitcnt vmcnt(0)
	v_mul_f32_e32 v19, v45, v14
	v_mul_f32_e32 v20, v45, v13
	v_fmac_f32_e32 v23, v42, v13
	v_fma_f32 v24, v42, v14, -v24
	v_fmac_f32_e32 v19, v44, v13
	v_fma_f32 v20, v44, v14, -v20
	ds_write2_b64 v78, v[23:24], v[19:20] offset0:134 offset1:201
	s_waitcnt lgkmcnt(0)
	s_barrier
	ds_read2_b64 v[27:30], v79 offset1:1
	ds_read2_b64 v[31:34], v79 offset0:2 offset1:3
	s_waitcnt lgkmcnt(0)
	s_barrier
	global_load_dwordx2 v[46:47], v[11:12], off
	global_load_dwordx2 v[50:51], v[15:16], off
	;; [unrolled: 1-line block ×3, first 2 shown]
	v_add_co_u32_e64 v11, s[8:9], s10, v17
	v_addc_co_u32_e64 v12, s[8:9], v18, v82, s[8:9]
	global_load_dwordx2 v[52:53], v[11:12], off
	ds_read_b64 v[23:24], v77
	v_add_co_u32_e64 v19, s[8:9], s18, v11
	v_addc_co_u32_e64 v20, s[8:9], v12, v83, s[8:9]
	v_add_co_u32_e64 v21, s[8:9], s10, v19
	v_addc_co_u32_e64 v22, s[8:9], v20, v82, s[8:9]
	;; [unrolled: 2-line block ×3, first 2 shown]
	ds_read_b128 v[15:18], v76 offset:128
	ds_read_b128 v[11:14], v76 offset:144
	v_add_f32_e32 v27, 0, v27
	v_add_f32_e32 v28, 0, v28
	;; [unrolled: 1-line block ×6, first 2 shown]
	s_waitcnt vmcnt(3) lgkmcnt(2)
	v_mul_f32_e32 v54, v47, v24
	v_mul_f32_e32 v55, v47, v23
	s_waitcnt vmcnt(2)
	v_mul_f32_e32 v56, v51, v24
	v_mul_f32_e32 v57, v51, v23
	s_waitcnt vmcnt(1)
	v_mul_f32_e32 v58, v49, v24
	v_mul_f32_e32 v59, v49, v23
	v_fma_f32 v55, v46, v24, -v55
	s_waitcnt vmcnt(0)
	v_mul_f32_e32 v61, v53, v23
	v_mul_f32_e32 v60, v53, v24
	v_fma_f32 v57, v50, v24, -v57
	v_fma_f32 v59, v48, v24, -v59
	v_fmac_f32_e32 v54, v46, v23
	v_fmac_f32_e32 v56, v50, v23
	;; [unrolled: 1-line block ×3, first 2 shown]
	v_fma_f32 v61, v52, v24, -v61
	v_fmac_f32_e32 v60, v52, v23
	ds_write2_b64 v78, v[54:55], v[56:57] offset1:67
	ds_write2_b64 v78, v[58:59], v[60:61] offset0:134 offset1:201
	s_waitcnt lgkmcnt(0)
	s_barrier
	ds_read2_b64 v[85:88], v79 offset1:1
	ds_read2_b64 v[89:92], v79 offset0:2 offset1:3
	s_waitcnt lgkmcnt(0)
	s_barrier
	global_load_dwordx2 v[58:59], v[19:20], off
	global_load_dwordx2 v[54:55], v[21:22], off
	;; [unrolled: 1-line block ×3, first 2 shown]
	v_add_co_u32_e64 v19, s[8:9], s10, v25
	v_addc_co_u32_e64 v20, s[8:9], v26, v82, s[8:9]
	global_load_dwordx2 v[60:61], v[19:20], off
	ds_read_b64 v[64:65], v77
	v_add_co_u32_e64 v62, s[8:9], s18, v19
	v_addc_co_u32_e64 v63, s[8:9], v20, v83, s[8:9]
	v_add_co_u32_e64 v70, s[8:9], s10, v62
	v_addc_co_u32_e64 v71, s[8:9], v63, v82, s[8:9]
	;; [unrolled: 2-line block ×3, first 2 shown]
	ds_read_b128 v[23:26], v76 offset:256
	ds_read_b128 v[19:22], v76 offset:272
	s_waitcnt vmcnt(3) lgkmcnt(2)
	v_mul_f32_e32 v67, v59, v64
	v_mul_f32_e32 v66, v59, v65
	s_waitcnt vmcnt(2)
	v_mul_f32_e32 v69, v55, v64
	v_mul_f32_e32 v68, v55, v65
	s_waitcnt vmcnt(1)
	v_mul_f32_e32 v94, v57, v64
	v_mul_f32_e32 v93, v57, v65
	v_fma_f32 v67, v58, v65, -v67
	s_waitcnt vmcnt(0)
	v_mul_f32_e32 v96, v61, v64
	v_mul_f32_e32 v95, v61, v65
	v_fma_f32 v69, v54, v65, -v69
	v_fma_f32 v94, v56, v65, -v94
	;; [unrolled: 1-line block ×3, first 2 shown]
	v_fmac_f32_e32 v66, v58, v64
	v_fmac_f32_e32 v68, v54, v64
	;; [unrolled: 1-line block ×4, first 2 shown]
	ds_write2_b64 v78, v[66:67], v[68:69] offset1:67
	ds_write2_b64 v78, v[93:94], v[95:96] offset0:134 offset1:201
	s_waitcnt lgkmcnt(0)
	s_barrier
	ds_read2_b64 v[93:96], v79 offset1:1
	ds_read2_b64 v[97:100], v79 offset0:2 offset1:3
	s_waitcnt lgkmcnt(0)
	s_barrier
	global_load_dwordx2 v[66:67], v[62:63], off
	global_load_dwordx2 v[64:65], v[70:71], off
	global_load_dwordx2 v[68:69], v[101:102], off
	v_add_co_u32_e64 v62, s[8:9], s10, v101
	v_addc_co_u32_e64 v63, s[8:9], v102, v82, s[8:9]
	global_load_dwordx2 v[70:71], v[62:63], off
	v_add_f32_e32 v101, v27, v33
	v_add_f32_e32 v102, v28, v34
	;; [unrolled: 1-line block ×10, first 2 shown]
	ds_read_b64 v[85:86], v77
	ds_read_b128 v[31:34], v76 offset:384
	ds_read_b128 v[27:30], v76 offset:400
	v_add_f32_e32 v87, 0, v93
	v_add_f32_e32 v88, 0, v94
	;; [unrolled: 1-line block ×8, first 2 shown]
	s_waitcnt vmcnt(3) lgkmcnt(2)
	v_mul_f32_e32 v88, v67, v85
	v_mul_f32_e32 v87, v67, v86
	s_waitcnt vmcnt(2)
	v_mul_f32_e32 v90, v65, v85
	v_mul_f32_e32 v89, v65, v86
	s_waitcnt vmcnt(1)
	v_mul_f32_e32 v92, v69, v85
	v_mul_f32_e32 v91, v69, v86
	v_fma_f32 v88, v66, v86, -v88
	s_waitcnt vmcnt(0)
	v_mul_f32_e32 v96, v71, v85
	v_mul_f32_e32 v95, v71, v86
	v_fma_f32 v90, v64, v86, -v90
	v_fmac_f32_e32 v87, v66, v85
	v_fmac_f32_e32 v89, v64, v85
	v_fma_f32 v92, v68, v86, -v92
	v_fmac_f32_e32 v91, v68, v85
	v_fma_f32 v96, v70, v86, -v96
	v_fmac_f32_e32 v95, v70, v85
	ds_write2_b64 v78, v[87:88], v[89:90] offset1:67
	ds_write2_b64 v78, v[91:92], v[95:96] offset0:134 offset1:201
	s_waitcnt lgkmcnt(0)
	s_barrier
	ds_read2_b64 v[85:88], v79 offset1:1
	ds_read2_b64 v[89:92], v79 offset0:2 offset1:3
	s_waitcnt lgkmcnt(0)
	s_barrier
	v_add_f32_e32 v85, 0, v85
	v_add_f32_e32 v86, 0, v86
	;; [unrolled: 1-line block ×8, first 2 shown]
	ds_write2_b64 v84, v[101:102], v[103:104] offset1:16
	ds_write2_b64 v84, v[93:94], v[85:86] offset0:32 offset1:48
	s_waitcnt lgkmcnt(0)
	s_barrier
	s_and_saveexec_b64 s[14:15], s[4:5]
	s_cbranch_execz .LBB10_144
; %bb.148:                              ;   in Loop: Header=BB10_145 Depth=1
	ds_read_b64 v[93:94], v80
	ds_read2_b64 v[85:88], v80 offset0:1 offset1:2
	ds_read2_b64 v[89:92], v80 offset0:3 offset1:4
	s_waitcnt lgkmcnt(1)
	v_add_f32_e32 v85, v85, v93
	v_add_f32_e32 v86, v86, v94
	;; [unrolled: 1-line block ×4, first 2 shown]
	ds_read2_b64 v[85:88], v80 offset0:5 offset1:6
	s_waitcnt lgkmcnt(1)
	v_add_f32_e32 v89, v93, v89
	v_add_f32_e32 v90, v94, v90
	;; [unrolled: 1-line block ×4, first 2 shown]
	s_waitcnt lgkmcnt(0)
	v_add_f32_e32 v85, v89, v85
	ds_read2_b64 v[89:92], v80 offset0:7 offset1:8
	v_add_f32_e32 v86, v93, v86
	v_add_f32_e32 v93, v85, v87
	;; [unrolled: 1-line block ×3, first 2 shown]
	ds_read2_b64 v[85:88], v80 offset0:9 offset1:10
	s_waitcnt lgkmcnt(1)
	v_add_f32_e32 v89, v93, v89
	v_add_f32_e32 v90, v94, v90
	;; [unrolled: 1-line block ×4, first 2 shown]
	s_waitcnt lgkmcnt(0)
	v_add_f32_e32 v85, v89, v85
	ds_read2_b64 v[89:92], v80 offset0:11 offset1:12
	v_add_f32_e32 v86, v93, v86
	v_add_f32_e32 v93, v85, v87
	;; [unrolled: 1-line block ×3, first 2 shown]
	ds_read2_b64 v[85:88], v80 offset0:13 offset1:14
	s_waitcnt lgkmcnt(1)
	v_add_f32_e32 v89, v93, v89
	v_add_f32_e32 v90, v94, v90
	;; [unrolled: 1-line block ×4, first 2 shown]
	ds_read_b64 v[89:90], v81
	s_waitcnt lgkmcnt(1)
	v_add_f32_e32 v85, v91, v85
	v_add_f32_e32 v86, v92, v86
	v_add_f32_e32 v85, v85, v87
	v_add_f32_e32 v86, v86, v88
	v_lshlrev_b64 v[87:88], 3, v[0:1]
	s_waitcnt lgkmcnt(0)
	v_add_f32_e32 v85, v85, v89
	v_mov_b32_e32 v89, s16
	v_add_co_u32_e64 v87, s[8:9], s7, v87
	v_add_f32_e32 v86, v86, v90
	v_addc_co_u32_e64 v88, s[8:9], v89, v88, s[8:9]
	global_store_dwordx2 v[87:88], v[85:86], off
	s_branch .LBB10_144
.LBB10_149:
	s_movk_i32 s2, 0x218
	v_mad_u32_u24 v0, v2, s2, v72
	s_nor_b64 s[0:1], s[0:1], vcc
	ds_write_b64 v0, v[36:37]
	s_waitcnt lgkmcnt(0)
	s_barrier
	s_and_saveexec_b64 s[2:3], s[0:1]
	s_cbranch_execz .LBB10_151
; %bb.150:
	ds_read2_b64 v[0:3], v72 offset1:67
	ds_read2_b64 v[4:7], v72 offset0:134 offset1:201
	v_ashrrev_i32_e32 v36, 31, v35
	s_waitcnt lgkmcnt(1)
	v_add_f32_e32 v0, v2, v0
	v_add_f32_e32 v1, v3, v1
	v_lshlrev_b64 v[2:3], 3, v[35:36]
	s_waitcnt lgkmcnt(0)
	v_add_f32_e32 v0, v4, v0
	v_add_f32_e32 v1, v5, v1
	v_mov_b32_e32 v4, s16
	v_add_co_u32_e32 v2, vcc, s7, v2
	v_add_f32_e32 v0, v0, v6
	v_add_f32_e32 v1, v1, v7
	v_addc_co_u32_e32 v3, vcc, v4, v3, vcc
	global_store_dwordx2 v[2:3], v[0:1], off
.LBB10_151:
	s_endpgm
	.section	.rodata,"a",@progbits
	.p2align	6, 0x0
	.amdhsa_kernel _ZL26rocblas_hemvn_kernel_lowerILb1ELi64ELi4ELi33ELi32ELi16EiPK19rocblas_complex_numIfES3_PS1_EviT6_lT7_lT5_lS6_lS7_lS5_lT8_i
		.amdhsa_group_segment_fixed_size 9600
		.amdhsa_private_segment_fixed_size 0
		.amdhsa_kernarg_size 376
		.amdhsa_user_sgpr_count 6
		.amdhsa_user_sgpr_private_segment_buffer 1
		.amdhsa_user_sgpr_dispatch_ptr 0
		.amdhsa_user_sgpr_queue_ptr 0
		.amdhsa_user_sgpr_kernarg_segment_ptr 1
		.amdhsa_user_sgpr_dispatch_id 0
		.amdhsa_user_sgpr_flat_scratch_init 0
		.amdhsa_user_sgpr_private_segment_size 0
		.amdhsa_uses_dynamic_stack 0
		.amdhsa_system_sgpr_private_segment_wavefront_offset 0
		.amdhsa_system_sgpr_workgroup_id_x 1
		.amdhsa_system_sgpr_workgroup_id_y 0
		.amdhsa_system_sgpr_workgroup_id_z 1
		.amdhsa_system_sgpr_workgroup_info 0
		.amdhsa_system_vgpr_workitem_id 1
		.amdhsa_next_free_vgpr 105
		.amdhsa_next_free_sgpr 93
		.amdhsa_reserve_vcc 1
		.amdhsa_reserve_flat_scratch 0
		.amdhsa_float_round_mode_32 0
		.amdhsa_float_round_mode_16_64 0
		.amdhsa_float_denorm_mode_32 3
		.amdhsa_float_denorm_mode_16_64 3
		.amdhsa_dx10_clamp 1
		.amdhsa_ieee_mode 1
		.amdhsa_fp16_overflow 0
		.amdhsa_exception_fp_ieee_invalid_op 0
		.amdhsa_exception_fp_denorm_src 0
		.amdhsa_exception_fp_ieee_div_zero 0
		.amdhsa_exception_fp_ieee_overflow 0
		.amdhsa_exception_fp_ieee_underflow 0
		.amdhsa_exception_fp_ieee_inexact 0
		.amdhsa_exception_int_div_zero 0
	.end_amdhsa_kernel
	.section	.text._ZL26rocblas_hemvn_kernel_lowerILb1ELi64ELi4ELi33ELi32ELi16EiPK19rocblas_complex_numIfES3_PS1_EviT6_lT7_lT5_lS6_lS7_lS5_lT8_i,"axG",@progbits,_ZL26rocblas_hemvn_kernel_lowerILb1ELi64ELi4ELi33ELi32ELi16EiPK19rocblas_complex_numIfES3_PS1_EviT6_lT7_lT5_lS6_lS7_lS5_lT8_i,comdat
.Lfunc_end10:
	.size	_ZL26rocblas_hemvn_kernel_lowerILb1ELi64ELi4ELi33ELi32ELi16EiPK19rocblas_complex_numIfES3_PS1_EviT6_lT7_lT5_lS6_lS7_lS5_lT8_i, .Lfunc_end10-_ZL26rocblas_hemvn_kernel_lowerILb1ELi64ELi4ELi33ELi32ELi16EiPK19rocblas_complex_numIfES3_PS1_EviT6_lT7_lT5_lS6_lS7_lS5_lT8_i
                                        ; -- End function
	.set _ZL26rocblas_hemvn_kernel_lowerILb1ELi64ELi4ELi33ELi32ELi16EiPK19rocblas_complex_numIfES3_PS1_EviT6_lT7_lT5_lS6_lS7_lS5_lT8_i.num_vgpr, 105
	.set _ZL26rocblas_hemvn_kernel_lowerILb1ELi64ELi4ELi33ELi32ELi16EiPK19rocblas_complex_numIfES3_PS1_EviT6_lT7_lT5_lS6_lS7_lS5_lT8_i.num_agpr, 0
	.set _ZL26rocblas_hemvn_kernel_lowerILb1ELi64ELi4ELi33ELi32ELi16EiPK19rocblas_complex_numIfES3_PS1_EviT6_lT7_lT5_lS6_lS7_lS5_lT8_i.numbered_sgpr, 46
	.set _ZL26rocblas_hemvn_kernel_lowerILb1ELi64ELi4ELi33ELi32ELi16EiPK19rocblas_complex_numIfES3_PS1_EviT6_lT7_lT5_lS6_lS7_lS5_lT8_i.num_named_barrier, 0
	.set _ZL26rocblas_hemvn_kernel_lowerILb1ELi64ELi4ELi33ELi32ELi16EiPK19rocblas_complex_numIfES3_PS1_EviT6_lT7_lT5_lS6_lS7_lS5_lT8_i.private_seg_size, 0
	.set _ZL26rocblas_hemvn_kernel_lowerILb1ELi64ELi4ELi33ELi32ELi16EiPK19rocblas_complex_numIfES3_PS1_EviT6_lT7_lT5_lS6_lS7_lS5_lT8_i.uses_vcc, 1
	.set _ZL26rocblas_hemvn_kernel_lowerILb1ELi64ELi4ELi33ELi32ELi16EiPK19rocblas_complex_numIfES3_PS1_EviT6_lT7_lT5_lS6_lS7_lS5_lT8_i.uses_flat_scratch, 0
	.set _ZL26rocblas_hemvn_kernel_lowerILb1ELi64ELi4ELi33ELi32ELi16EiPK19rocblas_complex_numIfES3_PS1_EviT6_lT7_lT5_lS6_lS7_lS5_lT8_i.has_dyn_sized_stack, 0
	.set _ZL26rocblas_hemvn_kernel_lowerILb1ELi64ELi4ELi33ELi32ELi16EiPK19rocblas_complex_numIfES3_PS1_EviT6_lT7_lT5_lS6_lS7_lS5_lT8_i.has_recursion, 0
	.set _ZL26rocblas_hemvn_kernel_lowerILb1ELi64ELi4ELi33ELi32ELi16EiPK19rocblas_complex_numIfES3_PS1_EviT6_lT7_lT5_lS6_lS7_lS5_lT8_i.has_indirect_call, 0
	.section	.AMDGPU.csdata,"",@progbits
; Kernel info:
; codeLenInByte = 8060
; TotalNumSgprs: 50
; NumVgprs: 105
; ScratchSize: 0
; MemoryBound: 1
; FloatMode: 240
; IeeeMode: 1
; LDSByteSize: 9600 bytes/workgroup (compile time only)
; SGPRBlocks: 12
; VGPRBlocks: 26
; NumSGPRsForWavesPerEU: 97
; NumVGPRsForWavesPerEU: 105
; Occupancy: 2
; WaveLimiterHint : 1
; COMPUTE_PGM_RSRC2:SCRATCH_EN: 0
; COMPUTE_PGM_RSRC2:USER_SGPR: 6
; COMPUTE_PGM_RSRC2:TRAP_HANDLER: 0
; COMPUTE_PGM_RSRC2:TGID_X_EN: 1
; COMPUTE_PGM_RSRC2:TGID_Y_EN: 0
; COMPUTE_PGM_RSRC2:TGID_Z_EN: 1
; COMPUTE_PGM_RSRC2:TIDIG_COMP_CNT: 1
	.section	.text._ZL36rocblas_hemvn_kernel_lower_block_sumILi64EiPK19rocblas_complex_numIfEPS1_S1_EviT1_lS5_lT2_lT0_lPT3_i,"axG",@progbits,_ZL36rocblas_hemvn_kernel_lower_block_sumILi64EiPK19rocblas_complex_numIfEPS1_S1_EviT1_lS5_lT2_lT0_lPT3_i,comdat
	.globl	_ZL36rocblas_hemvn_kernel_lower_block_sumILi64EiPK19rocblas_complex_numIfEPS1_S1_EviT1_lS5_lT2_lT0_lPT3_i ; -- Begin function _ZL36rocblas_hemvn_kernel_lower_block_sumILi64EiPK19rocblas_complex_numIfEPS1_S1_EviT1_lS5_lT2_lT0_lPT3_i
	.p2align	8
	.type	_ZL36rocblas_hemvn_kernel_lower_block_sumILi64EiPK19rocblas_complex_numIfEPS1_S1_EviT1_lS5_lT2_lT0_lPT3_i,@function
_ZL36rocblas_hemvn_kernel_lower_block_sumILi64EiPK19rocblas_complex_numIfEPS1_S1_EviT1_lS5_lT2_lT0_lPT3_i: ; @_ZL36rocblas_hemvn_kernel_lower_block_sumILi64EiPK19rocblas_complex_numIfEPS1_S1_EviT1_lS5_lT2_lT0_lPT3_i
; %bb.0:
	s_load_dwordx8 s[8:15], s[4:5], 0x8
	s_waitcnt lgkmcnt(0)
	s_mul_i32 s0, s11, s7
	s_mul_hi_u32 s1, s10, s7
	s_add_i32 s1, s1, s0
	s_mul_i32 s0, s10, s7
	s_lshl_b64 s[0:1], s[0:1], 3
	s_add_u32 s0, s8, s0
	s_addc_u32 s1, s9, s1
	s_load_dwordx2 s[8:9], s[0:1], 0x0
	s_mul_i32 s0, s15, s7
	s_mul_hi_u32 s1, s14, s7
	s_add_i32 s1, s1, s0
	s_mul_i32 s0, s14, s7
	s_lshl_b64 s[0:1], s[0:1], 3
	s_add_u32 s0, s12, s0
	s_addc_u32 s1, s13, s1
	s_load_dwordx2 s[2:3], s[0:1], 0x0
	s_waitcnt lgkmcnt(0)
	s_or_b32 s0, s8, s9
	s_and_b32 s10, s0, 0x7fffffff
	s_cmp_eq_u32 s10, 0
	s_cselect_b64 s[0:1], -1, 0
	s_cmp_lg_u32 s10, 0
	s_mov_b64 s[10:11], -1
	s_cbranch_scc1 .LBB11_2
; %bb.1:
	v_cmp_neq_f32_e64 s[10:11], s2, 1.0
	v_cmp_neq_f32_e64 s[12:13], s3, 0
	s_or_b64 s[10:11], s[10:11], s[12:13]
.LBB11_2:
	s_andn2_b64 vcc, exec, s[10:11]
	s_cbranch_vccnz .LBB11_19
; %bb.3:
	s_load_dwordx2 s[18:19], s[4:5], 0x40
	s_load_dwordx4 s[12:15], s[4:5], 0x28
	s_load_dword s16, s[4:5], 0x38
	s_load_dword s10, s[4:5], 0x0
	v_lshl_or_b32 v4, s6, 6, v0
	s_waitcnt lgkmcnt(0)
	s_mul_i32 s11, s19, s7
	s_mul_hi_u32 s17, s18, s7
	s_add_i32 s19, s17, s11
	s_mul_i32 s18, s18, s7
	s_lshl_b64 s[18:19], s[18:19], 3
	s_add_u32 s11, s12, s18
	s_addc_u32 s17, s13, s19
	s_lshl_b64 s[12:13], s[14:15], 3
	s_add_u32 s14, s11, s12
	s_addc_u32 s15, s17, s13
	s_mov_b64 s[12:13], -1
	s_andn2_b64 vcc, exec, s[0:1]
	v_cmp_gt_i32_e64 s[0:1], s10, v4
	s_cbranch_vccnz .LBB11_9
; %bb.4:
	s_and_saveexec_b64 s[12:13], s[0:1]
	s_cbranch_execz .LBB11_8
; %bb.5:
	v_mul_lo_u32 v1, s16, v4
	v_cmp_neq_f32_e64 s[0:1], s2, 0
	v_cmp_neq_f32_e64 s[18:19], s3, 0
	s_or_b64 s[0:1], s[0:1], s[18:19]
	v_ashrrev_i32_e32 v2, 31, v1
	v_lshlrev_b64 v[2:3], 3, v[1:2]
	v_mov_b32_e32 v0, 0
	s_andn2_b64 vcc, exec, s[0:1]
	v_mov_b32_e32 v1, 0
	s_cbranch_vccnz .LBB11_7
; %bb.6:
	v_mov_b32_e32 v1, s15
	v_add_co_u32_e32 v0, vcc, s14, v2
	v_addc_co_u32_e32 v1, vcc, v1, v3, vcc
	global_load_dwordx2 v[5:6], v[0:1], off
	s_waitcnt vmcnt(0)
	v_mul_f32_e32 v0, s3, v6
	v_mul_f32_e32 v1, s2, v6
	v_fma_f32 v0, v5, s2, -v0
	v_fmac_f32_e32 v1, s3, v5
.LBB11_7:
	v_mov_b32_e32 v5, s15
	v_add_co_u32_e32 v2, vcc, s14, v2
	v_addc_co_u32_e32 v3, vcc, v5, v3, vcc
	global_store_dwordx2 v[2:3], v[0:1], off
.LBB11_8:
	s_or_b64 exec, exec, s[12:13]
	s_mov_b64 s[12:13], 0
.LBB11_9:
	s_andn2_b64 vcc, exec, s[12:13]
	s_cbranch_vccnz .LBB11_19
; %bb.10:
	v_cmp_gt_i32_e32 vcc, s10, v4
	s_and_saveexec_b64 s[0:1], vcc
	s_cbranch_execz .LBB11_19
; %bb.11:
	s_load_dword s12, s[4:5], 0x58
	v_mov_b32_e32 v3, 0
	v_mov_b32_e32 v5, 0
	s_waitcnt lgkmcnt(0)
	s_cmp_ge_i32 s6, s12
	s_cbranch_scc1 .LBB11_14
; %bb.12:
	s_load_dwordx2 s[0:1], s[4:5], 0x48
	s_ashr_i32 s11, s10, 31
	s_mul_i32 s4, s10, s6
	v_add_u32_e32 v0, s4, v4
	s_mul_hi_u32 s4, s10, s7
	s_mul_i32 s5, s11, s7
	s_add_i32 s4, s4, s5
	s_mul_i32 s7, s10, s7
	s_mul_i32 s4, s4, s12
	s_mul_hi_u32 s5, s7, s12
	s_add_i32 s5, s5, s4
	s_mul_i32 s4, s7, s12
	v_ashrrev_i32_e32 v1, 31, v0
	s_lshl_b64 s[4:5], s[4:5], 3
	v_lshlrev_b64 v[0:1], 3, v[0:1]
	s_waitcnt lgkmcnt(0)
	s_add_u32 s0, s0, s4
	s_addc_u32 s1, s1, s5
	v_mov_b32_e32 v2, s1
	v_add_co_u32_e32 v0, vcc, s0, v0
	v_addc_co_u32_e32 v1, vcc, v2, v1, vcc
	v_add_co_u32_e32 v0, vcc, 4, v0
	s_lshl_b64 s[0:1], s[10:11], 3
	v_addc_co_u32_e32 v1, vcc, 0, v1, vcc
	v_mov_b32_e32 v3, 0
	v_mov_b32_e32 v2, s1
	;; [unrolled: 1-line block ×3, first 2 shown]
.LBB11_13:                              ; =>This Inner Loop Header: Depth=1
	global_load_dwordx2 v[6:7], v[0:1], off offset:-4
	s_add_i32 s6, s6, 1
	v_add_co_u32_e32 v0, vcc, s0, v0
	v_addc_co_u32_e32 v1, vcc, v1, v2, vcc
	s_cmp_ge_i32 s6, s12
	s_waitcnt vmcnt(0)
	v_add_f32_e32 v5, v5, v6
	v_add_f32_e32 v3, v3, v7
	s_cbranch_scc0 .LBB11_13
.LBB11_14:
	v_mul_lo_u32 v2, s16, v4
	v_cmp_neq_f32_e64 s[0:1], s2, 0
	v_cmp_neq_f32_e64 s[4:5], s3, 0
	s_or_b64 s[0:1], s[0:1], s[4:5]
	v_mul_f32_e32 v0, s9, v3
	v_mul_f32_e32 v1, s8, v3
	s_andn2_b64 vcc, exec, s[0:1]
	v_fma_f32 v0, v5, s8, -v0
	v_fmac_f32_e32 v1, s9, v5
	v_ashrrev_i32_e32 v3, 31, v2
	s_cbranch_vccz .LBB11_16
; %bb.15:
	s_cbranch_execz .LBB11_17
	s_branch .LBB11_18
.LBB11_16:
.LBB11_17:
	v_lshlrev_b64 v[4:5], 3, v[2:3]
	v_mov_b32_e32 v6, s15
	v_add_co_u32_e32 v4, vcc, s14, v4
	v_addc_co_u32_e32 v5, vcc, v6, v5, vcc
	global_load_dwordx2 v[4:5], v[4:5], off
	s_waitcnt vmcnt(0)
	v_mul_f32_e32 v6, s3, v5
	v_mul_f32_e32 v5, s2, v5
	v_fma_f32 v6, v4, s2, -v6
	v_fmac_f32_e32 v5, s3, v4
	v_add_f32_e32 v0, v0, v6
	v_add_f32_e32 v1, v1, v5
.LBB11_18:
	v_lshlrev_b64 v[2:3], 3, v[2:3]
	v_mov_b32_e32 v4, s15
	v_add_co_u32_e32 v2, vcc, s14, v2
	v_addc_co_u32_e32 v3, vcc, v4, v3, vcc
	global_store_dwordx2 v[2:3], v[0:1], off
.LBB11_19:
	s_endpgm
	.section	.rodata,"a",@progbits
	.p2align	6, 0x0
	.amdhsa_kernel _ZL36rocblas_hemvn_kernel_lower_block_sumILi64EiPK19rocblas_complex_numIfEPS1_S1_EviT1_lS5_lT2_lT0_lPT3_i
		.amdhsa_group_segment_fixed_size 0
		.amdhsa_private_segment_fixed_size 0
		.amdhsa_kernarg_size 344
		.amdhsa_user_sgpr_count 6
		.amdhsa_user_sgpr_private_segment_buffer 1
		.amdhsa_user_sgpr_dispatch_ptr 0
		.amdhsa_user_sgpr_queue_ptr 0
		.amdhsa_user_sgpr_kernarg_segment_ptr 1
		.amdhsa_user_sgpr_dispatch_id 0
		.amdhsa_user_sgpr_flat_scratch_init 0
		.amdhsa_user_sgpr_private_segment_size 0
		.amdhsa_uses_dynamic_stack 0
		.amdhsa_system_sgpr_private_segment_wavefront_offset 0
		.amdhsa_system_sgpr_workgroup_id_x 1
		.amdhsa_system_sgpr_workgroup_id_y 0
		.amdhsa_system_sgpr_workgroup_id_z 1
		.amdhsa_system_sgpr_workgroup_info 0
		.amdhsa_system_vgpr_workitem_id 0
		.amdhsa_next_free_vgpr 8
		.amdhsa_next_free_sgpr 20
		.amdhsa_reserve_vcc 1
		.amdhsa_reserve_flat_scratch 0
		.amdhsa_float_round_mode_32 0
		.amdhsa_float_round_mode_16_64 0
		.amdhsa_float_denorm_mode_32 3
		.amdhsa_float_denorm_mode_16_64 3
		.amdhsa_dx10_clamp 1
		.amdhsa_ieee_mode 1
		.amdhsa_fp16_overflow 0
		.amdhsa_exception_fp_ieee_invalid_op 0
		.amdhsa_exception_fp_denorm_src 0
		.amdhsa_exception_fp_ieee_div_zero 0
		.amdhsa_exception_fp_ieee_overflow 0
		.amdhsa_exception_fp_ieee_underflow 0
		.amdhsa_exception_fp_ieee_inexact 0
		.amdhsa_exception_int_div_zero 0
	.end_amdhsa_kernel
	.section	.text._ZL36rocblas_hemvn_kernel_lower_block_sumILi64EiPK19rocblas_complex_numIfEPS1_S1_EviT1_lS5_lT2_lT0_lPT3_i,"axG",@progbits,_ZL36rocblas_hemvn_kernel_lower_block_sumILi64EiPK19rocblas_complex_numIfEPS1_S1_EviT1_lS5_lT2_lT0_lPT3_i,comdat
.Lfunc_end11:
	.size	_ZL36rocblas_hemvn_kernel_lower_block_sumILi64EiPK19rocblas_complex_numIfEPS1_S1_EviT1_lS5_lT2_lT0_lPT3_i, .Lfunc_end11-_ZL36rocblas_hemvn_kernel_lower_block_sumILi64EiPK19rocblas_complex_numIfEPS1_S1_EviT1_lS5_lT2_lT0_lPT3_i
                                        ; -- End function
	.set _ZL36rocblas_hemvn_kernel_lower_block_sumILi64EiPK19rocblas_complex_numIfEPS1_S1_EviT1_lS5_lT2_lT0_lPT3_i.num_vgpr, 8
	.set _ZL36rocblas_hemvn_kernel_lower_block_sumILi64EiPK19rocblas_complex_numIfEPS1_S1_EviT1_lS5_lT2_lT0_lPT3_i.num_agpr, 0
	.set _ZL36rocblas_hemvn_kernel_lower_block_sumILi64EiPK19rocblas_complex_numIfEPS1_S1_EviT1_lS5_lT2_lT0_lPT3_i.numbered_sgpr, 20
	.set _ZL36rocblas_hemvn_kernel_lower_block_sumILi64EiPK19rocblas_complex_numIfEPS1_S1_EviT1_lS5_lT2_lT0_lPT3_i.num_named_barrier, 0
	.set _ZL36rocblas_hemvn_kernel_lower_block_sumILi64EiPK19rocblas_complex_numIfEPS1_S1_EviT1_lS5_lT2_lT0_lPT3_i.private_seg_size, 0
	.set _ZL36rocblas_hemvn_kernel_lower_block_sumILi64EiPK19rocblas_complex_numIfEPS1_S1_EviT1_lS5_lT2_lT0_lPT3_i.uses_vcc, 1
	.set _ZL36rocblas_hemvn_kernel_lower_block_sumILi64EiPK19rocblas_complex_numIfEPS1_S1_EviT1_lS5_lT2_lT0_lPT3_i.uses_flat_scratch, 0
	.set _ZL36rocblas_hemvn_kernel_lower_block_sumILi64EiPK19rocblas_complex_numIfEPS1_S1_EviT1_lS5_lT2_lT0_lPT3_i.has_dyn_sized_stack, 0
	.set _ZL36rocblas_hemvn_kernel_lower_block_sumILi64EiPK19rocblas_complex_numIfEPS1_S1_EviT1_lS5_lT2_lT0_lPT3_i.has_recursion, 0
	.set _ZL36rocblas_hemvn_kernel_lower_block_sumILi64EiPK19rocblas_complex_numIfEPS1_S1_EviT1_lS5_lT2_lT0_lPT3_i.has_indirect_call, 0
	.section	.AMDGPU.csdata,"",@progbits
; Kernel info:
; codeLenInByte = 752
; TotalNumSgprs: 24
; NumVgprs: 8
; ScratchSize: 0
; MemoryBound: 0
; FloatMode: 240
; IeeeMode: 1
; LDSByteSize: 0 bytes/workgroup (compile time only)
; SGPRBlocks: 2
; VGPRBlocks: 1
; NumSGPRsForWavesPerEU: 24
; NumVGPRsForWavesPerEU: 8
; Occupancy: 10
; WaveLimiterHint : 0
; COMPUTE_PGM_RSRC2:SCRATCH_EN: 0
; COMPUTE_PGM_RSRC2:USER_SGPR: 6
; COMPUTE_PGM_RSRC2:TRAP_HANDLER: 0
; COMPUTE_PGM_RSRC2:TGID_X_EN: 1
; COMPUTE_PGM_RSRC2:TGID_Y_EN: 0
; COMPUTE_PGM_RSRC2:TGID_Z_EN: 1
; COMPUTE_PGM_RSRC2:TIDIG_COMP_CNT: 0
	.section	.text._ZL26rocblas_hemvn_kernel_lowerILb1ELi64ELi4ELi33ELi32ELi16El19rocblas_complex_numIfEPKS1_PS1_EviT6_lT7_lT5_lS6_lS7_lS5_lT8_i,"axG",@progbits,_ZL26rocblas_hemvn_kernel_lowerILb1ELi64ELi4ELi33ELi32ELi16El19rocblas_complex_numIfEPKS1_PS1_EviT6_lT7_lT5_lS6_lS7_lS5_lT8_i,comdat
	.globl	_ZL26rocblas_hemvn_kernel_lowerILb1ELi64ELi4ELi33ELi32ELi16El19rocblas_complex_numIfEPKS1_PS1_EviT6_lT7_lT5_lS6_lS7_lS5_lT8_i ; -- Begin function _ZL26rocblas_hemvn_kernel_lowerILb1ELi64ELi4ELi33ELi32ELi16El19rocblas_complex_numIfEPKS1_PS1_EviT6_lT7_lT5_lS6_lS7_lS5_lT8_i
	.p2align	8
	.type	_ZL26rocblas_hemvn_kernel_lowerILb1ELi64ELi4ELi33ELi32ELi16El19rocblas_complex_numIfEPKS1_PS1_EviT6_lT7_lT5_lS6_lS7_lS5_lT8_i,@function
_ZL26rocblas_hemvn_kernel_lowerILb1ELi64ELi4ELi33ELi32ELi16El19rocblas_complex_numIfEPKS1_PS1_EviT6_lT7_lT5_lS6_lS7_lS5_lT8_i: ; @_ZL26rocblas_hemvn_kernel_lowerILb1ELi64ELi4ELi33ELi32ELi16El19rocblas_complex_numIfEPKS1_PS1_EviT6_lT7_lT5_lS6_lS7_lS5_lT8_i
; %bb.0:
	s_load_dwordx2 s[2:3], s[4:5], 0x84
	s_add_u32 s0, s4, 0x78
	s_addc_u32 s1, s5, 0
	s_waitcnt lgkmcnt(0)
	s_lshr_b32 s8, s2, 16
	s_and_b32 s2, s2, 0xffff
	s_and_b32 s3, s3, 0xffff
	s_mul_i32 s2, s8, s2
	s_mul_i32 s2, s2, s3
	s_cmpk_lg_i32 s2, 0x100
	s_cbranch_scc1 .LBB12_151
; %bb.1:
	s_load_dwordx2 s[2:3], s[4:5], 0x4
	s_mov_b64 s[8:9], -1
	s_waitcnt lgkmcnt(0)
	s_or_b32 s2, s2, s3
	s_bitset0_b32 s2, 31
	s_cmp_lg_u32 s2, 0
	s_cselect_b64 s[2:3], -1, 0
	s_and_b64 vcc, exec, s[2:3]
	s_cbranch_vccnz .LBB12_3
; %bb.2:
	s_load_dwordx2 s[8:9], s[4:5], 0x58
	s_waitcnt lgkmcnt(0)
	v_cmp_neq_f32_e64 s[10:11], s8, 1.0
	v_cmp_neq_f32_e64 s[8:9], s9, 0
	s_or_b64 s[8:9], s[10:11], s[8:9]
.LBB12_3:
	s_andn2_b64 vcc, exec, s[8:9]
	s_cbranch_vccnz .LBB12_151
; %bb.4:
	s_andn2_b64 vcc, exec, s[2:3]
	s_cbranch_vccnz .LBB12_151
; %bb.5:
	s_load_dwordx16 s[36:51], s[4:5], 0x18
	s_load_dword s52, s[0:1], 0x0
	s_load_dword s33, s[4:5], 0x0
	s_waitcnt lgkmcnt(0)
	s_mul_i32 s1, s51, s7
	s_mul_hi_u32 s2, s50, s7
	s_mul_i32 s0, s50, s7
	s_add_i32 s1, s2, s1
	s_lshl_b64 s[0:1], s[0:1], 3
	s_add_u32 s2, s44, s0
	s_addc_u32 s3, s45, s1
	s_lshl_b64 s[0:1], s[46:47], 3
	s_add_u32 s2, s2, s0
	s_addc_u32 s3, s3, s1
	s_lshl_b32 s24, s6, 6
	s_ashr_i32 s44, s33, 31
	s_lshr_b32 s0, s44, 26
	v_add_u32_e32 v34, s24, v0
	s_add_i32 s0, s33, s0
	v_ashrrev_i32_e32 v35, 31, v34
	s_and_b32 s9, s0, 0xffffffc0
	v_mul_lo_u32 v4, s48, v35
	v_mul_lo_u32 v5, s49, v34
	v_mad_u64_u32 v[2:3], s[0:1], s48, v34, 0
	s_add_i32 s8, s52, -1
	s_sub_i32 s0, s33, s9
	v_add3_u32 v3, v3, v4, v5
	v_lshlrev_b64 v[2:3], 3, v[2:3]
	s_cmp_eq_u32 s6, s8
	v_mov_b32_e32 v4, s3
	v_add_co_u32_e32 v18, vcc, s2, v2
	s_cselect_b32 s22, s0, 0
	v_addc_co_u32_e32 v19, vcc, v4, v3, vcc
	v_cmp_ne_u32_e64 s[0:1], 0, v1
	v_cmp_eq_u32_e64 s[2:3], 0, v1
	s_and_saveexec_b64 s[8:9], s[2:3]
	s_cbranch_execz .LBB12_10
; %bb.6:
	s_cmp_lg_u32 s22, 0
	s_cselect_b64 s[10:11], -1, 0
	v_cmp_le_i32_e32 vcc, s22, v0
	v_mov_b32_e32 v2, 0x2380
	s_and_b64 s[10:11], s[10:11], vcc
	v_lshl_add_u32 v2, v0, 3, v2
	s_and_saveexec_b64 s[12:13], s[10:11]
	s_xor_b64 s[10:11], exec, s[12:13]
; %bb.7:
	v_mov_b32_e32 v3, 0
	v_mov_b32_e32 v4, v3
	ds_write_b64 v2, v[3:4]
                                        ; implicit-def: $vgpr2
; %bb.8:
	s_andn2_saveexec_b64 s[10:11], s[10:11]
	s_cbranch_execz .LBB12_10
; %bb.9:
	global_load_dwordx2 v[3:4], v[18:19], off
	s_waitcnt vmcnt(0)
	ds_write_b64 v2, v[3:4]
.LBB12_10:
	s_or_b64 exec, exec, s[8:9]
	v_lshl_add_u32 v24, v1, 6, v0
	s_mul_i32 s8, s43, s7
	s_mul_hi_u32 s9, s42, s7
	v_and_b32_e32 v2, 31, v0
	v_lshrrev_b32_e32 v7, 5, v24
	s_add_i32 s9, s9, s8
	s_mul_i32 s8, s42, s7
	v_mov_b32_e32 v3, 0
	s_lshl_b64 s[8:9], s[8:9], 3
	v_mad_u64_u32 v[3:4], s[10:11], s40, v7, v[2:3]
	s_add_u32 s12, s36, s8
	s_addc_u32 s13, s37, s9
	s_lshl_b64 s[8:9], s[38:39], 3
	s_add_u32 s10, s12, s8
	s_addc_u32 s11, s13, s9
	v_mad_u64_u32 v[4:5], s[8:9], s41, v7, v[4:5]
	s_ashr_i32 s25, s24, 31
	s_lshl_b64 s[8:9], s[24:25], 3
	s_add_u32 s8, s10, s8
	v_lshlrev_b64 v[20:21], 3, v[3:4]
	s_addc_u32 s9, s11, s9
	v_mov_b32_e32 v3, s9
	v_add_co_u32_e32 v4, vcc, s8, v20
	s_mul_hi_u32 s8, s40, s24
	s_mul_i32 s9, s40, s25
	s_add_i32 s8, s8, s9
	s_mul_i32 s9, s41, s24
	s_add_i32 s9, s8, s9
	s_mul_i32 s8, s40, s24
	v_addc_co_u32_e32 v5, vcc, v3, v21, vcc
	s_lshl_b64 s[26:27], s[8:9], 3
	v_mov_b32_e32 v6, s27
	v_add_co_u32_e32 v3, vcc, s26, v4
	s_cmp_lg_u32 s22, 0
	v_addc_co_u32_e32 v4, vcc, v5, v6, vcc
	s_cselect_b64 s[28:29], -1, 0
	s_cmp_eq_u32 s22, 0
	s_cselect_b64 s[18:19], -1, 0
	s_mov_b64 s[8:9], -1
	s_and_b64 vcc, exec, s[28:29]
	s_cbranch_vccnz .LBB12_12
; %bb.11:
	s_lshl_b64 s[8:9], s[40:41], 6
	v_mov_b32_e32 v11, s9
	v_add_co_u32_e32 v5, vcc, s8, v3
	v_addc_co_u32_e32 v6, vcc, v4, v11, vcc
	v_add_co_u32_e32 v8, vcc, s8, v5
	v_addc_co_u32_e32 v9, vcc, v6, v11, vcc
	;; [unrolled: 2-line block ×3, first 2 shown]
	global_load_dwordx2 v[12:13], v[3:4], off
	global_load_dwordx2 v[14:15], v[5:6], off
	;; [unrolled: 1-line block ×4, first 2 shown]
	v_mul_u32_u24_e32 v5, 0x108, v7
	v_lshl_add_u32 v5, v2, 3, v5
	s_mov_b64 s[8:9], 0
	s_waitcnt vmcnt(3)
	ds_write_b64 v5, v[12:13]
	s_waitcnt vmcnt(2)
	ds_write_b64 v5, v[14:15] offset:2112
	s_waitcnt vmcnt(1)
	ds_write_b64 v5, v[16:17] offset:4224
	;; [unrolled: 2-line block ×3, first 2 shown]
.LBB12_12:
	s_andn2_b64 vcc, exec, s[8:9]
	v_lshlrev_b32_e32 v8, 3, v2
	s_cbranch_vccnz .LBB12_30
; %bb.13:
	v_lshlrev_b32_e32 v9, 3, v2
	v_sub_co_u32_e32 v5, vcc, v3, v9
	s_ashr_i32 s23, s22, 31
	v_subbrev_co_u32_e32 v6, vcc, 0, v4, vcc
	s_lshl_b64 s[10:11], s[22:23], 3
	v_mov_b32_e32 v10, s11
	v_add_co_u32_e32 v5, vcc, s10, v5
	v_addc_co_u32_e32 v6, vcc, v6, v10, vcc
	v_add_co_u32_e32 v5, vcc, -8, v5
	v_addc_co_u32_e32 v6, vcc, -1, v6, vcc
	v_cmp_gt_i32_e32 vcc, s22, v2
	v_cndmask_b32_e32 v6, v6, v4, vcc
	v_cndmask_b32_e32 v5, v5, v3, vcc
	v_cmp_le_i32_e64 s[8:9], s22, v7
	v_mul_u32_u24_e32 v10, 0x108, v7
	s_and_saveexec_b64 s[12:13], s[8:9]
	s_xor_b64 s[8:9], exec, s[12:13]
; %bb.14:
	v_mov_b32_e32 v11, 0
	v_add_u32_e32 v13, v8, v10
	v_mov_b32_e32 v12, v11
	ds_write_b64 v13, v[11:12]
; %bb.15:
	s_andn2_saveexec_b64 s[8:9], s[8:9]
	s_cbranch_execz .LBB12_17
; %bb.16:
	global_load_dwordx2 v[11:12], v[5:6], off
	v_add_u32_e32 v13, v8, v10
	s_waitcnt vmcnt(0)
	ds_write_b64 v13, v[11:12]
.LBB12_17:
	s_or_b64 exec, exec, s[8:9]
	v_add_u32_e32 v11, 8, v7
	v_cmp_le_i32_e64 s[8:9], s22, v11
	s_and_saveexec_b64 s[12:13], s[8:9]
	s_xor_b64 s[8:9], exec, s[12:13]
; %bb.18:
	v_mov_b32_e32 v11, 0
	v_add_u32_e32 v13, v10, v8
	v_mov_b32_e32 v12, v11
	ds_write_b64 v13, v[11:12] offset:2112
; %bb.19:
	s_andn2_saveexec_b64 s[12:13], s[8:9]
	s_cbranch_execz .LBB12_21
; %bb.20:
	s_lshl_b64 s[8:9], s[40:41], 6
	v_mov_b32_e32 v12, s9
	v_add_co_u32_e64 v11, s[8:9], s8, v5
	v_addc_co_u32_e64 v12, s[8:9], v6, v12, s[8:9]
	global_load_dwordx2 v[11:12], v[11:12], off
	v_add_u32_e32 v13, v10, v8
	s_waitcnt vmcnt(0)
	ds_write_b64 v13, v[11:12] offset:2112
.LBB12_21:
	s_or_b64 exec, exec, s[12:13]
	v_add_u32_e32 v11, 16, v7
	v_cmp_le_i32_e64 s[8:9], s22, v11
	s_and_saveexec_b64 s[12:13], s[8:9]
	s_xor_b64 s[8:9], exec, s[12:13]
; %bb.22:
	v_mov_b32_e32 v11, 0
	v_add_u32_e32 v13, v10, v8
	v_mov_b32_e32 v12, v11
	ds_write_b64 v13, v[11:12] offset:4224
; %bb.23:
	s_andn2_saveexec_b64 s[12:13], s[8:9]
	s_cbranch_execz .LBB12_25
; %bb.24:
	s_lshl_b64 s[8:9], s[40:41], 7
	v_mov_b32_e32 v12, s9
	v_add_co_u32_e64 v11, s[8:9], s8, v5
	v_addc_co_u32_e64 v12, s[8:9], v6, v12, s[8:9]
	global_load_dwordx2 v[11:12], v[11:12], off
	v_add_u32_e32 v13, v10, v8
	s_waitcnt vmcnt(0)
	ds_write_b64 v13, v[11:12] offset:4224
.LBB12_25:
	s_or_b64 exec, exec, s[12:13]
	v_add_u32_e32 v11, 24, v7
	v_cmp_le_i32_e64 s[8:9], s22, v11
	s_and_saveexec_b64 s[12:13], s[8:9]
	s_xor_b64 s[8:9], exec, s[12:13]
; %bb.26:
	v_add_u32_e32 v12, v10, v8
	v_mov_b32_e32 v10, 0
	v_mov_b32_e32 v11, v10
	ds_write_b64 v12, v[10:11] offset:6336
                                        ; implicit-def: $vgpr10
; %bb.27:
	s_andn2_saveexec_b64 s[8:9], s[8:9]
	s_cbranch_execz .LBB12_29
; %bb.28:
	v_mov_b32_e32 v11, 0xc0
	v_mad_u64_u32 v[11:12], s[12:13], s40, v11, v[5:6]
	s_mul_i32 s12, s41, 0xc0
	v_add_u32_e32 v10, v10, v8
	v_add_u32_e32 v12, s12, v12
	global_load_dwordx2 v[11:12], v[11:12], off
	s_waitcnt vmcnt(0)
	ds_write_b64 v10, v[11:12] offset:6336
.LBB12_29:
	s_or_b64 exec, exec, s[8:9]
	v_add_co_u32_e64 v5, s[8:9], v5, v9
	v_addc_co_u32_e64 v6, s[8:9], 0, v6, s[8:9]
	v_mov_b32_e32 v9, s11
	v_subrev_co_u32_e64 v5, s[8:9], s10, v5
	v_subb_co_u32_e64 v6, s[8:9], v6, v9, s[8:9]
	v_add_co_u32_e64 v5, s[8:9], 8, v5
	v_addc_co_u32_e64 v6, s[8:9], 0, v6, s[8:9]
	v_cndmask_b32_e32 v4, v6, v4, vcc
	v_cndmask_b32_e32 v3, v5, v3, vcc
.LBB12_30:
	v_lshlrev_b32_e32 v5, 2, v7
	v_mul_u32_u24_e32 v6, 0x108, v2
	v_cmp_ge_u32_e64 s[8:9], v5, v2
	s_mov_b64 s[10:11], 0
	s_waitcnt lgkmcnt(0)
	s_barrier
                                        ; implicit-def: $vgpr9
	s_and_saveexec_b64 s[12:13], s[8:9]
	s_xor_b64 s[12:13], exec, s[12:13]
	s_cbranch_execz .LBB12_34
; %bb.31:
	v_cmp_eq_u32_e32 vcc, v5, v2
                                        ; implicit-def: $vgpr9
	s_and_saveexec_b64 s[14:15], vcc
	s_xor_b64 s[14:15], exec, s[14:15]
; %bb.32:
	s_mov_b64 s[10:11], exec
	v_add_u32_e32 v9, v8, v6
; %bb.33:
	s_or_b64 exec, exec, s[14:15]
	s_and_b64 s[10:11], s[10:11], exec
.LBB12_34:
	s_or_saveexec_b64 s[12:13], s[12:13]
	v_lshl_or_b32 v12, v2, 8, v8
	v_mov_b32_e32 v10, 0
	s_xor_b64 exec, exec, s[12:13]
	s_cbranch_execz .LBB12_36
; %bb.35:
	s_movk_i32 s14, 0x420
	v_mad_u32_u24 v9, v7, s14, v8
	ds_read_b64 v[13:14], v9
	v_lshl_add_u32 v9, v5, 3, v12
	s_or_b64 s[10:11], s[10:11], exec
	s_waitcnt lgkmcnt(0)
	v_xor_b32_e32 v10, 0x80000000, v14
	ds_write_b32 v9, v13
.LBB12_36:
	s_or_b64 exec, exec, s[12:13]
	s_and_saveexec_b64 s[12:13], s[10:11]
; %bb.37:
	ds_write_b32 v9, v10 offset:4
; %bb.38:
	s_or_b64 exec, exec, s[12:13]
	v_or_b32_e32 v9, 1, v5
	v_cmp_ge_u32_e64 s[10:11], v9, v2
	s_mov_b64 s[12:13], 0
                                        ; implicit-def: $vgpr10
	s_and_saveexec_b64 s[14:15], s[10:11]
	s_xor_b64 s[14:15], exec, s[14:15]
	s_cbranch_execnz .LBB12_100
; %bb.39:
	s_or_saveexec_b64 s[14:15], s[14:15]
	v_mov_b32_e32 v11, 0
	s_xor_b64 exec, exec, s[14:15]
	s_cbranch_execnz .LBB12_103
.LBB12_40:
	s_or_b64 exec, exec, s[14:15]
	s_and_saveexec_b64 s[14:15], s[12:13]
.LBB12_41:
	ds_write_b32 v10, v11 offset:4
.LBB12_42:
	s_or_b64 exec, exec, s[14:15]
	v_or_b32_e32 v10, 2, v5
	v_cmp_ge_u32_e64 s[12:13], v10, v2
	s_mov_b64 s[14:15], 0
                                        ; implicit-def: $vgpr11
	s_and_saveexec_b64 s[16:17], s[12:13]
	s_xor_b64 s[16:17], exec, s[16:17]
	s_cbranch_execnz .LBB12_104
; %bb.43:
	s_or_saveexec_b64 s[16:17], s[16:17]
	v_mov_b32_e32 v13, 0
	s_xor_b64 exec, exec, s[16:17]
	s_cbranch_execnz .LBB12_107
.LBB12_44:
	s_or_b64 exec, exec, s[16:17]
	s_and_saveexec_b64 s[16:17], s[14:15]
.LBB12_45:
	ds_write_b32 v11, v13 offset:4
.LBB12_46:
	s_or_b64 exec, exec, s[16:17]
	v_or_b32_e32 v11, 3, v5
	v_cmp_ge_u32_e64 s[14:15], v11, v2
	s_mov_b64 s[16:17], 0
                                        ; implicit-def: $vgpr13
	s_and_saveexec_b64 s[20:21], s[14:15]
	s_xor_b64 s[20:21], exec, s[20:21]
	s_cbranch_execnz .LBB12_108
; %bb.47:
	s_or_saveexec_b64 s[20:21], s[20:21]
	v_mov_b32_e32 v14, 0
	s_xor_b64 exec, exec, s[20:21]
	s_cbranch_execnz .LBB12_111
.LBB12_48:
	s_or_b64 exec, exec, s[20:21]
	s_and_saveexec_b64 s[20:21], s[16:17]
.LBB12_49:
	ds_write_b32 v13, v14 offset:4
.LBB12_50:
	s_or_b64 exec, exec, s[20:21]
	s_movk_i32 s16, 0x420
	v_mad_u32_u24 v12, v7, s16, v8
	s_movk_i32 s16, 0x108
	s_waitcnt lgkmcnt(0)
	s_barrier
	v_lshlrev_b32_e32 v14, 3, v5
	ds_read_b64 v[12:13], v12
	ds_read_b128 v[25:28], v14 offset:9088
	ds_read_b128 v[29:32], v14 offset:9104
	v_mad_u32_u24 v16, v9, s16, v8
	ds_read2_b64 v[37:40], v16 offset1:33
	v_mov_b32_e32 v36, 0
	s_waitcnt lgkmcnt(2)
	v_mul_f32_e32 v15, v26, v13
	v_fma_f32 v15, v25, v12, -v15
	v_mul_f32_e32 v13, v25, v13
	v_fmac_f32_e32 v13, v26, v12
	v_add_f32_e32 v12, 0, v15
	s_waitcnt lgkmcnt(0)
	v_mul_f32_e32 v15, v28, v38
	v_mul_f32_e32 v17, v27, v38
	v_add_f32_e32 v13, 0, v13
	v_fma_f32 v15, v27, v37, -v15
	v_fmac_f32_e32 v17, v28, v37
	v_add_f32_e32 v15, v12, v15
	v_add_f32_e32 v17, v13, v17
	ds_read_b64 v[12:13], v16 offset:528
	v_mul_f32_e32 v16, v30, v40
	v_mul_f32_e32 v22, v29, v40
	v_fma_f32 v16, v29, v39, -v16
	v_fmac_f32_e32 v22, v30, v39
	v_add_f32_e32 v15, v15, v16
	v_add_f32_e32 v16, v17, v22
	s_waitcnt lgkmcnt(0)
	v_mul_f32_e32 v17, v32, v13
	v_fma_f32 v17, v31, v12, -v17
	v_mul_f32_e32 v13, v31, v13
	v_fmac_f32_e32 v13, v32, v12
	v_add_f32_e32 v12, v15, v17
	v_mul_u32_u24_e32 v15, 33, v2
	v_lshlrev_b32_e32 v25, 3, v15
	v_add_f32_e32 v13, v16, v13
	v_lshl_add_u32 v26, v7, 3, v25
	v_cmp_gt_u32_e64 s[20:21], 32, v24
	v_mov_b32_e32 v37, 0
	s_barrier
	ds_write_b64 v26, v[12:13]
	s_waitcnt lgkmcnt(0)
	s_barrier
	s_and_saveexec_b64 s[16:17], s[20:21]
	s_cbranch_execz .LBB12_52
; %bb.51:
	ds_read2_b64 v[27:30], v25 offset1:7
	ds_read2_b64 v[36:39], v25 offset0:1 offset1:2
	ds_read2_b64 v[40:43], v25 offset0:3 offset1:4
	s_waitcnt lgkmcnt(1)
	v_add_f32_e32 v12, v36, v27
	v_add_f32_e32 v13, v37, v28
	;; [unrolled: 1-line block ×4, first 2 shown]
	ds_read2_b64 v[36:39], v25 offset0:5 offset1:6
	s_waitcnt lgkmcnt(1)
	v_add_f32_e32 v12, v12, v40
	v_add_f32_e32 v13, v13, v41
	;; [unrolled: 1-line block ×4, first 2 shown]
	s_waitcnt lgkmcnt(0)
	v_add_f32_e32 v12, v12, v36
	v_add_f32_e32 v13, v13, v37
	;; [unrolled: 1-line block ×6, first 2 shown]
.LBB12_52:
	s_or_b64 exec, exec, s[16:17]
	s_lshl_b64 s[16:17], s[40:41], 8
	v_mov_b32_e32 v12, s17
	v_add_co_u32_e32 v3, vcc, s16, v3
	v_addc_co_u32_e32 v4, vcc, v4, v12, vcc
	v_add_co_u32_e32 v12, vcc, 0x100, v3
	v_addc_co_u32_e32 v13, vcc, 0, v4, vcc
	v_cndmask_b32_e64 v15, 0, 1, s[18:19]
	v_cmp_ne_u32_e64 s[16:17], 1, v15
	s_andn2_b64 vcc, exec, s[18:19]
	s_mov_b64 s[18:19], -1
	s_barrier
	s_cbranch_vccnz .LBB12_54
; %bb.53:
	s_lshl_b64 s[18:19], s[40:41], 6
	v_mov_b32_e32 v17, s19
	v_add_co_u32_e32 v15, vcc, s18, v3
	v_addc_co_u32_e32 v16, vcc, v4, v17, vcc
	v_add_co_u32_e32 v22, vcc, s18, v15
	v_addc_co_u32_e32 v23, vcc, v16, v17, vcc
	v_add_co_u32_e32 v27, vcc, s18, v22
	v_addc_co_u32_e32 v28, vcc, v23, v17, vcc
	global_load_dwordx2 v[29:30], v[3:4], off offset:256
	global_load_dwordx2 v[31:32], v[15:16], off offset:256
	;; [unrolled: 1-line block ×4, first 2 shown]
	s_movk_i32 s18, 0x108
	v_mad_u32_u24 v15, v7, s18, v8
	s_mov_b64 s[18:19], 0
	s_waitcnt vmcnt(3)
	ds_write_b64 v15, v[29:30]
	s_waitcnt vmcnt(2)
	ds_write_b64 v15, v[31:32] offset:2112
	s_waitcnt vmcnt(1)
	ds_write_b64 v15, v[38:39] offset:4224
	;; [unrolled: 2-line block ×3, first 2 shown]
.LBB12_54:
	s_andn2_b64 vcc, exec, s[18:19]
	s_cbranch_vccnz .LBB12_72
; %bb.55:
	v_lshlrev_b32_e32 v15, 3, v2
	v_sub_co_u32_e32 v3, vcc, v3, v15
	s_ashr_i32 s23, s22, 31
	v_subbrev_co_u32_e32 v4, vcc, 0, v4, vcc
	s_lshl_b64 s[30:31], s[22:23], 3
	v_mov_b32_e32 v17, s31
	v_add_co_u32_e32 v3, vcc, s30, v3
	v_addc_co_u32_e32 v4, vcc, v4, v17, vcc
	v_or_b32_e32 v16, 32, v2
	v_add_co_u32_e32 v3, vcc, -8, v3
	v_addc_co_u32_e32 v4, vcc, -1, v4, vcc
	v_cmp_gt_i32_e64 s[18:19], s22, v16
	s_sub_i32 s23, s22, 32
	v_cndmask_b32_e64 v4, v4, v13, s[18:19]
	v_cndmask_b32_e64 v3, v3, v12, s[18:19]
	v_cmp_le_i32_e32 vcc, s23, v7
	v_mul_u32_u24_e32 v16, 0x108, v7
	s_and_saveexec_b64 s[34:35], vcc
	s_xor_b64 s[34:35], exec, s[34:35]
; %bb.56:
	v_mov_b32_e32 v22, 0
	v_add_u32_e32 v17, v8, v16
	v_mov_b32_e32 v23, v22
	ds_write_b64 v17, v[22:23]
; %bb.57:
	s_andn2_saveexec_b64 s[34:35], s[34:35]
	s_cbranch_execz .LBB12_59
; %bb.58:
	global_load_dwordx2 v[22:23], v[3:4], off
	v_add_u32_e32 v17, v8, v16
	s_waitcnt vmcnt(0)
	ds_write_b64 v17, v[22:23]
.LBB12_59:
	s_or_b64 exec, exec, s[34:35]
	v_add_u32_e32 v17, 8, v7
	v_cmp_le_i32_e32 vcc, s23, v17
	s_and_saveexec_b64 s[34:35], vcc
	s_xor_b64 s[34:35], exec, s[34:35]
; %bb.60:
	v_mov_b32_e32 v22, 0
	v_add_u32_e32 v17, v16, v8
	v_mov_b32_e32 v23, v22
	ds_write_b64 v17, v[22:23] offset:2112
; %bb.61:
	s_andn2_saveexec_b64 s[34:35], s[34:35]
	s_cbranch_execz .LBB12_63
; %bb.62:
	s_lshl_b64 s[36:37], s[40:41], 6
	v_mov_b32_e32 v17, s37
	v_add_co_u32_e32 v22, vcc, s36, v3
	v_addc_co_u32_e32 v23, vcc, v4, v17, vcc
	global_load_dwordx2 v[22:23], v[22:23], off
	v_add_u32_e32 v17, v16, v8
	s_waitcnt vmcnt(0)
	ds_write_b64 v17, v[22:23] offset:2112
.LBB12_63:
	s_or_b64 exec, exec, s[34:35]
	v_add_u32_e32 v17, 16, v7
	v_cmp_le_i32_e32 vcc, s23, v17
	s_and_saveexec_b64 s[34:35], vcc
	s_xor_b64 s[34:35], exec, s[34:35]
; %bb.64:
	v_mov_b32_e32 v22, 0
	v_add_u32_e32 v17, v16, v8
	v_mov_b32_e32 v23, v22
	ds_write_b64 v17, v[22:23] offset:4224
; %bb.65:
	s_andn2_saveexec_b64 s[34:35], s[34:35]
	s_cbranch_execz .LBB12_67
; %bb.66:
	s_lshl_b64 s[36:37], s[40:41], 7
	v_mov_b32_e32 v17, s37
	v_add_co_u32_e32 v22, vcc, s36, v3
	v_addc_co_u32_e32 v23, vcc, v4, v17, vcc
	global_load_dwordx2 v[22:23], v[22:23], off
	v_add_u32_e32 v17, v16, v8
	s_waitcnt vmcnt(0)
	ds_write_b64 v17, v[22:23] offset:4224
.LBB12_67:
	s_or_b64 exec, exec, s[34:35]
	v_add_u32_e32 v17, 24, v7
	v_cmp_le_i32_e32 vcc, s23, v17
	s_and_saveexec_b64 s[34:35], vcc
	s_xor_b64 s[34:35], exec, s[34:35]
; %bb.68:
	v_add_u32_e32 v22, v16, v8
	v_mov_b32_e32 v16, 0
	v_mov_b32_e32 v17, v16
	ds_write_b64 v22, v[16:17] offset:6336
                                        ; implicit-def: $vgpr16
; %bb.69:
	s_andn2_saveexec_b64 s[34:35], s[34:35]
	s_cbranch_execz .LBB12_71
; %bb.70:
	v_mov_b32_e32 v17, 0xc0
	v_mad_u64_u32 v[22:23], s[36:37], s40, v17, v[3:4]
	s_mul_i32 s23, s41, 0xc0
	v_add_u32_e32 v16, v16, v8
	v_add_u32_e32 v23, s23, v23
	global_load_dwordx2 v[22:23], v[22:23], off
	s_waitcnt vmcnt(0)
	ds_write_b64 v16, v[22:23] offset:6336
.LBB12_71:
	s_or_b64 exec, exec, s[34:35]
	v_add_co_u32_e32 v3, vcc, v3, v15
	v_addc_co_u32_e32 v4, vcc, 0, v4, vcc
	v_mov_b32_e32 v15, s31
	v_subrev_co_u32_e32 v3, vcc, s30, v3
	v_subb_co_u32_e32 v4, vcc, v4, v15, vcc
	v_add_co_u32_e32 v3, vcc, 0x108, v3
	v_addc_co_u32_e32 v4, vcc, 0, v4, vcc
	v_cndmask_b32_e64 v13, v4, v13, s[18:19]
	v_cndmask_b32_e64 v12, v3, v12, s[18:19]
.LBB12_72:
	v_mul_u32_u24_e32 v3, 0x420, v7
	v_add_u32_e32 v4, 0x2380, v14
	v_mul_u32_u24_e32 v14, 0x108, v9
	s_lshl_b64 s[18:19], s[40:41], 5
	s_mov_b64 s[30:31], 0
	s_waitcnt lgkmcnt(0)
	s_barrier
                                        ; implicit-def: $vgpr15
	s_and_saveexec_b64 s[34:35], s[8:9]
	s_xor_b64 s[8:9], exec, s[34:35]
	s_cbranch_execz .LBB12_76
; %bb.73:
	v_cmp_eq_u32_e32 vcc, v5, v2
                                        ; implicit-def: $vgpr15
	s_and_saveexec_b64 s[34:35], vcc
	s_xor_b64 s[34:35], exec, s[34:35]
; %bb.74:
	s_mov_b64 s[30:31], exec
	v_add_u32_e32 v15, v8, v6
; %bb.75:
	s_or_b64 exec, exec, s[34:35]
	s_and_b64 s[30:31], s[30:31], exec
.LBB12_76:
	s_or_saveexec_b64 s[8:9], s[8:9]
	v_mov_b32_e32 v16, 0
	v_add_u32_e32 v3, v8, v3
	s_xor_b64 exec, exec, s[8:9]
	s_cbranch_execz .LBB12_78
; %bb.77:
	ds_read_b64 v[22:23], v3
	v_lshl_add_u32 v15, v5, 3, v25
	s_or_b64 s[30:31], s[30:31], exec
	s_waitcnt lgkmcnt(0)
	v_xor_b32_e32 v16, 0x80000000, v23
	ds_write_b32 v15, v22
.LBB12_78:
	s_or_b64 exec, exec, s[8:9]
	s_and_saveexec_b64 s[8:9], s[30:31]
; %bb.79:
	ds_write_b32 v15, v16 offset:4
; %bb.80:
	s_or_b64 exec, exec, s[8:9]
	s_mov_b64 s[8:9], 0
                                        ; implicit-def: $vgpr15
	s_and_saveexec_b64 s[30:31], s[10:11]
	s_xor_b64 s[10:11], exec, s[30:31]
	s_cbranch_execz .LBB12_84
; %bb.81:
	v_cmp_eq_u32_e32 vcc, v9, v2
                                        ; implicit-def: $vgpr15
	s_and_saveexec_b64 s[30:31], vcc
; %bb.82:
	s_mov_b64 s[8:9], exec
	v_add_u32_e32 v15, v8, v6
; %bb.83:
	s_or_b64 exec, exec, s[30:31]
	s_and_b64 s[8:9], s[8:9], exec
.LBB12_84:
	s_or_saveexec_b64 s[10:11], s[10:11]
	v_mov_b32_e32 v16, 0
	v_add_u32_e32 v9, v8, v14
	s_xor_b64 exec, exec, s[10:11]
	s_cbranch_execz .LBB12_86
; %bb.85:
	ds_read_b64 v[22:23], v9
	v_lshl_add_u32 v14, v5, 3, v25
	v_add_u32_e32 v15, 8, v14
	s_or_b64 s[8:9], s[8:9], exec
	s_waitcnt lgkmcnt(0)
	v_xor_b32_e32 v16, 0x80000000, v23
	ds_write_b32 v14, v22 offset:8
.LBB12_86:
	s_or_b64 exec, exec, s[10:11]
	s_and_saveexec_b64 s[10:11], s[8:9]
; %bb.87:
	ds_write_b32 v15, v16 offset:4
; %bb.88:
	s_or_b64 exec, exec, s[10:11]
	s_mov_b64 s[8:9], 0
                                        ; implicit-def: $vgpr14
	s_and_saveexec_b64 s[10:11], s[12:13]
	s_xor_b64 s[10:11], exec, s[10:11]
	s_cbranch_execnz .LBB12_112
; %bb.89:
	s_or_saveexec_b64 s[10:11], s[10:11]
	v_mov_b32_e32 v10, 0
	s_xor_b64 exec, exec, s[10:11]
	s_cbranch_execnz .LBB12_115
.LBB12_90:
	s_or_b64 exec, exec, s[10:11]
	s_and_saveexec_b64 s[10:11], s[8:9]
.LBB12_91:
	ds_write_b32 v14, v10 offset:4
.LBB12_92:
	s_or_b64 exec, exec, s[10:11]
	s_mov_b64 s[8:9], 0
                                        ; implicit-def: $vgpr10
	s_and_saveexec_b64 s[10:11], s[14:15]
	s_xor_b64 s[10:11], exec, s[10:11]
	s_cbranch_execnz .LBB12_116
; %bb.93:
	s_or_saveexec_b64 s[10:11], s[10:11]
	v_mov_b32_e32 v6, 0
	s_xor_b64 exec, exec, s[10:11]
	s_cbranch_execnz .LBB12_119
.LBB12_94:
	s_or_b64 exec, exec, s[10:11]
	s_and_saveexec_b64 s[10:11], s[8:9]
.LBB12_95:
	ds_write_b32 v10, v6 offset:4
.LBB12_96:
	s_or_b64 exec, exec, s[10:11]
	s_waitcnt lgkmcnt(0)
	s_barrier
	ds_read_b64 v[10:11], v3
	ds_read_b128 v[14:17], v4 offset:256
	ds_read_b128 v[27:30], v4 offset:272
	ds_read_b64 v[22:23], v9 offset:528
	ds_read2_b64 v[38:41], v9 offset1:33
	v_cmp_eq_u32_e64 s[8:9], 1, v7
	s_waitcnt lgkmcnt(3)
	v_mul_f32_e32 v3, v15, v11
	v_mul_f32_e32 v6, v14, v11
	v_fma_f32 v3, v14, v10, -v3
	v_fmac_f32_e32 v6, v15, v10
	s_waitcnt lgkmcnt(0)
	v_mul_f32_e32 v9, v17, v39
	v_mul_f32_e32 v10, v16, v39
	v_add_f32_e32 v3, 0, v3
	v_add_f32_e32 v6, 0, v6
	v_fma_f32 v9, v16, v38, -v9
	v_fmac_f32_e32 v10, v17, v38
	v_add_f32_e32 v3, v3, v9
	v_add_f32_e32 v6, v6, v10
	v_mul_f32_e32 v9, v28, v41
	v_mul_f32_e32 v10, v27, v41
	v_fma_f32 v9, v27, v40, -v9
	v_fmac_f32_e32 v10, v28, v40
	v_add_f32_e32 v3, v3, v9
	v_add_f32_e32 v6, v6, v10
	v_mul_f32_e32 v9, v30, v23
	v_mul_f32_e32 v10, v29, v23
	v_fma_f32 v9, v29, v22, -v9
	v_fmac_f32_e32 v10, v30, v22
	v_add_f32_e32 v9, v3, v9
	v_add_f32_e32 v10, v6, v10
	s_barrier
	ds_write_b64 v26, v[9:10]
	s_waitcnt lgkmcnt(0)
	s_barrier
	s_and_saveexec_b64 s[10:11], s[8:9]
	s_cbranch_execz .LBB12_98
; %bb.97:
	ds_read2_b64 v[14:17], v25 offset1:7
	ds_read2_b64 v[27:30], v25 offset0:1 offset1:2
	ds_read2_b64 v[36:39], v25 offset0:3 offset1:4
	s_waitcnt lgkmcnt(1)
	v_add_f32_e32 v3, v27, v14
	v_add_f32_e32 v6, v28, v15
	v_add_f32_e32 v3, v29, v3
	v_add_f32_e32 v6, v30, v6
	ds_read2_b64 v[27:30], v25 offset0:5 offset1:6
	s_waitcnt lgkmcnt(1)
	v_add_f32_e32 v3, v3, v36
	v_add_f32_e32 v6, v6, v37
	;; [unrolled: 1-line block ×4, first 2 shown]
	s_waitcnt lgkmcnt(0)
	v_add_f32_e32 v3, v3, v27
	v_add_f32_e32 v6, v6, v28
	;; [unrolled: 1-line block ×6, first 2 shown]
.LBB12_98:
	s_or_b64 exec, exec, s[10:11]
	s_lshl_b64 s[10:11], s[18:19], 3
	v_mov_b32_e32 v3, s11
	v_subrev_co_u32_e64 v22, s[10:11], s10, v12
	s_and_b64 vcc, exec, s[16:17]
	v_subb_co_u32_e64 v23, s[10:11], v13, v3, s[10:11]
	s_barrier
	s_cbranch_vccnz .LBB12_120
; %bb.99:
	s_lshl_b64 s[10:11], s[40:41], 6
	v_mov_b32_e32 v3, s11
	v_add_co_u32_e32 v9, vcc, s10, v22
	v_addc_co_u32_e32 v10, vcc, v23, v3, vcc
	v_add_co_u32_e32 v11, vcc, s10, v9
	v_addc_co_u32_e32 v12, vcc, v10, v3, vcc
	;; [unrolled: 2-line block ×3, first 2 shown]
	global_load_dwordx2 v[15:16], v[22:23], off
	global_load_dwordx2 v[27:28], v[9:10], off
	;; [unrolled: 1-line block ×4, first 2 shown]
	s_movk_i32 s10, 0x108
	v_mov_b32_e32 v3, 0x840
	v_mov_b32_e32 v13, 0x1080
	;; [unrolled: 1-line block ×3, first 2 shown]
	v_mul_u32_u24_e32 v6, 0x108, v7
	v_add_u32_e32 v9, 8, v7
	v_add_u32_e32 v10, 16, v7
	;; [unrolled: 1-line block ×3, first 2 shown]
	v_mad_u32_u24 v17, v7, s10, v8
	v_mad_u32_u24 v11, v7, s10, v3
	v_mad_u32_u24 v3, v7, s10, v13
	v_mad_u32_u24 v13, v7, s10, v14
	v_add_u32_e32 v14, v8, v11
	v_add_u32_e32 v33, v8, v3
	v_add_u32_e32 v38, v8, v13
	s_waitcnt vmcnt(3)
	ds_write_b64 v17, v[15:16]
	s_waitcnt vmcnt(2)
	ds_write_b64 v14, v[27:28]
	s_waitcnt vmcnt(1)
	ds_write_b64 v33, v[29:30]
	s_waitcnt vmcnt(0)
	ds_write_b64 v38, v[31:32]
	s_cbranch_execz .LBB12_121
	s_branch .LBB12_138
.LBB12_100:
	v_cmp_eq_u32_e32 vcc, v9, v2
                                        ; implicit-def: $vgpr10
	s_and_saveexec_b64 s[16:17], vcc
; %bb.101:
	s_mov_b64 s[12:13], exec
	v_add_u32_e32 v10, v8, v6
; %bb.102:
	s_or_b64 exec, exec, s[16:17]
	s_and_b64 s[12:13], s[12:13], exec
	s_or_saveexec_b64 s[14:15], s[14:15]
	v_mov_b32_e32 v11, 0
	s_xor_b64 exec, exec, s[14:15]
	s_cbranch_execz .LBB12_40
.LBB12_103:
	s_movk_i32 s16, 0x108
	v_mad_u32_u24 v10, v9, s16, v8
	ds_read_b64 v[13:14], v10
	v_lshl_add_u32 v15, v5, 3, v12
	v_add_u32_e32 v10, 8, v15
	s_or_b64 s[12:13], s[12:13], exec
	s_waitcnt lgkmcnt(0)
	v_xor_b32_e32 v11, 0x80000000, v14
	ds_write_b32 v15, v13 offset:8
	s_or_b64 exec, exec, s[14:15]
	s_and_saveexec_b64 s[14:15], s[12:13]
	s_cbranch_execnz .LBB12_41
	s_branch .LBB12_42
.LBB12_104:
	v_cmp_eq_u32_e32 vcc, v10, v2
                                        ; implicit-def: $vgpr11
	s_and_saveexec_b64 s[20:21], vcc
; %bb.105:
	s_mov_b64 s[14:15], exec
	v_add_u32_e32 v11, v8, v6
; %bb.106:
	s_or_b64 exec, exec, s[20:21]
	s_and_b64 s[14:15], s[14:15], exec
	s_or_saveexec_b64 s[16:17], s[16:17]
	v_mov_b32_e32 v13, 0
	s_xor_b64 exec, exec, s[16:17]
	s_cbranch_execz .LBB12_44
.LBB12_107:
	s_movk_i32 s20, 0x108
	v_mad_u32_u24 v11, v10, s20, v8
	ds_read_b64 v[14:15], v11
	v_lshl_add_u32 v16, v5, 3, v12
	v_add_u32_e32 v11, 16, v16
	s_or_b64 s[14:15], s[14:15], exec
	s_waitcnt lgkmcnt(0)
	v_xor_b32_e32 v13, 0x80000000, v15
	ds_write_b32 v16, v14 offset:16
	s_or_b64 exec, exec, s[16:17]
	s_and_saveexec_b64 s[16:17], s[14:15]
	s_cbranch_execnz .LBB12_45
	s_branch .LBB12_46
.LBB12_108:
	v_cmp_eq_u32_e32 vcc, v11, v2
                                        ; implicit-def: $vgpr13
	s_and_saveexec_b64 s[30:31], vcc
; %bb.109:
	s_mov_b64 s[16:17], exec
	v_add_u32_e32 v13, v8, v6
; %bb.110:
	s_or_b64 exec, exec, s[30:31]
	s_and_b64 s[16:17], s[16:17], exec
                                        ; implicit-def: $vgpr12
	s_or_saveexec_b64 s[20:21], s[20:21]
	v_mov_b32_e32 v14, 0
	s_xor_b64 exec, exec, s[20:21]
	s_cbranch_execz .LBB12_48
.LBB12_111:
	s_movk_i32 s23, 0x108
	v_mad_u32_u24 v13, v11, s23, v8
	ds_read_b64 v[15:16], v13
	v_lshl_add_u32 v12, v5, 3, v12
	v_add_u32_e32 v13, 24, v12
	s_or_b64 s[16:17], s[16:17], exec
	s_waitcnt lgkmcnt(0)
	v_xor_b32_e32 v14, 0x80000000, v16
	ds_write_b32 v12, v15 offset:24
	s_or_b64 exec, exec, s[20:21]
	s_and_saveexec_b64 s[20:21], s[16:17]
	s_cbranch_execnz .LBB12_49
	s_branch .LBB12_50
.LBB12_112:
	v_cmp_eq_u32_e32 vcc, v10, v2
                                        ; implicit-def: $vgpr14
	s_and_saveexec_b64 s[12:13], vcc
; %bb.113:
	s_mov_b64 s[8:9], exec
	v_add_u32_e32 v14, v8, v6
; %bb.114:
	s_or_b64 exec, exec, s[12:13]
	s_and_b64 s[8:9], s[8:9], exec
	s_or_saveexec_b64 s[10:11], s[10:11]
	v_mov_b32_e32 v10, 0
	s_xor_b64 exec, exec, s[10:11]
	s_cbranch_execz .LBB12_90
.LBB12_115:
	ds_read_b64 v[15:16], v9 offset:264
	v_lshl_add_u32 v17, v5, 3, v25
	v_add_u32_e32 v14, 16, v17
	s_or_b64 s[8:9], s[8:9], exec
	s_waitcnt lgkmcnt(0)
	v_xor_b32_e32 v10, 0x80000000, v16
	ds_write_b32 v17, v15 offset:16
	s_or_b64 exec, exec, s[10:11]
	s_and_saveexec_b64 s[10:11], s[8:9]
	s_cbranch_execnz .LBB12_91
	s_branch .LBB12_92
.LBB12_116:
	v_cmp_eq_u32_e32 vcc, v11, v2
                                        ; implicit-def: $vgpr10
	s_and_saveexec_b64 s[12:13], vcc
; %bb.117:
	s_mov_b64 s[8:9], exec
	v_add_u32_e32 v10, v8, v6
; %bb.118:
	s_or_b64 exec, exec, s[12:13]
	s_and_b64 s[8:9], s[8:9], exec
	s_or_saveexec_b64 s[10:11], s[10:11]
	v_mov_b32_e32 v6, 0
	s_xor_b64 exec, exec, s[10:11]
	s_cbranch_execz .LBB12_94
.LBB12_119:
	ds_read_b64 v[14:15], v9 offset:528
	v_lshl_add_u32 v11, v5, 3, v25
	v_add_u32_e32 v10, 24, v11
	s_or_b64 s[8:9], s[8:9], exec
	s_waitcnt lgkmcnt(0)
	v_xor_b32_e32 v6, 0x80000000, v15
	ds_write_b32 v11, v14 offset:24
	s_or_b64 exec, exec, s[10:11]
	s_and_saveexec_b64 s[10:11], s[8:9]
	s_cbranch_execnz .LBB12_95
	s_branch .LBB12_96
.LBB12_120:
                                        ; implicit-def: $vgpr6
                                        ; implicit-def: $vgpr9
                                        ; implicit-def: $vgpr11
                                        ; implicit-def: $vgpr10
                                        ; implicit-def: $vgpr3
                                        ; implicit-def: $vgpr12
                                        ; implicit-def: $vgpr13
.LBB12_121:
	v_lshlrev_b32_e32 v11, 3, v2
	v_or_b32_e32 v3, 32, v2
	v_sub_co_u32_e32 v2, vcc, v22, v11
	s_ashr_i32 s23, s22, 31
	v_subbrev_co_u32_e32 v6, vcc, 0, v23, vcc
	s_lshl_b64 s[12:13], s[22:23], 3
	v_mov_b32_e32 v9, s13
	v_add_co_u32_e32 v2, vcc, s12, v2
	v_addc_co_u32_e32 v6, vcc, v6, v9, vcc
	v_add_co_u32_e32 v2, vcc, 0xfffffef8, v2
	v_addc_co_u32_e32 v6, vcc, -1, v6, vcc
	v_cmp_gt_i32_e64 s[10:11], s22, v3
	v_cndmask_b32_e64 v3, v6, v23, s[10:11]
	v_cndmask_b32_e64 v2, v2, v22, s[10:11]
	v_cmp_le_i32_e32 vcc, s22, v7
	v_mul_u32_u24_e32 v6, 0x108, v7
	s_and_saveexec_b64 s[14:15], vcc
	s_xor_b64 s[14:15], exec, s[14:15]
; %bb.122:
	v_mov_b32_e32 v9, 0
	v_add_u32_e32 v12, v8, v6
	v_mov_b32_e32 v10, v9
	ds_write_b64 v12, v[9:10]
; %bb.123:
	s_andn2_saveexec_b64 s[14:15], s[14:15]
	s_cbranch_execz .LBB12_125
; %bb.124:
	global_load_dwordx2 v[9:10], v[2:3], off
	v_add_u32_e32 v12, v8, v6
	s_waitcnt vmcnt(0)
	ds_write_b64 v12, v[9:10]
.LBB12_125:
	s_or_b64 exec, exec, s[14:15]
	v_add_u32_e32 v9, 8, v7
	v_cmp_le_i32_e32 vcc, s22, v9
	s_and_saveexec_b64 s[14:15], vcc
	s_xor_b64 s[14:15], exec, s[14:15]
; %bb.126:
	v_mov_b32_e32 v12, 0
	v_add_u32_e32 v10, v6, v8
	v_mov_b32_e32 v13, v12
	ds_write_b64 v10, v[12:13] offset:2112
; %bb.127:
	s_andn2_saveexec_b64 s[14:15], s[14:15]
	s_cbranch_execz .LBB12_129
; %bb.128:
	s_lshl_b64 s[16:17], s[40:41], 6
	v_mov_b32_e32 v10, s17
	v_add_co_u32_e32 v12, vcc, s16, v2
	v_addc_co_u32_e32 v13, vcc, v3, v10, vcc
	global_load_dwordx2 v[12:13], v[12:13], off
	v_add_u32_e32 v10, v6, v8
	s_waitcnt vmcnt(0)
	ds_write_b64 v10, v[12:13] offset:2112
.LBB12_129:
	s_or_b64 exec, exec, s[14:15]
	v_add_u32_e32 v10, 16, v7
	v_cmp_le_i32_e32 vcc, s22, v10
	s_and_saveexec_b64 s[14:15], vcc
	s_xor_b64 s[14:15], exec, s[14:15]
; %bb.130:
	v_mov_b32_e32 v12, 0
	v_add_u32_e32 v14, v6, v8
	v_mov_b32_e32 v13, v12
	ds_write_b64 v14, v[12:13] offset:4224
; %bb.131:
	s_andn2_saveexec_b64 s[14:15], s[14:15]
	s_cbranch_execz .LBB12_133
; %bb.132:
	s_lshl_b64 s[16:17], s[40:41], 7
	v_mov_b32_e32 v13, s17
	v_add_co_u32_e32 v12, vcc, s16, v2
	v_addc_co_u32_e32 v13, vcc, v3, v13, vcc
	global_load_dwordx2 v[12:13], v[12:13], off
	v_add_u32_e32 v14, v6, v8
	s_waitcnt vmcnt(0)
	ds_write_b64 v14, v[12:13] offset:4224
.LBB12_133:
	s_or_b64 exec, exec, s[14:15]
	v_add_u32_e32 v12, 24, v7
	v_cmp_le_i32_e32 vcc, s22, v12
                                        ; implicit-def: $vgpr13
	s_and_saveexec_b64 s[14:15], vcc
	s_xor_b64 s[14:15], exec, s[14:15]
; %bb.134:
	v_add_u32_e32 v13, 0x18c0, v6
	v_mov_b32_e32 v14, 0
	v_add_u32_e32 v16, v8, v13
	v_mov_b32_e32 v15, v14
	ds_write_b64 v16, v[14:15]
; %bb.135:
	s_andn2_saveexec_b64 s[14:15], s[14:15]
	s_cbranch_execz .LBB12_137
; %bb.136:
	v_mov_b32_e32 v13, 0xc0
	v_mad_u64_u32 v[13:14], s[16:17], s40, v13, v[2:3]
	s_mul_i32 s16, s41, 0xc0
	v_add_u32_e32 v14, s16, v14
	global_load_dwordx2 v[14:15], v[13:14], off
	v_add_u32_e32 v13, 0x18c0, v6
	v_add_u32_e32 v16, v8, v13
	s_waitcnt vmcnt(0)
	ds_write_b64 v16, v[14:15]
.LBB12_137:
	s_or_b64 exec, exec, s[14:15]
	v_add_co_u32_e32 v2, vcc, v2, v11
	v_addc_co_u32_e32 v3, vcc, 0, v3, vcc
	v_mov_b32_e32 v11, s13
	v_subrev_co_u32_e32 v2, vcc, s12, v2
	v_subb_co_u32_e32 v3, vcc, v3, v11, vcc
	v_add_co_u32_e32 v2, vcc, 0x108, v2
	v_addc_co_u32_e32 v3, vcc, 0, v3, vcc
	v_cndmask_b32_e64 v23, v3, v23, s[10:11]
	v_cndmask_b32_e64 v22, v2, v22, s[10:11]
	v_add_u32_e32 v11, 0x840, v6
	v_add_u32_e32 v3, 0x1080, v6
.LBB12_138:
	v_add_u32_e32 v2, v8, v6
	v_lshlrev_b32_e32 v14, 3, v7
	s_waitcnt lgkmcnt(0)
	s_barrier
	ds_read_b64 v[6:7], v2
	ds_read_b64 v[14:15], v14 offset:9088
	v_add_u32_e32 v2, v8, v11
	v_lshlrev_b32_e32 v9, 3, v9
	ds_read_b64 v[27:28], v2
	ds_read_b64 v[29:30], v9 offset:9088
	v_add_u32_e32 v3, v8, v3
	v_lshlrev_b32_e32 v10, 3, v10
	;; [unrolled: 4-line block ×3, first 2 shown]
	ds_read2_b32 v[40:41], v3 offset1:1
	ds_read_b64 v[42:43], v8 offset:9088
	s_waitcnt lgkmcnt(6)
	v_mul_f32_e32 v2, v15, v7
	v_fma_f32 v2, v14, v6, -v2
	s_waitcnt lgkmcnt(4)
	v_mul_f32_e32 v9, v30, v28
	v_add_f32_e32 v2, 0, v2
	v_fma_f32 v9, v29, v27, -v9
	s_waitcnt lgkmcnt(2)
	v_mul_f32_e32 v3, v39, v32
	v_add_f32_e32 v2, v2, v9
	v_fma_f32 v3, v38, v31, -v3
	v_mul_f32_e32 v33, v14, v7
	v_add_f32_e32 v2, v2, v3
	s_waitcnt lgkmcnt(0)
	v_mul_f32_e32 v3, v43, v41
	v_fmac_f32_e32 v33, v15, v6
	v_mul_f32_e32 v28, v29, v28
	v_fma_f32 v3, v42, v40, -v3
	v_lshl_add_u32 v8, v5, 3, v25
	v_add_f32_e32 v33, 0, v33
	v_fmac_f32_e32 v28, v30, v27
	v_add_f32_e32 v44, v2, v3
	ds_read_b128 v[10:13], v4 offset:256
	ds_read_b128 v[2:5], v4 offset:272
	ds_read2_b64 v[14:17], v8 offset1:1
	ds_read2_b64 v[6:9], v8 offset0:2 offset1:3
	v_add_f32_e32 v27, v33, v28
	v_mul_f32_e32 v28, v38, v32
	v_fmac_f32_e32 v28, v39, v31
	v_add_f32_e32 v27, v27, v28
	v_mul_f32_e32 v28, v42, v41
	v_fmac_f32_e32 v28, v43, v40
	v_add_f32_e32 v45, v27, v28
	s_waitcnt lgkmcnt(0)
	s_barrier
	ds_write_b64 v26, v[44:45]
	s_waitcnt lgkmcnt(0)
	s_barrier
	s_and_saveexec_b64 s[10:11], s[8:9]
	s_cbranch_execz .LBB12_140
; %bb.139:
	ds_read2_b64 v[27:30], v25 offset1:1
	ds_read2_b64 v[38:41], v25 offset0:2 offset1:3
	ds_read2_b64 v[42:45], v25 offset0:4 offset1:5
	s_waitcnt lgkmcnt(2)
	v_add_f32_e32 v27, v36, v27
	v_add_f32_e32 v28, v37, v28
	;; [unrolled: 1-line block ×4, first 2 shown]
	s_waitcnt lgkmcnt(1)
	v_add_f32_e32 v27, v27, v38
	v_add_f32_e32 v28, v28, v39
	;; [unrolled: 1-line block ×4, first 2 shown]
	ds_read2_b64 v[27:30], v25 offset0:6 offset1:7
	s_waitcnt lgkmcnt(1)
	v_add_f32_e32 v31, v31, v42
	v_add_f32_e32 v32, v32, v43
	;; [unrolled: 1-line block ×4, first 2 shown]
	s_waitcnt lgkmcnt(0)
	v_add_f32_e32 v27, v31, v27
	v_add_f32_e32 v28, v32, v28
	;; [unrolled: 1-line block ×4, first 2 shown]
.LBB12_140:
	s_or_b64 exec, exec, s[10:11]
	v_mul_f32_e32 v27, v15, v11
	v_fmac_f32_e32 v27, v14, v10
	v_mul_f32_e32 v10, v15, v10
	v_fma_f32 v10, v14, v11, -v10
	v_mul_f32_e32 v14, v17, v13
	v_fmac_f32_e32 v14, v16, v12
	v_mul_f32_e32 v12, v17, v12
	v_add_f32_e32 v10, 0, v10
	v_fma_f32 v12, v16, v13, -v12
	v_add_f32_e32 v10, v10, v12
	v_mul_f32_e32 v12, v7, v3
	v_fmac_f32_e32 v12, v6, v2
	v_mul_f32_e32 v2, v7, v2
	v_fma_f32 v2, v6, v3, -v2
	v_add_f32_e32 v11, 0, v27
	v_add_f32_e32 v6, v10, v2
	v_mul_f32_e32 v2, v9, v5
	v_add_f32_e32 v11, v11, v14
	v_fmac_f32_e32 v2, v8, v4
	v_mul_f32_e32 v4, v9, v4
	v_add_f32_e32 v3, v11, v12
	v_fma_f32 v4, v8, v5, -v4
	v_add_f32_e32 v2, v3, v2
	v_add_f32_e32 v3, v6, v4
	s_barrier
	ds_write_b64 v26, v[2:3]
	s_waitcnt lgkmcnt(0)
	s_barrier
	s_and_saveexec_b64 s[8:9], s[20:21]
	s_cbranch_execz .LBB12_142
; %bb.141:
	ds_read2_b64 v[2:5], v25 offset1:1
	ds_read2_b64 v[6:9], v25 offset0:2 offset1:3
	ds_read2_b64 v[10:13], v25 offset0:4 offset1:5
	s_waitcnt lgkmcnt(2)
	v_add_f32_e32 v2, v36, v2
	v_add_f32_e32 v3, v37, v3
	;; [unrolled: 1-line block ×4, first 2 shown]
	s_waitcnt lgkmcnt(1)
	v_add_f32_e32 v2, v2, v6
	v_add_f32_e32 v3, v3, v7
	;; [unrolled: 1-line block ×4, first 2 shown]
	ds_read2_b64 v[2:5], v25 offset0:6 offset1:7
	s_waitcnt lgkmcnt(1)
	v_add_f32_e32 v6, v6, v10
	v_add_f32_e32 v7, v7, v11
	;; [unrolled: 1-line block ×4, first 2 shown]
	s_waitcnt lgkmcnt(0)
	v_add_f32_e32 v2, v6, v2
	v_add_f32_e32 v3, v7, v3
	v_add_f32_e32 v36, v2, v4
	v_add_f32_e32 v37, v3, v5
.LBB12_142:
	s_or_b64 exec, exec, s[8:9]
	s_load_dwordx2 s[4:5], s[4:5], 0x68
	s_mul_hi_u32 s8, s33, s7
	s_mul_i32 s44, s44, s7
	s_add_i32 s8, s8, s44
	s_mul_i32 s7, s33, s7
	s_mul_i32 s8, s8, s52
	s_mul_hi_u32 s9, s7, s52
	s_add_i32 s9, s9, s8
	s_mul_i32 s8, s7, s52
	s_lshl_b64 s[8:9], s[8:9], 3
	s_waitcnt lgkmcnt(0)
	s_add_u32 s7, s4, s8
	s_mul_i32 s4, s33, s6
	s_addc_u32 s8, s5, s9
	s_ashr_i32 s5, s4, 31
	s_lshl_b64 s[4:5], s[4:5], 3
	s_add_u32 s7, s7, s4
	v_cmp_le_i32_e32 vcc, s22, v0
	s_addc_u32 s14, s8, s5
	s_and_b64 vcc, s[28:29], vcc
	s_cmp_lt_i32 s6, 1
	v_lshlrev_b32_e32 v74, 3, v0
	s_barrier
	s_cbranch_scc1 .LBB12_149
; %bb.143:
	s_mul_i32 s4, s48, s25
	s_mul_hi_u32 s5, s48, s24
	s_add_i32 s4, s5, s4
	s_mul_i32 s5, s49, s24
	s_add_i32 s5, s4, s5
	s_mul_i32 s4, s48, s24
	s_lshl_b64 s[4:5], s[4:5], 3
	v_mov_b32_e32 v2, s5
	v_subrev_co_u32_e64 v75, s[4:5], s4, v18
	v_lshlrev_b32_e32 v7, 2, v1
	v_subb_co_u32_e64 v76, s[4:5], v19, v2, s[4:5]
	v_mad_u64_u32 v[2:3], s[4:5], s40, v7, 0
	v_mov_b32_e32 v4, s27
	v_subrev_co_u32_e64 v8, s[4:5], s26, v22
	v_subb_co_u32_e64 v9, s[4:5], v23, v4, s[4:5]
	v_mad_u64_u32 v[3:4], s[4:5], s41, v7, v[3:4]
	v_sub_co_u32_e64 v4, s[4:5], v8, v20
	v_lshlrev_b64 v[2:3], 3, v[2:3]
	v_subb_co_u32_e64 v7, s[4:5], v9, v21, s[4:5]
	v_add_co_u32_e64 v2, s[4:5], v4, v2
	v_addc_co_u32_e64 v3, s[4:5], v7, v3, s[4:5]
	s_ashr_i32 s23, s22, 31
	s_lshl_b64 s[4:5], s[22:23], 3
	v_mov_b32_e32 v4, s5
	v_add_co_u32_e64 v7, s[4:5], s4, v2
	v_addc_co_u32_e64 v4, s[4:5], v3, v4, s[4:5]
	s_movk_i32 s4, 0xfef8
	v_add_co_u32_e64 v7, s[4:5], s4, v7
	v_addc_co_u32_e64 v4, s[4:5], -1, v4, s[4:5]
	v_add_co_u32_e64 v2, s[4:5], v2, v74
	v_addc_co_u32_e64 v3, s[4:5], 0, v3, s[4:5]
	s_movk_i32 s4, 0xff00
	v_add_co_u32_e64 v2, s[4:5], s4, v2
	v_addc_co_u32_e64 v3, s[4:5], -1, v3, s[4:5]
	v_lshrrev_b32_e32 v5, 4, v24
	v_cndmask_b32_e32 v3, v3, v4, vcc
	v_mov_b32_e32 v4, 0x2180
	v_and_b32_e32 v6, 15, v0
	v_lshl_add_u32 v78, v1, 5, v4
	v_lshlrev_b32_e32 v4, 5, v5
	s_movk_i32 s8, 0x218
	v_mad_u32_u24 v81, v6, s8, v4
	v_mul_i32_i24_e32 v4, 0xffffffe8, v5
	v_and_b32_e32 v5, 48, v0
	v_lshlrev_b32_e32 v5, 3, v5
	v_mad_u32_u24 v82, v6, s8, v5
	v_or_b32_e32 v5, 0x78, v74
	v_mad_u32_u24 v83, v6, s8, v5
	s_mul_i32 s8, s41, 0x68
	s_mul_hi_u32 s9, s40, 0x68
	s_movk_i32 s4, 0x860
	s_lshl_b64 s[10:11], s[40:41], 3
	s_add_i32 s8, s9, s8
	v_mov_b32_e32 v39, 0
	v_cndmask_b32_e32 v2, v2, v7, vcc
	v_add_u32_e32 v77, 0x2180, v74
	v_add_u32_e32 v79, 0x2380, v74
	v_mad_u32_u24 v80, v1, s4, v74
	v_cmp_gt_u32_e64 s[4:5], 64, v24
	s_mul_i32 s15, s40, 0x68
	s_mov_b32 s16, 0
	v_mov_b32_e32 v84, s11
	v_mov_b32_e32 v85, s8
	v_add_u32_e32 v86, v81, v4
	s_branch .LBB12_145
.LBB12_144:                             ;   in Loop: Header=BB12_145 Depth=1
	s_or_b64 exec, exec, s[12:13]
	v_mul_f32_e32 v38, v41, v7
	v_fma_f32 v38, v40, v6, -v38
	v_add_f32_e32 v36, v36, v38
	v_mul_f32_e32 v38, v43, v9
	v_mul_f32_e32 v7, v40, v7
	v_fma_f32 v38, v42, v8, -v38
	v_mul_f32_e32 v9, v42, v9
	v_add_f32_e32 v36, v36, v38
	v_mul_f32_e32 v38, v45, v3
	v_fmac_f32_e32 v7, v41, v6
	v_fma_f32 v38, v44, v2, -v38
	v_mul_f32_e32 v3, v44, v3
	v_add_f32_e32 v6, v37, v7
	v_fmac_f32_e32 v9, v43, v8
	v_add_f32_e32 v36, v36, v38
	v_mul_f32_e32 v38, v47, v5
	v_mul_f32_e32 v5, v46, v5
	v_add_f32_e32 v6, v6, v9
	v_fmac_f32_e32 v3, v45, v2
	v_fma_f32 v38, v46, v4, -v38
	v_add_f32_e32 v2, v6, v3
	v_fmac_f32_e32 v5, v47, v4
	v_mul_f32_e32 v3, v49, v15
	v_add_f32_e32 v36, v36, v38
	v_add_f32_e32 v2, v2, v5
	v_fma_f32 v3, v48, v14, -v3
	v_mul_f32_e32 v5, v53, v17
	v_add_f32_e32 v3, v36, v3
	v_fma_f32 v5, v52, v16, -v5
	v_add_f32_e32 v3, v3, v5
	v_mul_f32_e32 v5, v51, v11
	v_mul_f32_e32 v4, v48, v15
	v_fma_f32 v5, v50, v10, -v5
	v_add_f32_e32 v3, v3, v5
	v_mul_f32_e32 v5, v55, v13
	v_fmac_f32_e32 v4, v49, v14
	v_fma_f32 v5, v54, v12, -v5
	v_add_f32_e32 v2, v2, v4
	v_mul_f32_e32 v4, v61, v23
	v_add_f32_e32 v3, v3, v5
	v_fma_f32 v4, v60, v22, -v4
	v_add_f32_e32 v3, v3, v4
	v_mul_f32_e32 v4, v57, v25
	v_mul_f32_e32 v6, v52, v17
	v_fma_f32 v4, v56, v24, -v4
	v_mul_f32_e32 v7, v50, v11
	v_fmac_f32_e32 v6, v53, v16
	v_add_f32_e32 v3, v3, v4
	v_mul_f32_e32 v4, v59, v19
	v_mul_f32_e32 v8, v54, v13
	v_add_f32_e32 v2, v2, v6
	v_fmac_f32_e32 v7, v51, v10
	v_fma_f32 v4, v58, v18, -v4
	v_add_f32_e32 v2, v2, v7
	v_fmac_f32_e32 v8, v55, v12
	v_mul_f32_e32 v5, v60, v23
	v_add_f32_e32 v3, v3, v4
	v_mul_f32_e32 v4, v63, v21
	v_add_f32_e32 v2, v2, v8
	v_mul_f32_e32 v6, v56, v25
	v_fma_f32 v4, v62, v20, -v4
	v_fmac_f32_e32 v5, v61, v22
	v_mul_f32_e32 v7, v58, v19
	v_add_f32_e32 v3, v3, v4
	v_add_f32_e32 v2, v2, v5
	v_fmac_f32_e32 v6, v57, v24
	v_mul_f32_e32 v4, v69, v31
	v_mul_f32_e32 v8, v62, v21
	v_add_f32_e32 v2, v2, v6
	v_fmac_f32_e32 v7, v59, v18
	v_fma_f32 v4, v68, v30, -v4
	v_add_f32_e32 v2, v2, v7
	v_fmac_f32_e32 v8, v63, v20
	v_mul_f32_e32 v5, v68, v31
	v_add_f32_e32 v3, v3, v4
	v_mul_f32_e32 v4, v67, v33
	v_add_f32_e32 v2, v2, v8
	v_fma_f32 v4, v66, v32, -v4
	v_mul_f32_e32 v6, v66, v33
	v_fmac_f32_e32 v5, v69, v30
	v_add_f32_e32 v3, v3, v4
	v_mul_f32_e32 v4, v71, v27
	v_mul_f32_e32 v7, v70, v27
	v_fmac_f32_e32 v6, v67, v32
	v_add_f32_e32 v2, v2, v5
	v_fma_f32 v4, v70, v26, -v4
	v_mul_f32_e32 v8, v72, v29
	v_fmac_f32_e32 v7, v71, v26
	v_add_f32_e32 v2, v2, v6
	v_add_f32_e32 v3, v3, v4
	v_mul_f32_e32 v4, v73, v29
	v_fmac_f32_e32 v8, v73, v28
	v_add_f32_e32 v2, v2, v7
	v_fma_f32 v4, v72, v28, -v4
	v_add_f32_e32 v37, v2, v8
	s_add_i32 s16, s16, 64
	s_add_i32 s6, s6, -1
	v_add_co_u32_e64 v2, s[8:9], s15, v64
	v_add_f32_e32 v36, v3, v4
	s_cmp_eq_u32 s6, 0
	v_addc_co_u32_e64 v3, s[8:9], v65, v85, s[8:9]
	s_waitcnt vmcnt(0)
	s_barrier
	s_cbranch_scc1 .LBB12_149
.LBB12_145:                             ; =>This Inner Loop Header: Depth=1
	s_and_saveexec_b64 s[12:13], s[2:3]
	s_cbranch_execz .LBB12_147
; %bb.146:                              ;   in Loop: Header=BB12_145 Depth=1
	s_mul_i32 s8, s49, s16
	s_mul_hi_u32 s9, s48, s16
	s_add_i32 s9, s9, s8
	s_mul_i32 s8, s48, s16
	s_lshl_b64 s[8:9], s[8:9], 3
	v_mov_b32_e32 v5, s9
	v_add_co_u32_e64 v4, s[8:9], s8, v75
	v_addc_co_u32_e64 v5, s[8:9], v76, v5, s[8:9]
	global_load_dwordx2 v[4:5], v[4:5], off
	s_waitcnt vmcnt(0)
	ds_write_b64 v77, v[4:5]
.LBB12_147:                             ;   in Loop: Header=BB12_145 Depth=1
	s_or_b64 exec, exec, s[12:13]
	s_waitcnt lgkmcnt(0)
	s_barrier
	global_load_dwordx2 v[40:41], v[2:3], off
	v_add_co_u32_e64 v2, s[8:9], s10, v2
	v_addc_co_u32_e64 v3, s[8:9], v3, v84, s[8:9]
	global_load_dwordx2 v[42:43], v[2:3], off
	v_add_co_u32_e64 v2, s[8:9], s10, v2
	v_addc_co_u32_e64 v3, s[8:9], v3, v84, s[8:9]
	v_add_co_u32_e64 v10, s[8:9], s10, v2
	v_addc_co_u32_e64 v11, s[8:9], v3, v84, s[8:9]
	global_load_dwordx2 v[44:45], v[2:3], off
	global_load_dwordx2 v[46:47], v[10:11], off
	ds_read_b64 v[12:13], v79
	ds_read_b128 v[6:9], v78
	ds_read_b128 v[2:5], v78 offset:16
	v_add_co_u32_e64 v10, s[8:9], s15, v10
	v_addc_co_u32_e64 v11, s[8:9], v11, v85, s[8:9]
	v_add_co_u32_e64 v14, s[8:9], s10, v10
	v_addc_co_u32_e64 v15, s[8:9], v11, v84, s[8:9]
	;; [unrolled: 2-line block ×3, first 2 shown]
	s_waitcnt vmcnt(3) lgkmcnt(2)
	v_mul_f32_e32 v18, v41, v13
	v_mul_f32_e32 v19, v41, v12
	v_fmac_f32_e32 v18, v40, v12
	v_fma_f32 v19, v40, v13, -v19
	s_waitcnt vmcnt(2)
	v_mul_f32_e32 v20, v43, v13
	v_mul_f32_e32 v21, v43, v12
	v_fmac_f32_e32 v20, v42, v12
	v_fma_f32 v21, v42, v13, -v21
	ds_write2_b64 v80, v[18:19], v[20:21] offset1:67
	s_waitcnt vmcnt(1)
	v_mul_f32_e32 v22, v45, v13
	v_mul_f32_e32 v23, v45, v12
	s_waitcnt vmcnt(0)
	v_mul_f32_e32 v18, v47, v13
	v_mul_f32_e32 v19, v47, v12
	v_fmac_f32_e32 v22, v44, v12
	v_fma_f32 v23, v44, v13, -v23
	v_fmac_f32_e32 v18, v46, v12
	v_fma_f32 v19, v46, v13, -v19
	ds_write2_b64 v80, v[22:23], v[18:19] offset0:134 offset1:201
	s_waitcnt lgkmcnt(0)
	s_barrier
	ds_read2_b64 v[26:29], v81 offset1:1
	ds_read2_b64 v[30:33], v81 offset0:2 offset1:3
	s_waitcnt lgkmcnt(0)
	s_barrier
	global_load_dwordx2 v[48:49], v[10:11], off
	global_load_dwordx2 v[52:53], v[14:15], off
	;; [unrolled: 1-line block ×3, first 2 shown]
	v_add_co_u32_e64 v10, s[8:9], s10, v16
	v_addc_co_u32_e64 v11, s[8:9], v17, v84, s[8:9]
	global_load_dwordx2 v[54:55], v[10:11], off
	ds_read_b64 v[22:23], v79
	v_add_co_u32_e64 v18, s[8:9], s15, v10
	v_addc_co_u32_e64 v19, s[8:9], v11, v85, s[8:9]
	v_add_co_u32_e64 v20, s[8:9], s10, v18
	v_addc_co_u32_e64 v21, s[8:9], v19, v84, s[8:9]
	;; [unrolled: 2-line block ×3, first 2 shown]
	ds_read_b128 v[14:17], v78 offset:128
	ds_read_b128 v[10:13], v78 offset:144
	v_add_f32_e32 v26, 0, v26
	v_add_f32_e32 v27, 0, v27
	;; [unrolled: 1-line block ×6, first 2 shown]
	s_waitcnt vmcnt(3) lgkmcnt(2)
	v_mul_f32_e32 v56, v49, v23
	v_mul_f32_e32 v38, v49, v22
	s_waitcnt vmcnt(2)
	v_mul_f32_e32 v58, v53, v23
	v_mul_f32_e32 v59, v53, v22
	s_waitcnt vmcnt(1)
	v_mul_f32_e32 v60, v51, v23
	v_mul_f32_e32 v61, v51, v22
	v_fma_f32 v57, v48, v23, -v38
	s_waitcnt vmcnt(0)
	v_mul_f32_e32 v63, v55, v22
	v_mul_f32_e32 v62, v55, v23
	v_fma_f32 v59, v52, v23, -v59
	v_fma_f32 v61, v50, v23, -v61
	v_fmac_f32_e32 v56, v48, v22
	v_fmac_f32_e32 v58, v52, v22
	;; [unrolled: 1-line block ×3, first 2 shown]
	v_fma_f32 v63, v54, v23, -v63
	v_fmac_f32_e32 v62, v54, v22
	ds_write2_b64 v80, v[56:57], v[58:59] offset1:67
	ds_write2_b64 v80, v[60:61], v[62:63] offset0:134 offset1:201
	s_waitcnt lgkmcnt(0)
	s_barrier
	ds_read2_b64 v[87:90], v81 offset1:1
	ds_read2_b64 v[91:94], v81 offset0:2 offset1:3
	s_waitcnt lgkmcnt(0)
	s_barrier
	global_load_dwordx2 v[60:61], v[18:19], off
	global_load_dwordx2 v[56:57], v[20:21], off
	;; [unrolled: 1-line block ×3, first 2 shown]
	v_add_co_u32_e64 v18, s[8:9], s10, v24
	v_addc_co_u32_e64 v19, s[8:9], v25, v84, s[8:9]
	global_load_dwordx2 v[62:63], v[18:19], off
	ds_read_b64 v[66:67], v79
	v_add_co_u32_e64 v64, s[8:9], s15, v18
	v_addc_co_u32_e64 v65, s[8:9], v19, v85, s[8:9]
	v_add_co_u32_e64 v72, s[8:9], s10, v64
	v_addc_co_u32_e64 v73, s[8:9], v65, v84, s[8:9]
	;; [unrolled: 2-line block ×3, first 2 shown]
	ds_read_b128 v[22:25], v78 offset:256
	ds_read_b128 v[18:21], v78 offset:272
	s_waitcnt vmcnt(3) lgkmcnt(2)
	v_mul_f32_e32 v38, v61, v66
	v_mul_f32_e32 v68, v61, v67
	s_waitcnt vmcnt(2)
	v_mul_f32_e32 v71, v57, v66
	v_mul_f32_e32 v70, v57, v67
	s_waitcnt vmcnt(1)
	v_mul_f32_e32 v96, v59, v66
	v_mul_f32_e32 v95, v59, v67
	v_fma_f32 v69, v60, v67, -v38
	s_waitcnt vmcnt(0)
	v_mul_f32_e32 v98, v63, v66
	v_mul_f32_e32 v97, v63, v67
	v_fma_f32 v71, v56, v67, -v71
	v_fma_f32 v96, v58, v67, -v96
	;; [unrolled: 1-line block ×3, first 2 shown]
	v_fmac_f32_e32 v68, v60, v66
	v_fmac_f32_e32 v70, v56, v66
	;; [unrolled: 1-line block ×4, first 2 shown]
	ds_write2_b64 v80, v[68:69], v[70:71] offset1:67
	ds_write2_b64 v80, v[95:96], v[97:98] offset0:134 offset1:201
	s_waitcnt lgkmcnt(0)
	s_barrier
	ds_read2_b64 v[95:98], v81 offset1:1
	ds_read2_b64 v[99:102], v81 offset0:2 offset1:3
	s_waitcnt lgkmcnt(0)
	s_barrier
	global_load_dwordx2 v[68:69], v[64:65], off
	global_load_dwordx2 v[66:67], v[72:73], off
	;; [unrolled: 1-line block ×3, first 2 shown]
	v_add_co_u32_e64 v64, s[8:9], s10, v103
	v_addc_co_u32_e64 v65, s[8:9], v104, v84, s[8:9]
	global_load_dwordx2 v[72:73], v[64:65], off
	v_add_f32_e32 v103, v26, v32
	v_add_f32_e32 v104, v27, v33
	;; [unrolled: 1-line block ×10, first 2 shown]
	ds_read_b64 v[87:88], v79
	ds_read_b128 v[30:33], v78 offset:384
	ds_read_b128 v[26:29], v78 offset:400
	v_add_f32_e32 v38, 0, v95
	v_add_f32_e32 v89, 0, v96
	;; [unrolled: 1-line block ×8, first 2 shown]
	s_waitcnt vmcnt(3) lgkmcnt(2)
	v_mul_f32_e32 v38, v69, v87
	v_mul_f32_e32 v89, v69, v88
	s_waitcnt vmcnt(2)
	v_mul_f32_e32 v92, v67, v87
	v_mul_f32_e32 v91, v67, v88
	s_waitcnt vmcnt(1)
	v_mul_f32_e32 v94, v71, v87
	v_mul_f32_e32 v93, v71, v88
	v_fma_f32 v90, v68, v88, -v38
	s_waitcnt vmcnt(0)
	v_mul_f32_e32 v98, v73, v87
	v_mul_f32_e32 v97, v73, v88
	v_fma_f32 v92, v66, v88, -v92
	v_fmac_f32_e32 v89, v68, v87
	v_fmac_f32_e32 v91, v66, v87
	v_fma_f32 v94, v70, v88, -v94
	v_fmac_f32_e32 v93, v70, v87
	v_fma_f32 v98, v72, v88, -v98
	v_fmac_f32_e32 v97, v72, v87
	ds_write2_b64 v80, v[89:90], v[91:92] offset1:67
	ds_write2_b64 v80, v[93:94], v[97:98] offset0:134 offset1:201
	s_waitcnt lgkmcnt(0)
	s_barrier
	ds_read2_b64 v[87:90], v81 offset1:1
	ds_read2_b64 v[91:94], v81 offset0:2 offset1:3
	s_waitcnt lgkmcnt(0)
	s_barrier
	v_add_f32_e32 v38, 0, v87
	v_add_f32_e32 v87, 0, v88
	;; [unrolled: 1-line block ×8, first 2 shown]
	ds_write2_b64 v86, v[103:104], v[105:106] offset1:16
	ds_write2_b64 v86, v[95:96], v[87:88] offset0:32 offset1:48
	s_waitcnt lgkmcnt(0)
	s_barrier
	s_and_saveexec_b64 s[12:13], s[4:5]
	s_cbranch_execz .LBB12_144
; %bb.148:                              ;   in Loop: Header=BB12_145 Depth=1
	ds_read_b64 v[95:96], v82
	ds_read2_b64 v[87:90], v82 offset0:1 offset1:2
	ds_read2_b64 v[91:94], v82 offset0:3 offset1:4
	s_waitcnt lgkmcnt(1)
	v_add_f32_e32 v38, v87, v95
	v_add_f32_e32 v87, v88, v96
	v_add_f32_e32 v38, v89, v38
	v_add_f32_e32 v95, v90, v87
	ds_read2_b64 v[87:90], v82 offset0:5 offset1:6
	s_waitcnt lgkmcnt(1)
	v_add_f32_e32 v38, v38, v91
	v_add_f32_e32 v91, v95, v92
	v_add_f32_e32 v38, v38, v93
	v_add_f32_e32 v95, v91, v94
	;; [unrolled: 6-line block ×6, first 2 shown]
	ds_read_b64 v[91:92], v83
	s_waitcnt lgkmcnt(1)
	v_add_f32_e32 v38, v38, v87
	v_add_f32_e32 v87, v93, v88
	;; [unrolled: 1-line block ×4, first 2 shown]
	s_waitcnt lgkmcnt(0)
	v_add_f32_e32 v87, v38, v91
	v_add_u32_e32 v38, s16, v0
	v_lshlrev_b64 v[89:90], 3, v[38:39]
	v_mov_b32_e32 v38, s14
	v_add_co_u32_e64 v89, s[8:9], s7, v89
	v_add_f32_e32 v88, v88, v92
	v_addc_co_u32_e64 v90, s[8:9], v38, v90, s[8:9]
	global_store_dwordx2 v[89:90], v[87:88], off
	s_branch .LBB12_144
.LBB12_149:
	s_movk_i32 s2, 0x218
	v_mad_u32_u24 v0, v1, s2, v74
	s_nor_b64 s[0:1], s[0:1], vcc
	ds_write_b64 v0, v[36:37]
	s_waitcnt lgkmcnt(0)
	s_barrier
	s_and_saveexec_b64 s[2:3], s[0:1]
	s_cbranch_execz .LBB12_151
; %bb.150:
	ds_read2_b64 v[0:3], v74 offset1:67
	ds_read2_b64 v[4:7], v74 offset0:134 offset1:201
	s_waitcnt lgkmcnt(1)
	v_add_f32_e32 v0, v2, v0
	v_add_f32_e32 v1, v3, v1
	v_lshlrev_b64 v[2:3], 3, v[34:35]
	s_waitcnt lgkmcnt(0)
	v_add_f32_e32 v0, v4, v0
	v_add_f32_e32 v1, v5, v1
	v_mov_b32_e32 v4, s14
	v_add_co_u32_e32 v2, vcc, s7, v2
	v_add_f32_e32 v0, v0, v6
	v_add_f32_e32 v1, v1, v7
	v_addc_co_u32_e32 v3, vcc, v4, v3, vcc
	global_store_dwordx2 v[2:3], v[0:1], off
.LBB12_151:
	s_endpgm
	.section	.rodata,"a",@progbits
	.p2align	6, 0x0
	.amdhsa_kernel _ZL26rocblas_hemvn_kernel_lowerILb1ELi64ELi4ELi33ELi32ELi16El19rocblas_complex_numIfEPKS1_PS1_EviT6_lT7_lT5_lS6_lS7_lS5_lT8_i
		.amdhsa_group_segment_fixed_size 9600
		.amdhsa_private_segment_fixed_size 0
		.amdhsa_kernarg_size 376
		.amdhsa_user_sgpr_count 6
		.amdhsa_user_sgpr_private_segment_buffer 1
		.amdhsa_user_sgpr_dispatch_ptr 0
		.amdhsa_user_sgpr_queue_ptr 0
		.amdhsa_user_sgpr_kernarg_segment_ptr 1
		.amdhsa_user_sgpr_dispatch_id 0
		.amdhsa_user_sgpr_flat_scratch_init 0
		.amdhsa_user_sgpr_private_segment_size 0
		.amdhsa_uses_dynamic_stack 0
		.amdhsa_system_sgpr_private_segment_wavefront_offset 0
		.amdhsa_system_sgpr_workgroup_id_x 1
		.amdhsa_system_sgpr_workgroup_id_y 0
		.amdhsa_system_sgpr_workgroup_id_z 1
		.amdhsa_system_sgpr_workgroup_info 0
		.amdhsa_system_vgpr_workitem_id 1
		.amdhsa_next_free_vgpr 107
		.amdhsa_next_free_sgpr 93
		.amdhsa_reserve_vcc 1
		.amdhsa_reserve_flat_scratch 0
		.amdhsa_float_round_mode_32 0
		.amdhsa_float_round_mode_16_64 0
		.amdhsa_float_denorm_mode_32 3
		.amdhsa_float_denorm_mode_16_64 3
		.amdhsa_dx10_clamp 1
		.amdhsa_ieee_mode 1
		.amdhsa_fp16_overflow 0
		.amdhsa_exception_fp_ieee_invalid_op 0
		.amdhsa_exception_fp_denorm_src 0
		.amdhsa_exception_fp_ieee_div_zero 0
		.amdhsa_exception_fp_ieee_overflow 0
		.amdhsa_exception_fp_ieee_underflow 0
		.amdhsa_exception_fp_ieee_inexact 0
		.amdhsa_exception_int_div_zero 0
	.end_amdhsa_kernel
	.section	.text._ZL26rocblas_hemvn_kernel_lowerILb1ELi64ELi4ELi33ELi32ELi16El19rocblas_complex_numIfEPKS1_PS1_EviT6_lT7_lT5_lS6_lS7_lS5_lT8_i,"axG",@progbits,_ZL26rocblas_hemvn_kernel_lowerILb1ELi64ELi4ELi33ELi32ELi16El19rocblas_complex_numIfEPKS1_PS1_EviT6_lT7_lT5_lS6_lS7_lS5_lT8_i,comdat
.Lfunc_end12:
	.size	_ZL26rocblas_hemvn_kernel_lowerILb1ELi64ELi4ELi33ELi32ELi16El19rocblas_complex_numIfEPKS1_PS1_EviT6_lT7_lT5_lS6_lS7_lS5_lT8_i, .Lfunc_end12-_ZL26rocblas_hemvn_kernel_lowerILb1ELi64ELi4ELi33ELi32ELi16El19rocblas_complex_numIfEPKS1_PS1_EviT6_lT7_lT5_lS6_lS7_lS5_lT8_i
                                        ; -- End function
	.set _ZL26rocblas_hemvn_kernel_lowerILb1ELi64ELi4ELi33ELi32ELi16El19rocblas_complex_numIfEPKS1_PS1_EviT6_lT7_lT5_lS6_lS7_lS5_lT8_i.num_vgpr, 107
	.set _ZL26rocblas_hemvn_kernel_lowerILb1ELi64ELi4ELi33ELi32ELi16El19rocblas_complex_numIfEPKS1_PS1_EviT6_lT7_lT5_lS6_lS7_lS5_lT8_i.num_agpr, 0
	.set _ZL26rocblas_hemvn_kernel_lowerILb1ELi64ELi4ELi33ELi32ELi16El19rocblas_complex_numIfEPKS1_PS1_EviT6_lT7_lT5_lS6_lS7_lS5_lT8_i.numbered_sgpr, 53
	.set _ZL26rocblas_hemvn_kernel_lowerILb1ELi64ELi4ELi33ELi32ELi16El19rocblas_complex_numIfEPKS1_PS1_EviT6_lT7_lT5_lS6_lS7_lS5_lT8_i.num_named_barrier, 0
	.set _ZL26rocblas_hemvn_kernel_lowerILb1ELi64ELi4ELi33ELi32ELi16El19rocblas_complex_numIfEPKS1_PS1_EviT6_lT7_lT5_lS6_lS7_lS5_lT8_i.private_seg_size, 0
	.set _ZL26rocblas_hemvn_kernel_lowerILb1ELi64ELi4ELi33ELi32ELi16El19rocblas_complex_numIfEPKS1_PS1_EviT6_lT7_lT5_lS6_lS7_lS5_lT8_i.uses_vcc, 1
	.set _ZL26rocblas_hemvn_kernel_lowerILb1ELi64ELi4ELi33ELi32ELi16El19rocblas_complex_numIfEPKS1_PS1_EviT6_lT7_lT5_lS6_lS7_lS5_lT8_i.uses_flat_scratch, 0
	.set _ZL26rocblas_hemvn_kernel_lowerILb1ELi64ELi4ELi33ELi32ELi16El19rocblas_complex_numIfEPKS1_PS1_EviT6_lT7_lT5_lS6_lS7_lS5_lT8_i.has_dyn_sized_stack, 0
	.set _ZL26rocblas_hemvn_kernel_lowerILb1ELi64ELi4ELi33ELi32ELi16El19rocblas_complex_numIfEPKS1_PS1_EviT6_lT7_lT5_lS6_lS7_lS5_lT8_i.has_recursion, 0
	.set _ZL26rocblas_hemvn_kernel_lowerILb1ELi64ELi4ELi33ELi32ELi16El19rocblas_complex_numIfEPKS1_PS1_EviT6_lT7_lT5_lS6_lS7_lS5_lT8_i.has_indirect_call, 0
	.section	.AMDGPU.csdata,"",@progbits
; Kernel info:
; codeLenInByte = 7952
; TotalNumSgprs: 57
; NumVgprs: 107
; ScratchSize: 0
; MemoryBound: 1
; FloatMode: 240
; IeeeMode: 1
; LDSByteSize: 9600 bytes/workgroup (compile time only)
; SGPRBlocks: 12
; VGPRBlocks: 26
; NumSGPRsForWavesPerEU: 97
; NumVGPRsForWavesPerEU: 107
; Occupancy: 2
; WaveLimiterHint : 0
; COMPUTE_PGM_RSRC2:SCRATCH_EN: 0
; COMPUTE_PGM_RSRC2:USER_SGPR: 6
; COMPUTE_PGM_RSRC2:TRAP_HANDLER: 0
; COMPUTE_PGM_RSRC2:TGID_X_EN: 1
; COMPUTE_PGM_RSRC2:TGID_Y_EN: 0
; COMPUTE_PGM_RSRC2:TGID_Z_EN: 1
; COMPUTE_PGM_RSRC2:TIDIG_COMP_CNT: 1
	.section	.text._ZL36rocblas_hemvn_kernel_lower_block_sumILi64El19rocblas_complex_numIfEPS1_S1_EviT1_lS3_lT2_lT0_lPT3_i,"axG",@progbits,_ZL36rocblas_hemvn_kernel_lower_block_sumILi64El19rocblas_complex_numIfEPS1_S1_EviT1_lS3_lT2_lT0_lPT3_i,comdat
	.globl	_ZL36rocblas_hemvn_kernel_lower_block_sumILi64El19rocblas_complex_numIfEPS1_S1_EviT1_lS3_lT2_lT0_lPT3_i ; -- Begin function _ZL36rocblas_hemvn_kernel_lower_block_sumILi64El19rocblas_complex_numIfEPS1_S1_EviT1_lS3_lT2_lT0_lPT3_i
	.p2align	8
	.type	_ZL36rocblas_hemvn_kernel_lower_block_sumILi64El19rocblas_complex_numIfEPS1_S1_EviT1_lS3_lT2_lT0_lPT3_i,@function
_ZL36rocblas_hemvn_kernel_lower_block_sumILi64El19rocblas_complex_numIfEPS1_S1_EviT1_lS3_lT2_lT0_lPT3_i: ; @_ZL36rocblas_hemvn_kernel_lower_block_sumILi64El19rocblas_complex_numIfEPS1_S1_EviT1_lS3_lT2_lT0_lPT3_i
; %bb.0:
	s_load_dwordx4 s[8:11], s[4:5], 0x0
	s_load_dwordx2 s[12:13], s[4:5], 0x18
	s_waitcnt lgkmcnt(0)
	s_or_b32 s0, s9, s10
	s_bitset0_b32 s0, 31
	s_cmp_eq_u32 s0, 0
	s_cselect_b64 s[14:15], -1, 0
	s_cmp_lg_u32 s0, 0
	s_mov_b64 s[0:1], -1
	s_cbranch_scc1 .LBB13_2
; %bb.1:
	v_cmp_neq_f32_e64 s[0:1], s12, 1.0
	v_cmp_neq_f32_e64 s[2:3], s13, 0
	s_or_b64 s[0:1], s[0:1], s[2:3]
.LBB13_2:
	s_andn2_b64 vcc, exec, s[0:1]
	s_cbranch_vccnz .LBB13_19
; %bb.3:
	s_load_dwordx2 s[16:17], s[4:5], 0x40
	s_load_dwordx2 s[18:19], s[4:5], 0x28
	s_load_dwordx4 s[0:3], s[4:5], 0x30
	v_lshl_or_b32 v4, s6, 6, v0
	s_waitcnt lgkmcnt(0)
	s_mul_i32 s11, s17, s7
	s_mul_hi_u32 s17, s16, s7
	s_mul_i32 s16, s16, s7
	s_add_i32 s17, s17, s11
	s_lshl_b64 s[16:17], s[16:17], 3
	s_add_u32 s11, s18, s16
	s_addc_u32 s16, s19, s17
	s_lshl_b64 s[0:1], s[0:1], 3
	s_add_u32 s11, s11, s0
	s_addc_u32 s18, s16, s1
	s_mov_b64 s[16:17], -1
	s_andn2_b64 vcc, exec, s[14:15]
	v_cmp_gt_i32_e64 s[0:1], s8, v4
	s_cbranch_vccnz .LBB13_9
; %bb.4:
	s_and_saveexec_b64 s[14:15], s[0:1]
	s_cbranch_execz .LBB13_8
; %bb.5:
	v_ashrrev_i32_e32 v0, 31, v4
	v_mul_lo_u32 v3, s3, v4
	v_mul_lo_u32 v5, s2, v0
	v_mad_u64_u32 v[1:2], s[0:1], s2, v4, 0
	v_cmp_neq_f32_e64 s[0:1], s12, 0
	v_cmp_neq_f32_e64 s[16:17], s13, 0
	v_add3_u32 v2, v2, v5, v3
	s_or_b64 s[0:1], s[0:1], s[16:17]
	v_lshlrev_b64 v[2:3], 3, v[1:2]
	v_mov_b32_e32 v0, 0
	s_andn2_b64 vcc, exec, s[0:1]
	v_mov_b32_e32 v1, 0
	s_cbranch_vccnz .LBB13_7
; %bb.6:
	v_mov_b32_e32 v1, s18
	v_add_co_u32_e32 v0, vcc, s11, v2
	v_addc_co_u32_e32 v1, vcc, v1, v3, vcc
	global_load_dwordx2 v[5:6], v[0:1], off
	s_waitcnt vmcnt(0)
	v_mul_f32_e32 v0, s13, v6
	v_mul_f32_e32 v1, s12, v6
	v_fma_f32 v0, v5, s12, -v0
	v_fmac_f32_e32 v1, s13, v5
.LBB13_7:
	v_mov_b32_e32 v5, s18
	v_add_co_u32_e32 v2, vcc, s11, v2
	v_addc_co_u32_e32 v3, vcc, v5, v3, vcc
	global_store_dwordx2 v[2:3], v[0:1], off
.LBB13_8:
	s_or_b64 exec, exec, s[14:15]
	s_mov_b64 s[16:17], 0
.LBB13_9:
	s_andn2_b64 vcc, exec, s[16:17]
	s_cbranch_vccnz .LBB13_19
; %bb.10:
	v_cmp_gt_i32_e32 vcc, s8, v4
	s_and_saveexec_b64 s[0:1], vcc
	s_cbranch_execz .LBB13_19
; %bb.11:
	s_load_dword s14, s[4:5], 0x58
	v_mov_b32_e32 v2, 0
	v_mov_b32_e32 v3, 0
	s_waitcnt lgkmcnt(0)
	s_cmp_ge_i32 s6, s14
	s_cbranch_scc1 .LBB13_14
; %bb.12:
	s_load_dwordx2 s[0:1], s[4:5], 0x48
	s_ashr_i32 s5, s8, 31
	s_mul_i32 s15, s8, s6
	v_add_u32_e32 v0, s15, v4
	s_mul_hi_u32 s15, s8, s7
	s_mul_i32 s16, s5, s7
	s_add_i32 s15, s15, s16
	s_mul_i32 s7, s8, s7
	s_mov_b32 s4, s8
	s_mul_i32 s15, s15, s14
	s_mul_hi_u32 s8, s7, s14
	s_add_i32 s17, s8, s15
	s_mul_i32 s16, s7, s14
	v_ashrrev_i32_e32 v1, 31, v0
	s_lshl_b64 s[16:17], s[16:17], 3
	v_lshlrev_b64 v[0:1], 3, v[0:1]
	s_waitcnt lgkmcnt(0)
	s_add_u32 s0, s0, s16
	s_addc_u32 s1, s1, s17
	v_mov_b32_e32 v2, s1
	v_add_co_u32_e32 v0, vcc, s0, v0
	v_addc_co_u32_e32 v1, vcc, v2, v1, vcc
	v_add_co_u32_e32 v0, vcc, 4, v0
	s_lshl_b64 s[0:1], s[4:5], 3
	v_addc_co_u32_e32 v1, vcc, 0, v1, vcc
	v_mov_b32_e32 v2, 0
	v_mov_b32_e32 v5, s1
	v_mov_b32_e32 v3, 0
.LBB13_13:                              ; =>This Inner Loop Header: Depth=1
	global_load_dwordx2 v[6:7], v[0:1], off offset:-4
	s_add_i32 s6, s6, 1
	v_add_co_u32_e32 v0, vcc, s0, v0
	v_addc_co_u32_e32 v1, vcc, v1, v5, vcc
	s_cmp_ge_i32 s6, s14
	s_waitcnt vmcnt(0)
	v_add_f32_e32 v3, v3, v6
	v_add_f32_e32 v2, v2, v7
	s_cbranch_scc0 .LBB13_13
.LBB13_14:
	v_ashrrev_i32_e32 v1, 31, v4
	v_mul_lo_u32 v5, s3, v4
	v_mul_lo_u32 v6, s2, v1
	v_cmp_neq_f32_e64 s[0:1], s12, 0
	v_cmp_neq_f32_e64 s[4:5], s13, 0
	s_or_b64 s[0:1], s[0:1], s[4:5]
	v_mul_f32_e32 v0, s10, v2
	v_mul_f32_e32 v1, s9, v2
	s_andn2_b64 vcc, exec, s[0:1]
	v_fma_f32 v0, v3, s9, -v0
	v_fmac_f32_e32 v1, s10, v3
	s_cbranch_vccz .LBB13_16
; %bb.15:
	v_mad_u64_u32 v[2:3], s[0:1], s2, v4, 0
	v_add3_u32 v3, v3, v6, v5
	s_cbranch_execz .LBB13_17
	s_branch .LBB13_18
.LBB13_16:
                                        ; implicit-def: $vgpr2_vgpr3
.LBB13_17:
	v_mad_u64_u32 v[2:3], s[0:1], s2, v4, 0
	v_mov_b32_e32 v7, s18
	v_add3_u32 v3, v3, v6, v5
	v_lshlrev_b64 v[4:5], 3, v[2:3]
	v_add_co_u32_e32 v4, vcc, s11, v4
	v_addc_co_u32_e32 v5, vcc, v7, v5, vcc
	global_load_dwordx2 v[4:5], v[4:5], off
	s_waitcnt vmcnt(0)
	v_mul_f32_e32 v6, s13, v5
	v_mul_f32_e32 v5, s12, v5
	v_fma_f32 v6, v4, s12, -v6
	v_fmac_f32_e32 v5, s13, v4
	v_add_f32_e32 v0, v0, v6
	v_add_f32_e32 v1, v1, v5
.LBB13_18:
	v_lshlrev_b64 v[2:3], 3, v[2:3]
	v_mov_b32_e32 v4, s18
	v_add_co_u32_e32 v2, vcc, s11, v2
	v_addc_co_u32_e32 v3, vcc, v4, v3, vcc
	global_store_dwordx2 v[2:3], v[0:1], off
.LBB13_19:
	s_endpgm
	.section	.rodata,"a",@progbits
	.p2align	6, 0x0
	.amdhsa_kernel _ZL36rocblas_hemvn_kernel_lower_block_sumILi64El19rocblas_complex_numIfEPS1_S1_EviT1_lS3_lT2_lT0_lPT3_i
		.amdhsa_group_segment_fixed_size 0
		.amdhsa_private_segment_fixed_size 0
		.amdhsa_kernarg_size 344
		.amdhsa_user_sgpr_count 6
		.amdhsa_user_sgpr_private_segment_buffer 1
		.amdhsa_user_sgpr_dispatch_ptr 0
		.amdhsa_user_sgpr_queue_ptr 0
		.amdhsa_user_sgpr_kernarg_segment_ptr 1
		.amdhsa_user_sgpr_dispatch_id 0
		.amdhsa_user_sgpr_flat_scratch_init 0
		.amdhsa_user_sgpr_private_segment_size 0
		.amdhsa_uses_dynamic_stack 0
		.amdhsa_system_sgpr_private_segment_wavefront_offset 0
		.amdhsa_system_sgpr_workgroup_id_x 1
		.amdhsa_system_sgpr_workgroup_id_y 0
		.amdhsa_system_sgpr_workgroup_id_z 1
		.amdhsa_system_sgpr_workgroup_info 0
		.amdhsa_system_vgpr_workitem_id 0
		.amdhsa_next_free_vgpr 8
		.amdhsa_next_free_sgpr 20
		.amdhsa_reserve_vcc 1
		.amdhsa_reserve_flat_scratch 0
		.amdhsa_float_round_mode_32 0
		.amdhsa_float_round_mode_16_64 0
		.amdhsa_float_denorm_mode_32 3
		.amdhsa_float_denorm_mode_16_64 3
		.amdhsa_dx10_clamp 1
		.amdhsa_ieee_mode 1
		.amdhsa_fp16_overflow 0
		.amdhsa_exception_fp_ieee_invalid_op 0
		.amdhsa_exception_fp_denorm_src 0
		.amdhsa_exception_fp_ieee_div_zero 0
		.amdhsa_exception_fp_ieee_overflow 0
		.amdhsa_exception_fp_ieee_underflow 0
		.amdhsa_exception_fp_ieee_inexact 0
		.amdhsa_exception_int_div_zero 0
	.end_amdhsa_kernel
	.section	.text._ZL36rocblas_hemvn_kernel_lower_block_sumILi64El19rocblas_complex_numIfEPS1_S1_EviT1_lS3_lT2_lT0_lPT3_i,"axG",@progbits,_ZL36rocblas_hemvn_kernel_lower_block_sumILi64El19rocblas_complex_numIfEPS1_S1_EviT1_lS3_lT2_lT0_lPT3_i,comdat
.Lfunc_end13:
	.size	_ZL36rocblas_hemvn_kernel_lower_block_sumILi64El19rocblas_complex_numIfEPS1_S1_EviT1_lS3_lT2_lT0_lPT3_i, .Lfunc_end13-_ZL36rocblas_hemvn_kernel_lower_block_sumILi64El19rocblas_complex_numIfEPS1_S1_EviT1_lS3_lT2_lT0_lPT3_i
                                        ; -- End function
	.set _ZL36rocblas_hemvn_kernel_lower_block_sumILi64El19rocblas_complex_numIfEPS1_S1_EviT1_lS3_lT2_lT0_lPT3_i.num_vgpr, 8
	.set _ZL36rocblas_hemvn_kernel_lower_block_sumILi64El19rocblas_complex_numIfEPS1_S1_EviT1_lS3_lT2_lT0_lPT3_i.num_agpr, 0
	.set _ZL36rocblas_hemvn_kernel_lower_block_sumILi64El19rocblas_complex_numIfEPS1_S1_EviT1_lS3_lT2_lT0_lPT3_i.numbered_sgpr, 20
	.set _ZL36rocblas_hemvn_kernel_lower_block_sumILi64El19rocblas_complex_numIfEPS1_S1_EviT1_lS3_lT2_lT0_lPT3_i.num_named_barrier, 0
	.set _ZL36rocblas_hemvn_kernel_lower_block_sumILi64El19rocblas_complex_numIfEPS1_S1_EviT1_lS3_lT2_lT0_lPT3_i.private_seg_size, 0
	.set _ZL36rocblas_hemvn_kernel_lower_block_sumILi64El19rocblas_complex_numIfEPS1_S1_EviT1_lS3_lT2_lT0_lPT3_i.uses_vcc, 1
	.set _ZL36rocblas_hemvn_kernel_lower_block_sumILi64El19rocblas_complex_numIfEPS1_S1_EviT1_lS3_lT2_lT0_lPT3_i.uses_flat_scratch, 0
	.set _ZL36rocblas_hemvn_kernel_lower_block_sumILi64El19rocblas_complex_numIfEPS1_S1_EviT1_lS3_lT2_lT0_lPT3_i.has_dyn_sized_stack, 0
	.set _ZL36rocblas_hemvn_kernel_lower_block_sumILi64El19rocblas_complex_numIfEPS1_S1_EviT1_lS3_lT2_lT0_lPT3_i.has_recursion, 0
	.set _ZL36rocblas_hemvn_kernel_lower_block_sumILi64El19rocblas_complex_numIfEPS1_S1_EviT1_lS3_lT2_lT0_lPT3_i.has_indirect_call, 0
	.section	.AMDGPU.csdata,"",@progbits
; Kernel info:
; codeLenInByte = 740
; TotalNumSgprs: 24
; NumVgprs: 8
; ScratchSize: 0
; MemoryBound: 0
; FloatMode: 240
; IeeeMode: 1
; LDSByteSize: 0 bytes/workgroup (compile time only)
; SGPRBlocks: 2
; VGPRBlocks: 1
; NumSGPRsForWavesPerEU: 24
; NumVGPRsForWavesPerEU: 8
; Occupancy: 10
; WaveLimiterHint : 0
; COMPUTE_PGM_RSRC2:SCRATCH_EN: 0
; COMPUTE_PGM_RSRC2:USER_SGPR: 6
; COMPUTE_PGM_RSRC2:TRAP_HANDLER: 0
; COMPUTE_PGM_RSRC2:TGID_X_EN: 1
; COMPUTE_PGM_RSRC2:TGID_Y_EN: 0
; COMPUTE_PGM_RSRC2:TGID_Z_EN: 1
; COMPUTE_PGM_RSRC2:TIDIG_COMP_CNT: 0
	.section	.text._ZL26rocblas_hemvn_kernel_lowerILb1ELi64ELi4ELi33ELi32ELi16Ei19rocblas_complex_numIfEPKS1_PS1_EviT6_lT7_lT5_lS6_lS7_lS5_lT8_i,"axG",@progbits,_ZL26rocblas_hemvn_kernel_lowerILb1ELi64ELi4ELi33ELi32ELi16Ei19rocblas_complex_numIfEPKS1_PS1_EviT6_lT7_lT5_lS6_lS7_lS5_lT8_i,comdat
	.globl	_ZL26rocblas_hemvn_kernel_lowerILb1ELi64ELi4ELi33ELi32ELi16Ei19rocblas_complex_numIfEPKS1_PS1_EviT6_lT7_lT5_lS6_lS7_lS5_lT8_i ; -- Begin function _ZL26rocblas_hemvn_kernel_lowerILb1ELi64ELi4ELi33ELi32ELi16Ei19rocblas_complex_numIfEPKS1_PS1_EviT6_lT7_lT5_lS6_lS7_lS5_lT8_i
	.p2align	8
	.type	_ZL26rocblas_hemvn_kernel_lowerILb1ELi64ELi4ELi33ELi32ELi16Ei19rocblas_complex_numIfEPKS1_PS1_EviT6_lT7_lT5_lS6_lS7_lS5_lT8_i,@function
_ZL26rocblas_hemvn_kernel_lowerILb1ELi64ELi4ELi33ELi32ELi16Ei19rocblas_complex_numIfEPKS1_PS1_EviT6_lT7_lT5_lS6_lS7_lS5_lT8_i: ; @_ZL26rocblas_hemvn_kernel_lowerILb1ELi64ELi4ELi33ELi32ELi16Ei19rocblas_complex_numIfEPKS1_PS1_EviT6_lT7_lT5_lS6_lS7_lS5_lT8_i
; %bb.0:
	s_load_dwordx2 s[2:3], s[4:5], 0x84
	s_add_u32 s0, s4, 0x78
	s_addc_u32 s1, s5, 0
	s_waitcnt lgkmcnt(0)
	s_lshr_b32 s8, s2, 16
	s_and_b32 s2, s2, 0xffff
	s_and_b32 s3, s3, 0xffff
	s_mul_i32 s2, s8, s2
	s_mul_i32 s2, s2, s3
	s_cmpk_lg_i32 s2, 0x100
	s_cbranch_scc1 .LBB14_151
; %bb.1:
	s_load_dwordx2 s[2:3], s[4:5], 0x4
	v_mov_b32_e32 v2, v1
	s_mov_b64 s[8:9], -1
	s_waitcnt lgkmcnt(0)
	s_or_b32 s2, s2, s3
	s_bitset0_b32 s2, 31
	s_cmp_lg_u32 s2, 0
	s_cselect_b64 s[2:3], -1, 0
	s_and_b64 vcc, exec, s[2:3]
	s_cbranch_vccnz .LBB14_3
; %bb.2:
	s_load_dwordx2 s[8:9], s[4:5], 0x58
	s_waitcnt lgkmcnt(0)
	v_cmp_neq_f32_e64 s[10:11], s8, 1.0
	v_cmp_neq_f32_e64 s[8:9], s9, 0
	s_or_b64 s[8:9], s[10:11], s[8:9]
.LBB14_3:
	s_andn2_b64 vcc, exec, s[8:9]
	s_cbranch_vccnz .LBB14_151
; %bb.4:
	s_andn2_b64 vcc, exec, s[2:3]
	s_cbranch_vccnz .LBB14_151
; %bb.5:
	s_load_dwordx2 s[2:3], s[4:5], 0x40
	s_load_dwordx2 s[12:13], s[4:5], 0x50
	s_load_dword s33, s[4:5], 0x48
	s_load_dword s41, s[0:1], 0x0
	;; [unrolled: 1-line block ×3, first 2 shown]
	s_load_dwordx4 s[8:11], s[4:5], 0x30
	s_waitcnt lgkmcnt(0)
	s_mul_i32 s0, s13, s7
	s_mul_hi_u32 s1, s12, s7
	s_add_i32 s1, s1, s0
	s_mul_i32 s0, s12, s7
	s_lshl_b64 s[0:1], s[0:1], 3
	s_add_u32 s10, s10, s0
	s_addc_u32 s11, s11, s1
	s_lshl_b64 s[0:1], s[2:3], 3
	s_add_u32 s0, s10, s0
	s_addc_u32 s1, s11, s1
	s_lshl_b32 s24, s6, 6
	v_add_u32_e32 v35, s24, v0
	v_mul_lo_u32 v3, s33, v35
	s_ashr_i32 s42, s40, 31
	s_lshr_b32 s3, s42, 26
	s_add_i32 s3, s40, s3
	v_ashrrev_i32_e32 v4, 31, v3
	s_andn2_b32 s3, s3, 63
	v_lshlrev_b64 v[3:4], 3, v[3:4]
	s_add_i32 s2, s41, -1
	s_sub_i32 s3, s40, s3
	s_cmp_eq_u32 s6, s2
	v_mov_b32_e32 v1, s1
	v_add_co_u32_e32 v19, vcc, s0, v3
	s_cselect_b32 s22, s3, 0
	v_addc_co_u32_e32 v20, vcc, v1, v4, vcc
	v_cmp_ne_u32_e64 s[0:1], 0, v2
	v_cmp_eq_u32_e64 s[2:3], 0, v2
	s_and_saveexec_b64 s[10:11], s[2:3]
	s_cbranch_execz .LBB14_10
; %bb.6:
	s_cmp_lg_u32 s22, 0
	s_cselect_b64 s[12:13], -1, 0
	v_cmp_le_i32_e32 vcc, s22, v0
	v_mov_b32_e32 v1, 0x2380
	s_and_b64 s[12:13], s[12:13], vcc
	v_lshl_add_u32 v1, v0, 3, v1
	s_and_saveexec_b64 s[14:15], s[12:13]
	s_xor_b64 s[12:13], exec, s[14:15]
; %bb.7:
	v_mov_b32_e32 v3, 0
	v_mov_b32_e32 v4, v3
	ds_write_b64 v1, v[3:4]
                                        ; implicit-def: $vgpr1
; %bb.8:
	s_andn2_saveexec_b64 s[12:13], s[12:13]
	s_cbranch_execz .LBB14_10
; %bb.9:
	global_load_dwordx2 v[3:4], v[19:20], off
	s_waitcnt vmcnt(0)
	ds_write_b64 v1, v[3:4]
.LBB14_10:
	s_or_b64 exec, exec, s[10:11]
	s_load_dwordx4 s[12:15], s[4:5], 0x18
	s_load_dword s26, s[4:5], 0x28
	s_mul_i32 s9, s9, s7
	s_mul_hi_u32 s10, s8, s7
	s_add_i32 s9, s10, s9
	s_mul_i32 s8, s8, s7
	s_lshl_b64 s[8:9], s[8:9], 3
	s_waitcnt lgkmcnt(0)
	s_add_u32 s10, s12, s8
	v_lshl_add_u32 v25, v2, 6, v0
	s_addc_u32 s11, s13, s9
	s_lshl_b64 s[8:9], s[14:15], 3
	v_and_b32_e32 v1, 31, v0
	v_lshrrev_b32_e32 v7, 5, v25
	s_add_u32 s10, s10, s8
	s_addc_u32 s11, s11, s9
	v_mad_u64_u32 v[3:4], s[8:9], s26, v7, v[1:2]
	s_ashr_i32 s25, s24, 31
	s_lshl_b64 s[8:9], s[24:25], 3
	v_ashrrev_i32_e32 v4, 31, v3
	v_lshlrev_b64 v[21:22], 3, v[3:4]
	s_add_u32 s8, s10, s8
	s_addc_u32 s9, s11, s9
	v_add_co_u32_e32 v4, vcc, s8, v21
	s_mul_i32 s8, s26, s24
	v_mov_b32_e32 v3, s9
	s_ashr_i32 s9, s8, 31
	v_addc_co_u32_e32 v5, vcc, v3, v22, vcc
	s_lshl_b64 s[28:29], s[8:9], 3
	v_mov_b32_e32 v6, s29
	v_add_co_u32_e32 v3, vcc, s28, v4
	s_cmp_lg_u32 s22, 0
	v_addc_co_u32_e32 v4, vcc, v5, v6, vcc
	s_cselect_b64 s[30:31], -1, 0
	s_cmp_eq_u32 s22, 0
	s_cselect_b64 s[18:19], -1, 0
	s_mov_b64 s[8:9], -1
	s_and_b64 vcc, exec, s[30:31]
	s_cbranch_vccnz .LBB14_12
; %bb.11:
	s_lshl_b32 s8, s26, 3
	s_ashr_i32 s9, s8, 31
	s_lshl_b64 s[8:9], s[8:9], 3
	v_mov_b32_e32 v6, s9
	v_add_co_u32_e32 v5, vcc, s8, v3
	s_ashr_i32 s27, s26, 31
	v_addc_co_u32_e32 v6, vcc, v4, v6, vcc
	s_lshl_b64 s[8:9], s[26:27], 6
	v_mov_b32_e32 v11, s9
	v_add_co_u32_e32 v8, vcc, s8, v5
	v_addc_co_u32_e32 v9, vcc, v6, v11, vcc
	v_add_co_u32_e32 v10, vcc, s8, v8
	v_addc_co_u32_e32 v11, vcc, v9, v11, vcc
	global_load_dwordx2 v[12:13], v[3:4], off
	global_load_dwordx2 v[14:15], v[5:6], off
	;; [unrolled: 1-line block ×4, first 2 shown]
	v_mul_u32_u24_e32 v5, 0x108, v7
	v_lshl_add_u32 v5, v1, 3, v5
	s_mov_b64 s[8:9], 0
	s_waitcnt vmcnt(3)
	ds_write_b64 v5, v[12:13]
	s_waitcnt vmcnt(2)
	ds_write_b64 v5, v[14:15] offset:2112
	s_waitcnt vmcnt(1)
	ds_write_b64 v5, v[16:17] offset:4224
	;; [unrolled: 2-line block ×3, first 2 shown]
.LBB14_12:
	s_andn2_b64 vcc, exec, s[8:9]
	v_lshlrev_b32_e32 v8, 3, v1
	s_cbranch_vccnz .LBB14_30
; %bb.13:
	v_sub_co_u32_e32 v5, vcc, v3, v8
	s_ashr_i32 s23, s22, 31
	v_subbrev_co_u32_e32 v6, vcc, 0, v4, vcc
	s_lshl_b64 s[10:11], s[22:23], 3
	v_mov_b32_e32 v9, s11
	v_add_co_u32_e32 v5, vcc, s10, v5
	v_addc_co_u32_e32 v6, vcc, v6, v9, vcc
	v_add_co_u32_e32 v5, vcc, -8, v5
	v_addc_co_u32_e32 v6, vcc, -1, v6, vcc
	v_cmp_gt_i32_e32 vcc, s22, v1
	v_cndmask_b32_e32 v6, v6, v4, vcc
	v_cndmask_b32_e32 v5, v5, v3, vcc
	v_cmp_le_i32_e64 s[8:9], s22, v7
	v_mul_u32_u24_e32 v9, 0x108, v7
	s_and_saveexec_b64 s[12:13], s[8:9]
	s_xor_b64 s[8:9], exec, s[12:13]
; %bb.14:
	v_mov_b32_e32 v10, 0
	v_add_u32_e32 v12, v8, v9
	v_mov_b32_e32 v11, v10
	ds_write_b64 v12, v[10:11]
; %bb.15:
	s_andn2_saveexec_b64 s[8:9], s[8:9]
	s_cbranch_execz .LBB14_17
; %bb.16:
	global_load_dwordx2 v[10:11], v[5:6], off
	v_add_u32_e32 v12, v8, v9
	s_waitcnt vmcnt(0)
	ds_write_b64 v12, v[10:11]
.LBB14_17:
	s_or_b64 exec, exec, s[8:9]
	v_add_u32_e32 v10, 8, v7
	v_cmp_le_i32_e64 s[8:9], s22, v10
	s_and_saveexec_b64 s[12:13], s[8:9]
	s_xor_b64 s[8:9], exec, s[12:13]
; %bb.18:
	v_mov_b32_e32 v10, 0
	v_add_u32_e32 v12, v9, v8
	v_mov_b32_e32 v11, v10
	ds_write_b64 v12, v[10:11] offset:2112
; %bb.19:
	s_andn2_saveexec_b64 s[12:13], s[8:9]
	s_cbranch_execz .LBB14_21
; %bb.20:
	s_lshl_b32 s8, s26, 3
	s_ashr_i32 s9, s8, 31
	s_lshl_b64 s[8:9], s[8:9], 3
	v_mov_b32_e32 v11, s9
	v_add_co_u32_e64 v10, s[8:9], s8, v5
	v_addc_co_u32_e64 v11, s[8:9], v6, v11, s[8:9]
	global_load_dwordx2 v[10:11], v[10:11], off
	v_add_u32_e32 v12, v9, v8
	s_waitcnt vmcnt(0)
	ds_write_b64 v12, v[10:11] offset:2112
.LBB14_21:
	s_or_b64 exec, exec, s[12:13]
	v_add_u32_e32 v10, 16, v7
	v_cmp_le_i32_e64 s[8:9], s22, v10
	s_and_saveexec_b64 s[12:13], s[8:9]
	s_xor_b64 s[8:9], exec, s[12:13]
; %bb.22:
	v_mov_b32_e32 v10, 0
	v_add_u32_e32 v12, v9, v8
	v_mov_b32_e32 v11, v10
	ds_write_b64 v12, v[10:11] offset:4224
; %bb.23:
	s_andn2_saveexec_b64 s[12:13], s[8:9]
	s_cbranch_execz .LBB14_25
; %bb.24:
	s_lshl_b32 s8, s26, 4
	s_ashr_i32 s9, s8, 31
	s_lshl_b64 s[8:9], s[8:9], 3
	v_mov_b32_e32 v11, s9
	v_add_co_u32_e64 v10, s[8:9], s8, v5
	v_addc_co_u32_e64 v11, s[8:9], v6, v11, s[8:9]
	global_load_dwordx2 v[10:11], v[10:11], off
	v_add_u32_e32 v12, v9, v8
	s_waitcnt vmcnt(0)
	ds_write_b64 v12, v[10:11] offset:4224
.LBB14_25:
	s_or_b64 exec, exec, s[12:13]
	v_add_u32_e32 v10, 24, v7
	v_cmp_le_i32_e64 s[8:9], s22, v10
	s_and_saveexec_b64 s[12:13], s[8:9]
	s_xor_b64 s[8:9], exec, s[12:13]
; %bb.26:
	v_add_u32_e32 v11, v9, v8
	v_mov_b32_e32 v9, 0
	v_mov_b32_e32 v10, v9
	ds_write_b64 v11, v[9:10] offset:6336
                                        ; implicit-def: $vgpr9
; %bb.27:
	s_andn2_saveexec_b64 s[12:13], s[8:9]
	s_cbranch_execz .LBB14_29
; %bb.28:
	s_mul_i32 s8, s26, 24
	s_ashr_i32 s9, s8, 31
	s_lshl_b64 s[8:9], s[8:9], 3
	v_mov_b32_e32 v11, s9
	v_add_co_u32_e64 v10, s[8:9], s8, v5
	v_addc_co_u32_e64 v11, s[8:9], v6, v11, s[8:9]
	global_load_dwordx2 v[10:11], v[10:11], off
	v_add_u32_e32 v9, v9, v8
	s_waitcnt vmcnt(0)
	ds_write_b64 v9, v[10:11] offset:6336
.LBB14_29:
	s_or_b64 exec, exec, s[12:13]
	v_add_co_u32_e64 v5, s[8:9], v5, v8
	v_addc_co_u32_e64 v6, s[8:9], 0, v6, s[8:9]
	v_mov_b32_e32 v9, s11
	v_subrev_co_u32_e64 v5, s[8:9], s10, v5
	v_subb_co_u32_e64 v6, s[8:9], v6, v9, s[8:9]
	v_add_co_u32_e64 v5, s[8:9], 8, v5
	v_addc_co_u32_e64 v6, s[8:9], 0, v6, s[8:9]
	v_cndmask_b32_e32 v4, v6, v4, vcc
	v_cndmask_b32_e32 v3, v5, v3, vcc
.LBB14_30:
	v_lshlrev_b32_e32 v5, 2, v7
	v_mul_u32_u24_e32 v6, 0x108, v1
	v_cmp_ge_u32_e64 s[8:9], v5, v1
	s_mov_b64 s[10:11], 0
	s_waitcnt lgkmcnt(0)
	s_barrier
                                        ; implicit-def: $vgpr10
	s_and_saveexec_b64 s[12:13], s[8:9]
	s_xor_b64 s[12:13], exec, s[12:13]
	s_cbranch_execz .LBB14_34
; %bb.31:
	v_cmp_eq_u32_e32 vcc, v5, v1
                                        ; implicit-def: $vgpr10
	s_and_saveexec_b64 s[14:15], vcc
	s_xor_b64 s[14:15], exec, s[14:15]
; %bb.32:
	s_mov_b64 s[10:11], exec
	v_add_u32_e32 v10, v8, v6
; %bb.33:
	s_or_b64 exec, exec, s[14:15]
	s_and_b64 s[10:11], s[10:11], exec
.LBB14_34:
	s_or_saveexec_b64 s[12:13], s[12:13]
	v_lshl_or_b32 v9, v1, 8, v8
	v_mov_b32_e32 v11, 0
	s_xor_b64 exec, exec, s[12:13]
	s_cbranch_execz .LBB14_36
; %bb.35:
	s_movk_i32 s14, 0x420
	v_mad_u32_u24 v10, v7, s14, v8
	ds_read_b64 v[12:13], v10
	v_lshl_add_u32 v10, v5, 3, v9
	s_or_b64 s[10:11], s[10:11], exec
	s_waitcnt lgkmcnt(0)
	v_xor_b32_e32 v11, 0x80000000, v13
	ds_write_b32 v10, v12
.LBB14_36:
	s_or_b64 exec, exec, s[12:13]
	s_and_saveexec_b64 s[12:13], s[10:11]
; %bb.37:
	ds_write_b32 v10, v11 offset:4
; %bb.38:
	s_or_b64 exec, exec, s[12:13]
	v_or_b32_e32 v10, 1, v5
	v_cmp_ge_u32_e64 s[10:11], v10, v1
	s_mov_b64 s[12:13], 0
                                        ; implicit-def: $vgpr11
	s_and_saveexec_b64 s[14:15], s[10:11]
	s_xor_b64 s[14:15], exec, s[14:15]
	s_cbranch_execnz .LBB14_100
; %bb.39:
	s_or_saveexec_b64 s[14:15], s[14:15]
	v_mov_b32_e32 v12, 0
	s_xor_b64 exec, exec, s[14:15]
	s_cbranch_execnz .LBB14_103
.LBB14_40:
	s_or_b64 exec, exec, s[14:15]
	s_and_saveexec_b64 s[14:15], s[12:13]
.LBB14_41:
	ds_write_b32 v11, v12 offset:4
.LBB14_42:
	s_or_b64 exec, exec, s[14:15]
	v_or_b32_e32 v11, 2, v5
	v_cmp_ge_u32_e64 s[12:13], v11, v1
	s_mov_b64 s[14:15], 0
                                        ; implicit-def: $vgpr12
	s_and_saveexec_b64 s[16:17], s[12:13]
	s_xor_b64 s[16:17], exec, s[16:17]
	s_cbranch_execnz .LBB14_104
; %bb.43:
	s_or_saveexec_b64 s[16:17], s[16:17]
	v_mov_b32_e32 v13, 0
	s_xor_b64 exec, exec, s[16:17]
	s_cbranch_execnz .LBB14_107
.LBB14_44:
	s_or_b64 exec, exec, s[16:17]
	s_and_saveexec_b64 s[16:17], s[14:15]
.LBB14_45:
	ds_write_b32 v12, v13 offset:4
.LBB14_46:
	s_or_b64 exec, exec, s[16:17]
	v_or_b32_e32 v12, 3, v5
	v_cmp_ge_u32_e64 s[14:15], v12, v1
	s_mov_b64 s[16:17], 0
                                        ; implicit-def: $vgpr13
	s_and_saveexec_b64 s[20:21], s[14:15]
	s_xor_b64 s[20:21], exec, s[20:21]
	s_cbranch_execnz .LBB14_108
; %bb.47:
	s_or_saveexec_b64 s[20:21], s[20:21]
	v_mov_b32_e32 v14, 0
	s_xor_b64 exec, exec, s[20:21]
	s_cbranch_execnz .LBB14_111
.LBB14_48:
	s_or_b64 exec, exec, s[20:21]
	s_and_saveexec_b64 s[20:21], s[16:17]
.LBB14_49:
	ds_write_b32 v13, v14 offset:4
.LBB14_50:
	s_or_b64 exec, exec, s[20:21]
	s_movk_i32 s16, 0x420
	v_mad_u32_u24 v13, v7, s16, v8
	s_waitcnt lgkmcnt(0)
	s_barrier
	v_lshlrev_b32_e32 v9, 3, v5
	ds_read_b64 v[17:18], v13
	ds_read_b128 v[13:16], v9 offset:9088
	ds_read_b128 v[26:29], v9 offset:9104
	s_movk_i32 s16, 0x108
	v_mov_b32_e32 v36, 0
	v_cmp_gt_u32_e64 s[20:21], 32, v25
	s_waitcnt lgkmcnt(1)
	v_mul_f32_e32 v23, v14, v18
	v_fma_f32 v23, v13, v17, -v23
	v_mul_f32_e32 v13, v13, v18
	v_mad_u32_u24 v18, v10, s16, v8
	ds_read2_b64 v[30:33], v18 offset1:33
	v_fmac_f32_e32 v13, v14, v17
	v_add_f32_e32 v14, 0, v23
	v_add_f32_e32 v13, 0, v13
	v_mov_b32_e32 v37, 0
	s_waitcnt lgkmcnt(0)
	v_mul_f32_e32 v17, v16, v31
	v_fma_f32 v17, v15, v30, -v17
	v_mul_f32_e32 v15, v15, v31
	v_fmac_f32_e32 v15, v16, v30
	v_add_f32_e32 v16, v14, v17
	v_add_f32_e32 v15, v13, v15
	ds_read_b64 v[13:14], v18 offset:528
	v_mul_f32_e32 v17, v27, v33
	v_fma_f32 v17, v26, v32, -v17
	v_mul_f32_e32 v18, v26, v33
	v_fmac_f32_e32 v18, v27, v32
	v_add_f32_e32 v16, v16, v17
	s_waitcnt lgkmcnt(0)
	v_mul_f32_e32 v17, v29, v14
	v_mul_f32_e32 v14, v28, v14
	v_add_f32_e32 v15, v15, v18
	v_fmac_f32_e32 v14, v29, v13
	v_add_f32_e32 v14, v15, v14
	v_mul_u32_u24_e32 v15, 33, v1
	v_fma_f32 v17, v28, v13, -v17
	v_lshlrev_b32_e32 v26, 3, v15
	v_add_f32_e32 v13, v16, v17
	v_lshl_add_u32 v27, v7, 3, v26
	s_barrier
	ds_write_b64 v27, v[13:14]
	s_waitcnt lgkmcnt(0)
	s_barrier
	s_and_saveexec_b64 s[16:17], s[20:21]
	s_cbranch_execz .LBB14_52
; %bb.51:
	ds_read2_b64 v[13:16], v26 offset1:7
	ds_read2_b64 v[28:31], v26 offset0:1 offset1:2
	ds_read2_b64 v[36:39], v26 offset0:3 offset1:4
	s_waitcnt lgkmcnt(1)
	v_add_f32_e32 v13, v28, v13
	v_add_f32_e32 v14, v29, v14
	;; [unrolled: 1-line block ×4, first 2 shown]
	ds_read2_b64 v[28:31], v26 offset0:5 offset1:6
	s_waitcnt lgkmcnt(1)
	v_add_f32_e32 v13, v13, v36
	v_add_f32_e32 v14, v14, v37
	;; [unrolled: 1-line block ×4, first 2 shown]
	s_waitcnt lgkmcnt(0)
	v_add_f32_e32 v13, v13, v28
	v_add_f32_e32 v14, v14, v29
	;; [unrolled: 1-line block ×6, first 2 shown]
.LBB14_52:
	s_or_b64 exec, exec, s[16:17]
	s_lshl_b32 s16, s26, 5
	s_ashr_i32 s17, s16, 31
	s_lshl_b64 s[34:35], s[16:17], 3
	v_mov_b32_e32 v13, s35
	v_add_co_u32_e32 v3, vcc, s34, v3
	v_addc_co_u32_e32 v4, vcc, v4, v13, vcc
	v_add_co_u32_e32 v13, vcc, 0x100, v3
	v_addc_co_u32_e32 v14, vcc, 0, v4, vcc
	v_cndmask_b32_e64 v15, 0, 1, s[18:19]
	v_cmp_ne_u32_e64 s[16:17], 1, v15
	s_andn2_b64 vcc, exec, s[18:19]
	s_mov_b64 s[18:19], -1
	s_barrier
	s_cbranch_vccnz .LBB14_54
; %bb.53:
	s_lshl_b32 s18, s26, 3
	s_ashr_i32 s19, s18, 31
	s_lshl_b64 s[18:19], s[18:19], 3
	v_mov_b32_e32 v16, s19
	v_add_co_u32_e32 v15, vcc, s18, v3
	s_ashr_i32 s27, s26, 31
	v_addc_co_u32_e32 v16, vcc, v4, v16, vcc
	s_lshl_b64 s[18:19], s[26:27], 6
	v_mov_b32_e32 v24, s19
	v_add_co_u32_e32 v17, vcc, s18, v15
	v_addc_co_u32_e32 v18, vcc, v16, v24, vcc
	v_add_co_u32_e32 v23, vcc, s18, v17
	v_addc_co_u32_e32 v24, vcc, v18, v24, vcc
	global_load_dwordx2 v[28:29], v[3:4], off offset:256
	global_load_dwordx2 v[30:31], v[15:16], off offset:256
	;; [unrolled: 1-line block ×4, first 2 shown]
	s_movk_i32 s18, 0x108
	v_mad_u32_u24 v15, v7, s18, v8
	s_mov_b64 s[18:19], 0
	s_waitcnt vmcnt(3)
	ds_write_b64 v15, v[28:29]
	s_waitcnt vmcnt(2)
	ds_write_b64 v15, v[30:31] offset:2112
	s_waitcnt vmcnt(1)
	ds_write_b64 v15, v[32:33] offset:4224
	;; [unrolled: 2-line block ×3, first 2 shown]
.LBB14_54:
	s_andn2_b64 vcc, exec, s[18:19]
	s_cbranch_vccnz .LBB14_72
; %bb.55:
	v_sub_co_u32_e32 v3, vcc, v3, v8
	s_ashr_i32 s23, s22, 31
	v_subbrev_co_u32_e32 v4, vcc, 0, v4, vcc
	s_lshl_b64 s[36:37], s[22:23], 3
	v_mov_b32_e32 v16, s37
	v_add_co_u32_e32 v3, vcc, s36, v3
	v_addc_co_u32_e32 v4, vcc, v4, v16, vcc
	v_or_b32_e32 v15, 32, v1
	v_add_co_u32_e32 v3, vcc, -8, v3
	v_addc_co_u32_e32 v4, vcc, -1, v4, vcc
	v_cmp_gt_i32_e64 s[18:19], s22, v15
	s_sub_i32 s23, s22, 32
	v_cndmask_b32_e64 v4, v4, v14, s[18:19]
	v_cndmask_b32_e64 v3, v3, v13, s[18:19]
	v_cmp_le_i32_e32 vcc, s23, v7
	v_mul_u32_u24_e32 v15, 0x108, v7
	s_and_saveexec_b64 s[38:39], vcc
	s_xor_b64 s[38:39], exec, s[38:39]
; %bb.56:
	v_mov_b32_e32 v16, 0
	v_add_u32_e32 v18, v8, v15
	v_mov_b32_e32 v17, v16
	ds_write_b64 v18, v[16:17]
; %bb.57:
	s_andn2_saveexec_b64 s[38:39], s[38:39]
	s_cbranch_execz .LBB14_59
; %bb.58:
	global_load_dwordx2 v[16:17], v[3:4], off
	v_add_u32_e32 v18, v8, v15
	s_waitcnt vmcnt(0)
	ds_write_b64 v18, v[16:17]
.LBB14_59:
	s_or_b64 exec, exec, s[38:39]
	v_add_u32_e32 v16, 8, v7
	v_cmp_le_i32_e32 vcc, s23, v16
	s_and_saveexec_b64 s[38:39], vcc
	s_xor_b64 s[38:39], exec, s[38:39]
; %bb.60:
	v_mov_b32_e32 v16, 0
	v_add_u32_e32 v18, v15, v8
	v_mov_b32_e32 v17, v16
	ds_write_b64 v18, v[16:17] offset:2112
; %bb.61:
	s_andn2_saveexec_b64 s[38:39], s[38:39]
	s_cbranch_execz .LBB14_63
; %bb.62:
	s_lshl_b32 s44, s26, 3
	s_ashr_i32 s45, s44, 31
	s_lshl_b64 s[44:45], s[44:45], 3
	v_mov_b32_e32 v17, s45
	v_add_co_u32_e32 v16, vcc, s44, v3
	v_addc_co_u32_e32 v17, vcc, v4, v17, vcc
	global_load_dwordx2 v[16:17], v[16:17], off
	v_add_u32_e32 v18, v15, v8
	s_waitcnt vmcnt(0)
	ds_write_b64 v18, v[16:17] offset:2112
.LBB14_63:
	s_or_b64 exec, exec, s[38:39]
	v_add_u32_e32 v16, 16, v7
	v_cmp_le_i32_e32 vcc, s23, v16
	s_and_saveexec_b64 s[38:39], vcc
	s_xor_b64 s[38:39], exec, s[38:39]
; %bb.64:
	v_mov_b32_e32 v16, 0
	v_add_u32_e32 v18, v15, v8
	v_mov_b32_e32 v17, v16
	ds_write_b64 v18, v[16:17] offset:4224
; %bb.65:
	s_andn2_saveexec_b64 s[38:39], s[38:39]
	s_cbranch_execz .LBB14_67
; %bb.66:
	s_lshl_b32 s44, s26, 4
	s_ashr_i32 s45, s44, 31
	s_lshl_b64 s[44:45], s[44:45], 3
	v_mov_b32_e32 v17, s45
	v_add_co_u32_e32 v16, vcc, s44, v3
	v_addc_co_u32_e32 v17, vcc, v4, v17, vcc
	global_load_dwordx2 v[16:17], v[16:17], off
	v_add_u32_e32 v18, v15, v8
	s_waitcnt vmcnt(0)
	ds_write_b64 v18, v[16:17] offset:4224
.LBB14_67:
	s_or_b64 exec, exec, s[38:39]
	v_add_u32_e32 v16, 24, v7
	v_cmp_le_i32_e32 vcc, s23, v16
	s_and_saveexec_b64 s[38:39], vcc
	s_xor_b64 s[38:39], exec, s[38:39]
; %bb.68:
	v_add_u32_e32 v17, v15, v8
	v_mov_b32_e32 v15, 0
	v_mov_b32_e32 v16, v15
	ds_write_b64 v17, v[15:16] offset:6336
                                        ; implicit-def: $vgpr15
; %bb.69:
	s_andn2_saveexec_b64 s[38:39], s[38:39]
	s_cbranch_execz .LBB14_71
; %bb.70:
	s_mul_i32 s44, s26, 24
	s_ashr_i32 s45, s44, 31
	s_lshl_b64 s[44:45], s[44:45], 3
	v_mov_b32_e32 v17, s45
	v_add_co_u32_e32 v16, vcc, s44, v3
	v_addc_co_u32_e32 v17, vcc, v4, v17, vcc
	global_load_dwordx2 v[16:17], v[16:17], off
	v_add_u32_e32 v15, v15, v8
	s_waitcnt vmcnt(0)
	ds_write_b64 v15, v[16:17] offset:6336
.LBB14_71:
	s_or_b64 exec, exec, s[38:39]
	v_add_co_u32_e32 v3, vcc, v3, v8
	v_addc_co_u32_e32 v4, vcc, 0, v4, vcc
	v_mov_b32_e32 v15, s37
	v_subrev_co_u32_e32 v3, vcc, s36, v3
	v_subb_co_u32_e32 v4, vcc, v4, v15, vcc
	v_add_co_u32_e32 v3, vcc, 0x108, v3
	v_addc_co_u32_e32 v4, vcc, 0, v4, vcc
	v_cndmask_b32_e64 v14, v4, v14, s[18:19]
	v_cndmask_b32_e64 v13, v3, v13, s[18:19]
.LBB14_72:
	v_mul_u32_u24_e32 v3, 0x420, v7
	v_add_u32_e32 v9, 0x2380, v9
	v_mul_u32_u24_e32 v4, 0x108, v10
	s_mov_b64 s[18:19], 0
	s_waitcnt lgkmcnt(0)
	s_barrier
                                        ; implicit-def: $vgpr15
	s_and_saveexec_b64 s[36:37], s[8:9]
	s_xor_b64 s[8:9], exec, s[36:37]
	s_cbranch_execz .LBB14_76
; %bb.73:
	v_cmp_eq_u32_e32 vcc, v5, v1
                                        ; implicit-def: $vgpr15
	s_and_saveexec_b64 s[36:37], vcc
	s_xor_b64 s[36:37], exec, s[36:37]
; %bb.74:
	s_mov_b64 s[18:19], exec
	v_add_u32_e32 v15, v8, v6
; %bb.75:
	s_or_b64 exec, exec, s[36:37]
	s_and_b64 s[18:19], s[18:19], exec
.LBB14_76:
	s_or_saveexec_b64 s[8:9], s[8:9]
	v_mov_b32_e32 v16, 0
	v_add_u32_e32 v3, v8, v3
	s_xor_b64 exec, exec, s[8:9]
	s_cbranch_execz .LBB14_78
; %bb.77:
	ds_read_b64 v[17:18], v3
	v_lshl_add_u32 v15, v5, 3, v26
	s_or_b64 s[18:19], s[18:19], exec
	s_waitcnt lgkmcnt(0)
	v_xor_b32_e32 v16, 0x80000000, v18
	ds_write_b32 v15, v17
.LBB14_78:
	s_or_b64 exec, exec, s[8:9]
	s_and_saveexec_b64 s[8:9], s[18:19]
; %bb.79:
	ds_write_b32 v15, v16 offset:4
; %bb.80:
	s_or_b64 exec, exec, s[8:9]
	s_mov_b64 s[8:9], 0
                                        ; implicit-def: $vgpr15
	s_and_saveexec_b64 s[18:19], s[10:11]
	s_xor_b64 s[10:11], exec, s[18:19]
	s_cbranch_execz .LBB14_84
; %bb.81:
	v_cmp_eq_u32_e32 vcc, v10, v1
                                        ; implicit-def: $vgpr15
	s_and_saveexec_b64 s[18:19], vcc
; %bb.82:
	s_mov_b64 s[8:9], exec
	v_add_u32_e32 v15, v8, v6
; %bb.83:
	s_or_b64 exec, exec, s[18:19]
	s_and_b64 s[8:9], s[8:9], exec
.LBB14_84:
	s_or_saveexec_b64 s[10:11], s[10:11]
	v_mov_b32_e32 v10, 0
	v_add_u32_e32 v4, v8, v4
	s_xor_b64 exec, exec, s[10:11]
	s_cbranch_execz .LBB14_86
; %bb.85:
	ds_read_b64 v[16:17], v4
	v_lshl_add_u32 v18, v5, 3, v26
	v_add_u32_e32 v15, 8, v18
	s_or_b64 s[8:9], s[8:9], exec
	s_waitcnt lgkmcnt(0)
	v_xor_b32_e32 v10, 0x80000000, v17
	ds_write_b32 v18, v16 offset:8
.LBB14_86:
	s_or_b64 exec, exec, s[10:11]
	s_and_saveexec_b64 s[10:11], s[8:9]
; %bb.87:
	ds_write_b32 v15, v10 offset:4
; %bb.88:
	s_or_b64 exec, exec, s[10:11]
	s_mov_b64 s[8:9], 0
                                        ; implicit-def: $vgpr10
	s_and_saveexec_b64 s[10:11], s[12:13]
	s_xor_b64 s[10:11], exec, s[10:11]
	s_cbranch_execnz .LBB14_112
; %bb.89:
	s_or_saveexec_b64 s[10:11], s[10:11]
	v_mov_b32_e32 v11, 0
	s_xor_b64 exec, exec, s[10:11]
	s_cbranch_execnz .LBB14_115
.LBB14_90:
	s_or_b64 exec, exec, s[10:11]
	s_and_saveexec_b64 s[10:11], s[8:9]
.LBB14_91:
	ds_write_b32 v10, v11 offset:4
.LBB14_92:
	s_or_b64 exec, exec, s[10:11]
	s_mov_b64 s[8:9], 0
                                        ; implicit-def: $vgpr10
	s_and_saveexec_b64 s[10:11], s[14:15]
	s_xor_b64 s[10:11], exec, s[10:11]
	s_cbranch_execnz .LBB14_116
; %bb.93:
	s_or_saveexec_b64 s[10:11], s[10:11]
	v_mov_b32_e32 v6, 0
	s_xor_b64 exec, exec, s[10:11]
	s_cbranch_execnz .LBB14_119
.LBB14_94:
	s_or_b64 exec, exec, s[10:11]
	s_and_saveexec_b64 s[10:11], s[8:9]
.LBB14_95:
	ds_write_b32 v10, v6 offset:4
.LBB14_96:
	s_or_b64 exec, exec, s[10:11]
	s_waitcnt lgkmcnt(0)
	s_barrier
	ds_read_b64 v[10:11], v3
	ds_read_b128 v[15:18], v9 offset:256
	ds_read_b128 v[28:31], v9 offset:272
	ds_read_b64 v[23:24], v4 offset:528
	ds_read2_b64 v[38:41], v4 offset1:33
	v_cmp_eq_u32_e64 s[8:9], 1, v7
	s_waitcnt lgkmcnt(3)
	v_mul_f32_e32 v3, v16, v11
	v_mul_f32_e32 v4, v15, v11
	v_fma_f32 v3, v15, v10, -v3
	v_fmac_f32_e32 v4, v16, v10
	s_waitcnt lgkmcnt(0)
	v_mul_f32_e32 v6, v18, v39
	v_mul_f32_e32 v10, v17, v39
	v_add_f32_e32 v3, 0, v3
	v_add_f32_e32 v4, 0, v4
	v_fma_f32 v6, v17, v38, -v6
	v_fmac_f32_e32 v10, v18, v38
	v_add_f32_e32 v3, v3, v6
	v_add_f32_e32 v4, v4, v10
	v_mul_f32_e32 v6, v29, v41
	v_mul_f32_e32 v10, v28, v41
	v_fma_f32 v6, v28, v40, -v6
	v_fmac_f32_e32 v10, v29, v40
	v_add_f32_e32 v3, v3, v6
	v_add_f32_e32 v4, v4, v10
	v_mul_f32_e32 v6, v31, v24
	v_mul_f32_e32 v10, v30, v24
	v_fma_f32 v6, v30, v23, -v6
	v_fmac_f32_e32 v10, v31, v23
	v_add_f32_e32 v3, v3, v6
	v_add_f32_e32 v4, v4, v10
	s_barrier
	ds_write_b64 v27, v[3:4]
	s_waitcnt lgkmcnt(0)
	s_barrier
	s_and_saveexec_b64 s[10:11], s[8:9]
	s_cbranch_execz .LBB14_98
; %bb.97:
	ds_read2_b64 v[15:18], v26 offset1:7
	ds_read2_b64 v[28:31], v26 offset0:1 offset1:2
	ds_read2_b64 v[36:39], v26 offset0:3 offset1:4
	s_waitcnt lgkmcnt(1)
	v_add_f32_e32 v3, v28, v15
	v_add_f32_e32 v4, v29, v16
	;; [unrolled: 1-line block ×4, first 2 shown]
	ds_read2_b64 v[28:31], v26 offset0:5 offset1:6
	s_waitcnt lgkmcnt(1)
	v_add_f32_e32 v3, v3, v36
	v_add_f32_e32 v4, v4, v37
	;; [unrolled: 1-line block ×4, first 2 shown]
	s_waitcnt lgkmcnt(0)
	v_add_f32_e32 v3, v3, v28
	v_add_f32_e32 v4, v4, v29
	v_add_f32_e32 v3, v3, v30
	v_add_f32_e32 v4, v4, v31
	v_add_f32_e32 v36, v3, v17
	v_add_f32_e32 v37, v4, v18
.LBB14_98:
	s_or_b64 exec, exec, s[10:11]
	v_mov_b32_e32 v3, s35
	v_subrev_co_u32_e64 v23, s[10:11], s34, v13
	s_and_b64 vcc, exec, s[16:17]
	v_subb_co_u32_e64 v24, s[10:11], v14, v3, s[10:11]
	s_barrier
	s_cbranch_vccnz .LBB14_120
; %bb.99:
	s_lshl_b32 s10, s26, 3
	s_ashr_i32 s11, s10, 31
	s_lshl_b64 s[10:11], s[10:11], 3
	v_mov_b32_e32 v4, s11
	v_add_co_u32_e32 v3, vcc, s10, v23
	s_ashr_i32 s27, s26, 31
	v_addc_co_u32_e32 v4, vcc, v24, v4, vcc
	s_lshl_b64 s[10:11], s[26:27], 6
	v_mov_b32_e32 v6, s11
	v_add_co_u32_e32 v10, vcc, s10, v3
	v_addc_co_u32_e32 v11, vcc, v4, v6, vcc
	v_add_co_u32_e32 v12, vcc, s10, v10
	v_addc_co_u32_e32 v13, vcc, v11, v6, vcc
	global_load_dwordx2 v[14:15], v[23:24], off
	global_load_dwordx2 v[16:17], v[3:4], off
	;; [unrolled: 1-line block ×4, first 2 shown]
	s_movk_i32 s10, 0x108
	v_mov_b32_e32 v3, 0x840
	v_mov_b32_e32 v13, 0x1080
	;; [unrolled: 1-line block ×3, first 2 shown]
	v_mul_u32_u24_e32 v6, 0x108, v7
	v_add_u32_e32 v10, 8, v7
	v_add_u32_e32 v11, 16, v7
	;; [unrolled: 1-line block ×3, first 2 shown]
	v_mad_u32_u24 v32, v7, s10, v8
	v_mad_u32_u24 v4, v7, s10, v3
	v_mad_u32_u24 v3, v7, s10, v13
	v_mad_u32_u24 v13, v7, s10, v18
	v_add_u32_e32 v18, v8, v4
	v_add_u32_e32 v33, v8, v3
	;; [unrolled: 1-line block ×3, first 2 shown]
	s_waitcnt vmcnt(3)
	ds_write_b64 v32, v[14:15]
	s_waitcnt vmcnt(2)
	ds_write_b64 v18, v[16:17]
	;; [unrolled: 2-line block ×4, first 2 shown]
	s_cbranch_execz .LBB14_121
	s_branch .LBB14_138
.LBB14_100:
	v_cmp_eq_u32_e32 vcc, v10, v1
                                        ; implicit-def: $vgpr11
	s_and_saveexec_b64 s[16:17], vcc
; %bb.101:
	s_mov_b64 s[12:13], exec
	v_add_u32_e32 v11, v8, v6
; %bb.102:
	s_or_b64 exec, exec, s[16:17]
	s_and_b64 s[12:13], s[12:13], exec
	s_or_saveexec_b64 s[14:15], s[14:15]
	v_mov_b32_e32 v12, 0
	s_xor_b64 exec, exec, s[14:15]
	s_cbranch_execz .LBB14_40
.LBB14_103:
	s_movk_i32 s16, 0x108
	v_mad_u32_u24 v11, v10, s16, v8
	ds_read_b64 v[13:14], v11
	v_lshl_add_u32 v15, v5, 3, v9
	v_add_u32_e32 v11, 8, v15
	s_or_b64 s[12:13], s[12:13], exec
	s_waitcnt lgkmcnt(0)
	v_xor_b32_e32 v12, 0x80000000, v14
	ds_write_b32 v15, v13 offset:8
	s_or_b64 exec, exec, s[14:15]
	s_and_saveexec_b64 s[14:15], s[12:13]
	s_cbranch_execnz .LBB14_41
	s_branch .LBB14_42
.LBB14_104:
	v_cmp_eq_u32_e32 vcc, v11, v1
                                        ; implicit-def: $vgpr12
	s_and_saveexec_b64 s[20:21], vcc
; %bb.105:
	s_mov_b64 s[14:15], exec
	v_add_u32_e32 v12, v8, v6
; %bb.106:
	s_or_b64 exec, exec, s[20:21]
	s_and_b64 s[14:15], s[14:15], exec
	s_or_saveexec_b64 s[16:17], s[16:17]
	v_mov_b32_e32 v13, 0
	s_xor_b64 exec, exec, s[16:17]
	s_cbranch_execz .LBB14_44
.LBB14_107:
	s_movk_i32 s20, 0x108
	v_mad_u32_u24 v12, v11, s20, v8
	ds_read_b64 v[14:15], v12
	v_lshl_add_u32 v16, v5, 3, v9
	v_add_u32_e32 v12, 16, v16
	s_or_b64 s[14:15], s[14:15], exec
	s_waitcnt lgkmcnt(0)
	v_xor_b32_e32 v13, 0x80000000, v15
	ds_write_b32 v16, v14 offset:16
	s_or_b64 exec, exec, s[16:17]
	s_and_saveexec_b64 s[16:17], s[14:15]
	s_cbranch_execnz .LBB14_45
	s_branch .LBB14_46
.LBB14_108:
	v_cmp_eq_u32_e32 vcc, v12, v1
                                        ; implicit-def: $vgpr13
	s_and_saveexec_b64 s[34:35], vcc
; %bb.109:
	s_mov_b64 s[16:17], exec
	v_add_u32_e32 v13, v8, v6
; %bb.110:
	s_or_b64 exec, exec, s[34:35]
	s_and_b64 s[16:17], s[16:17], exec
                                        ; implicit-def: $vgpr9
	s_or_saveexec_b64 s[20:21], s[20:21]
	v_mov_b32_e32 v14, 0
	s_xor_b64 exec, exec, s[20:21]
	s_cbranch_execz .LBB14_48
.LBB14_111:
	s_movk_i32 s23, 0x108
	v_mad_u32_u24 v13, v12, s23, v8
	ds_read_b64 v[15:16], v13
	v_lshl_add_u32 v9, v5, 3, v9
	v_add_u32_e32 v13, 24, v9
	s_or_b64 s[16:17], s[16:17], exec
	s_waitcnt lgkmcnt(0)
	v_xor_b32_e32 v14, 0x80000000, v16
	ds_write_b32 v9, v15 offset:24
	s_or_b64 exec, exec, s[20:21]
	s_and_saveexec_b64 s[20:21], s[16:17]
	s_cbranch_execnz .LBB14_49
	s_branch .LBB14_50
.LBB14_112:
	v_cmp_eq_u32_e32 vcc, v11, v1
                                        ; implicit-def: $vgpr10
	s_and_saveexec_b64 s[12:13], vcc
; %bb.113:
	s_mov_b64 s[8:9], exec
	v_add_u32_e32 v10, v8, v6
; %bb.114:
	s_or_b64 exec, exec, s[12:13]
	s_and_b64 s[8:9], s[8:9], exec
	s_or_saveexec_b64 s[10:11], s[10:11]
	v_mov_b32_e32 v11, 0
	s_xor_b64 exec, exec, s[10:11]
	s_cbranch_execz .LBB14_90
.LBB14_115:
	ds_read_b64 v[15:16], v4 offset:264
	v_lshl_add_u32 v17, v5, 3, v26
	v_add_u32_e32 v10, 16, v17
	s_or_b64 s[8:9], s[8:9], exec
	s_waitcnt lgkmcnt(0)
	v_xor_b32_e32 v11, 0x80000000, v16
	ds_write_b32 v17, v15 offset:16
	s_or_b64 exec, exec, s[10:11]
	s_and_saveexec_b64 s[10:11], s[8:9]
	s_cbranch_execnz .LBB14_91
	s_branch .LBB14_92
.LBB14_116:
	v_cmp_eq_u32_e32 vcc, v12, v1
                                        ; implicit-def: $vgpr10
	s_and_saveexec_b64 s[12:13], vcc
; %bb.117:
	s_mov_b64 s[8:9], exec
	v_add_u32_e32 v10, v8, v6
; %bb.118:
	s_or_b64 exec, exec, s[12:13]
	s_and_b64 s[8:9], s[8:9], exec
	s_or_saveexec_b64 s[10:11], s[10:11]
	v_mov_b32_e32 v6, 0
	s_xor_b64 exec, exec, s[10:11]
	s_cbranch_execz .LBB14_94
.LBB14_119:
	ds_read_b64 v[11:12], v4 offset:528
	v_lshl_add_u32 v15, v5, 3, v26
	v_add_u32_e32 v10, 24, v15
	s_or_b64 s[8:9], s[8:9], exec
	s_waitcnt lgkmcnt(0)
	v_xor_b32_e32 v6, 0x80000000, v12
	ds_write_b32 v15, v11 offset:24
	s_or_b64 exec, exec, s[10:11]
	s_and_saveexec_b64 s[10:11], s[8:9]
	s_cbranch_execnz .LBB14_95
	s_branch .LBB14_96
.LBB14_120:
                                        ; implicit-def: $vgpr6
                                        ; implicit-def: $vgpr10
                                        ; implicit-def: $vgpr4
                                        ; implicit-def: $vgpr11
                                        ; implicit-def: $vgpr3
                                        ; implicit-def: $vgpr12
                                        ; implicit-def: $vgpr13
.LBB14_121:
	v_sub_co_u32_e32 v3, vcc, v23, v8
	s_ashr_i32 s23, s22, 31
	v_subbrev_co_u32_e32 v4, vcc, 0, v24, vcc
	s_lshl_b64 s[12:13], s[22:23], 3
	v_mov_b32_e32 v6, s13
	v_add_co_u32_e32 v3, vcc, s12, v3
	v_addc_co_u32_e32 v4, vcc, v4, v6, vcc
	v_or_b32_e32 v1, 32, v1
	v_add_co_u32_e32 v3, vcc, 0xfffffef8, v3
	v_addc_co_u32_e32 v4, vcc, -1, v4, vcc
	v_cmp_gt_i32_e64 s[10:11], s22, v1
	v_cndmask_b32_e64 v4, v4, v24, s[10:11]
	v_cndmask_b32_e64 v3, v3, v23, s[10:11]
	v_cmp_le_i32_e32 vcc, s22, v7
	v_mul_u32_u24_e32 v6, 0x108, v7
	s_and_saveexec_b64 s[14:15], vcc
	s_xor_b64 s[14:15], exec, s[14:15]
; %bb.122:
	v_mov_b32_e32 v10, 0
	v_add_u32_e32 v1, v8, v6
	v_mov_b32_e32 v11, v10
	ds_write_b64 v1, v[10:11]
; %bb.123:
	s_andn2_saveexec_b64 s[14:15], s[14:15]
	s_cbranch_execz .LBB14_125
; %bb.124:
	global_load_dwordx2 v[10:11], v[3:4], off
	v_add_u32_e32 v1, v8, v6
	s_waitcnt vmcnt(0)
	ds_write_b64 v1, v[10:11]
.LBB14_125:
	s_or_b64 exec, exec, s[14:15]
	v_add_u32_e32 v10, 8, v7
	v_cmp_le_i32_e32 vcc, s22, v10
	s_and_saveexec_b64 s[14:15], vcc
	s_xor_b64 s[14:15], exec, s[14:15]
; %bb.126:
	v_mov_b32_e32 v11, 0
	v_add_u32_e32 v1, v6, v8
	v_mov_b32_e32 v12, v11
	ds_write_b64 v1, v[11:12] offset:2112
; %bb.127:
	s_andn2_saveexec_b64 s[14:15], s[14:15]
	s_cbranch_execz .LBB14_129
; %bb.128:
	s_lshl_b32 s16, s26, 3
	s_ashr_i32 s17, s16, 31
	s_lshl_b64 s[16:17], s[16:17], 3
	v_mov_b32_e32 v1, s17
	v_add_co_u32_e32 v11, vcc, s16, v3
	v_addc_co_u32_e32 v12, vcc, v4, v1, vcc
	global_load_dwordx2 v[11:12], v[11:12], off
	v_add_u32_e32 v1, v6, v8
	s_waitcnt vmcnt(0)
	ds_write_b64 v1, v[11:12] offset:2112
.LBB14_129:
	s_or_b64 exec, exec, s[14:15]
	v_add_u32_e32 v11, 16, v7
	v_cmp_le_i32_e32 vcc, s22, v11
	s_and_saveexec_b64 s[14:15], vcc
	s_xor_b64 s[14:15], exec, s[14:15]
; %bb.130:
	v_mov_b32_e32 v12, 0
	v_add_u32_e32 v1, v6, v8
	v_mov_b32_e32 v13, v12
	ds_write_b64 v1, v[12:13] offset:4224
; %bb.131:
	s_andn2_saveexec_b64 s[14:15], s[14:15]
	s_cbranch_execz .LBB14_133
; %bb.132:
	s_lshl_b32 s16, s26, 4
	s_ashr_i32 s17, s16, 31
	s_lshl_b64 s[16:17], s[16:17], 3
	v_mov_b32_e32 v1, s17
	v_add_co_u32_e32 v12, vcc, s16, v3
	v_addc_co_u32_e32 v13, vcc, v4, v1, vcc
	global_load_dwordx2 v[12:13], v[12:13], off
	v_add_u32_e32 v1, v6, v8
	s_waitcnt vmcnt(0)
	ds_write_b64 v1, v[12:13] offset:4224
.LBB14_133:
	s_or_b64 exec, exec, s[14:15]
	v_add_u32_e32 v12, 24, v7
	v_cmp_le_i32_e32 vcc, s22, v12
                                        ; implicit-def: $vgpr13
	s_and_saveexec_b64 s[14:15], vcc
	s_xor_b64 s[14:15], exec, s[14:15]
; %bb.134:
	v_add_u32_e32 v13, 0x18c0, v6
	v_mov_b32_e32 v14, 0
	v_add_u32_e32 v1, v8, v13
	v_mov_b32_e32 v15, v14
	ds_write_b64 v1, v[14:15]
; %bb.135:
	s_andn2_saveexec_b64 s[14:15], s[14:15]
	s_cbranch_execz .LBB14_137
; %bb.136:
	s_mul_i32 s16, s26, 24
	s_ashr_i32 s17, s16, 31
	s_lshl_b64 s[16:17], s[16:17], 3
	v_mov_b32_e32 v1, s17
	v_add_co_u32_e32 v13, vcc, s16, v3
	v_addc_co_u32_e32 v14, vcc, v4, v1, vcc
	global_load_dwordx2 v[14:15], v[13:14], off
	v_add_u32_e32 v13, 0x18c0, v6
	v_add_u32_e32 v1, v8, v13
	s_waitcnt vmcnt(0)
	ds_write_b64 v1, v[14:15]
.LBB14_137:
	s_or_b64 exec, exec, s[14:15]
	v_add_co_u32_e32 v1, vcc, v3, v8
	v_addc_co_u32_e32 v3, vcc, 0, v4, vcc
	v_mov_b32_e32 v4, s13
	v_subrev_co_u32_e32 v1, vcc, s12, v1
	v_subb_co_u32_e32 v3, vcc, v3, v4, vcc
	v_add_co_u32_e32 v1, vcc, 0x108, v1
	v_addc_co_u32_e32 v3, vcc, 0, v3, vcc
	v_cndmask_b32_e64 v24, v3, v24, s[10:11]
	v_cndmask_b32_e64 v23, v1, v23, s[10:11]
	v_add_u32_e32 v4, 0x840, v6
	v_add_u32_e32 v3, 0x1080, v6
.LBB14_138:
	v_add_u32_e32 v1, v8, v6
	s_waitcnt lgkmcnt(0)
	s_barrier
	v_lshlrev_b32_e32 v6, 3, v7
	ds_read_b64 v[15:16], v1
	ds_read_b64 v[17:18], v6 offset:9088
	v_add_u32_e32 v1, v8, v4
	v_lshlrev_b32_e32 v4, 3, v10
	ds_read_b64 v[28:29], v1
	ds_read_b64 v[30:31], v4 offset:9088
	v_add_u32_e32 v3, v8, v3
	;; [unrolled: 4-line block ×3, first 2 shown]
	v_lshlrev_b32_e32 v6, 3, v12
	ds_read2_b32 v[40:41], v3 offset1:1
	ds_read_b64 v[42:43], v6 offset:9088
	s_waitcnt lgkmcnt(6)
	v_mul_f32_e32 v1, v18, v16
	v_fma_f32 v1, v17, v15, -v1
	s_waitcnt lgkmcnt(4)
	v_mul_f32_e32 v4, v31, v29
	v_add_f32_e32 v1, 0, v1
	v_fma_f32 v4, v30, v28, -v4
	s_waitcnt lgkmcnt(2)
	v_mul_f32_e32 v3, v39, v33
	v_add_f32_e32 v1, v1, v4
	v_fma_f32 v3, v38, v32, -v3
	v_add_f32_e32 v1, v1, v3
	s_waitcnt lgkmcnt(0)
	v_mul_f32_e32 v3, v43, v41
	v_fma_f32 v3, v42, v40, -v3
	v_mul_f32_e32 v34, v17, v16
	v_add_f32_e32 v44, v1, v3
	v_lshl_add_u32 v1, v5, 3, v26
	v_fmac_f32_e32 v34, v18, v15
	v_mul_f32_e32 v29, v30, v29
	ds_read_b128 v[11:14], v9 offset:256
	ds_read_b128 v[3:6], v9 offset:272
	ds_read2_b64 v[15:18], v1 offset1:1
	ds_read2_b64 v[7:10], v1 offset0:2 offset1:3
	v_add_f32_e32 v1, 0, v34
	v_fmac_f32_e32 v29, v31, v28
	v_mul_f32_e32 v28, v38, v33
	v_add_f32_e32 v1, v1, v29
	v_fmac_f32_e32 v28, v39, v32
	v_add_f32_e32 v1, v1, v28
	v_mul_f32_e32 v28, v42, v41
	v_fmac_f32_e32 v28, v43, v40
	v_add_f32_e32 v45, v1, v28
	s_waitcnt lgkmcnt(0)
	s_barrier
	ds_write_b64 v27, v[44:45]
	s_waitcnt lgkmcnt(0)
	s_barrier
	s_and_saveexec_b64 s[10:11], s[8:9]
	s_cbranch_execz .LBB14_140
; %bb.139:
	ds_read2_b64 v[28:31], v26 offset1:1
	ds_read2_b64 v[38:41], v26 offset0:2 offset1:3
	ds_read2_b64 v[42:45], v26 offset0:4 offset1:5
	s_waitcnt lgkmcnt(2)
	v_add_f32_e32 v1, v36, v28
	v_add_f32_e32 v28, v37, v29
	;; [unrolled: 1-line block ×3, first 2 shown]
	s_waitcnt lgkmcnt(1)
	v_add_f32_e32 v28, v28, v39
	v_add_f32_e32 v1, v1, v30
	v_add_f32_e32 v32, v28, v41
	ds_read2_b64 v[28:31], v26 offset0:6 offset1:7
	v_add_f32_e32 v1, v1, v38
	v_add_f32_e32 v1, v1, v40
	s_waitcnt lgkmcnt(1)
	v_add_f32_e32 v1, v1, v42
	v_add_f32_e32 v32, v32, v43
	v_add_f32_e32 v1, v1, v44
	v_add_f32_e32 v32, v32, v45
	s_waitcnt lgkmcnt(0)
	v_add_f32_e32 v1, v1, v28
	v_add_f32_e32 v28, v32, v29
	;; [unrolled: 1-line block ×4, first 2 shown]
.LBB14_140:
	s_or_b64 exec, exec, s[10:11]
	v_mul_f32_e32 v1, v16, v12
	v_fmac_f32_e32 v1, v15, v11
	v_mul_f32_e32 v11, v16, v11
	v_fma_f32 v11, v15, v12, -v11
	v_mul_f32_e32 v12, v18, v14
	v_add_f32_e32 v1, 0, v1
	v_fmac_f32_e32 v12, v17, v13
	v_mul_f32_e32 v13, v18, v13
	v_add_f32_e32 v1, v1, v12
	v_mul_f32_e32 v12, v8, v4
	v_add_f32_e32 v11, 0, v11
	v_fma_f32 v13, v17, v14, -v13
	v_fmac_f32_e32 v12, v7, v3
	v_mul_f32_e32 v3, v8, v3
	v_add_f32_e32 v11, v11, v13
	v_fma_f32 v3, v7, v4, -v3
	v_add_f32_e32 v4, v11, v3
	v_mul_f32_e32 v3, v10, v6
	v_fmac_f32_e32 v3, v9, v5
	v_mul_f32_e32 v5, v10, v5
	v_add_f32_e32 v1, v1, v12
	v_fma_f32 v5, v9, v6, -v5
	v_add_f32_e32 v3, v1, v3
	v_add_f32_e32 v4, v4, v5
	s_barrier
	ds_write_b64 v27, v[3:4]
	s_waitcnt lgkmcnt(0)
	s_barrier
	s_and_saveexec_b64 s[8:9], s[20:21]
	s_cbranch_execz .LBB14_142
; %bb.141:
	ds_read2_b64 v[3:6], v26 offset1:1
	ds_read2_b64 v[7:10], v26 offset0:2 offset1:3
	ds_read2_b64 v[11:14], v26 offset0:4 offset1:5
	s_waitcnt lgkmcnt(2)
	v_add_f32_e32 v1, v36, v3
	v_add_f32_e32 v3, v37, v4
	;; [unrolled: 1-line block ×4, first 2 shown]
	s_waitcnt lgkmcnt(1)
	v_add_f32_e32 v3, v3, v8
	v_add_f32_e32 v1, v1, v7
	;; [unrolled: 1-line block ×3, first 2 shown]
	ds_read2_b64 v[3:6], v26 offset0:6 offset1:7
	v_add_f32_e32 v1, v1, v9
	s_waitcnt lgkmcnt(1)
	v_add_f32_e32 v1, v1, v11
	v_add_f32_e32 v7, v7, v12
	;; [unrolled: 1-line block ×4, first 2 shown]
	s_waitcnt lgkmcnt(0)
	v_add_f32_e32 v1, v1, v3
	v_add_f32_e32 v3, v7, v4
	;; [unrolled: 1-line block ×4, first 2 shown]
.LBB14_142:
	s_or_b64 exec, exec, s[8:9]
	s_load_dwordx2 s[4:5], s[4:5], 0x68
	s_mul_hi_u32 s8, s40, s7
	s_mul_i32 s42, s42, s7
	s_add_i32 s8, s8, s42
	s_mul_i32 s7, s40, s7
	s_mul_i32 s8, s8, s41
	s_mul_hi_u32 s9, s7, s41
	s_add_i32 s9, s9, s8
	s_mul_i32 s8, s7, s41
	s_lshl_b64 s[8:9], s[8:9], 3
	s_waitcnt lgkmcnt(0)
	s_add_u32 s7, s4, s8
	s_mul_i32 s4, s40, s6
	s_addc_u32 s8, s5, s9
	s_ashr_i32 s5, s4, 31
	s_lshl_b64 s[4:5], s[4:5], 3
	s_add_u32 s7, s7, s4
	v_cmp_le_i32_e32 vcc, s22, v0
	s_addc_u32 s16, s8, s5
	s_and_b64 vcc, s[30:31], vcc
	s_cmp_lt_i32 s6, 1
	v_lshlrev_b32_e32 v72, 3, v0
	s_barrier
	s_cbranch_scc1 .LBB14_149
; %bb.143:
	s_mul_i32 s4, s33, s24
	s_ashr_i32 s5, s4, 31
	s_lshl_b64 s[4:5], s[4:5], 3
	v_mov_b32_e32 v1, s5
	v_subrev_co_u32_e64 v73, s[4:5], s4, v19
	v_mul_lo_u32 v4, v2, s26
	v_subb_co_u32_e64 v74, s[4:5], v20, v1, s[4:5]
	v_mov_b32_e32 v1, s29
	v_subrev_co_u32_e64 v3, s[4:5], s28, v23
	v_subb_co_u32_e64 v1, s[4:5], v24, v1, s[4:5]
	v_sub_co_u32_e64 v7, s[4:5], v3, v21
	v_lshl_add_u32 v3, v4, 2, v0
	v_ashrrev_i32_e32 v4, 31, v3
	v_lshlrev_b64 v[3:4], 3, v[3:4]
	v_subb_co_u32_e64 v1, s[4:5], v1, v22, s[4:5]
	v_add_co_u32_e64 v3, s[4:5], v7, v3
	v_addc_co_u32_e64 v4, s[4:5], v1, v4, s[4:5]
	s_movk_i32 s4, 0xff00
	v_add_co_u32_e64 v7, s[4:5], s4, v3
	v_addc_co_u32_e64 v8, s[4:5], -1, v4, s[4:5]
	v_sub_co_u32_e64 v3, s[4:5], v3, v72
	v_subbrev_co_u32_e64 v4, s[4:5], 0, v4, s[4:5]
	s_ashr_i32 s23, s22, 31
	s_lshl_b64 s[4:5], s[22:23], 3
	v_mov_b32_e32 v9, s5
	v_add_co_u32_e64 v3, s[4:5], s4, v3
	v_addc_co_u32_e64 v4, s[4:5], v4, v9, s[4:5]
	s_movk_i32 s4, 0xfef8
	v_add_co_u32_e64 v3, s[4:5], s4, v3
	v_lshrrev_b32_e32 v5, 4, v25
	v_cndmask_b32_e32 v3, v7, v3, vcc
	v_mov_b32_e32 v7, 0x2180
	v_and_b32_e32 v6, 15, v0
	v_lshl_add_u32 v76, v2, 5, v7
	v_lshlrev_b32_e32 v7, 5, v5
	s_movk_i32 s8, 0x218
	v_mad_u32_u24 v79, v6, s8, v7
	v_and_b32_e32 v7, 48, v0
	v_lshlrev_b32_e32 v7, 3, v7
	v_addc_co_u32_e64 v4, s[4:5], -1, v4, s[4:5]
	v_mad_u32_u24 v80, v6, s8, v7
	v_or_b32_e32 v7, 0x78, v72
	s_ashr_i32 s27, s26, 31
	s_movk_i32 s4, 0x860
	v_mul_i32_i24_e32 v5, 0xffffffe8, v5
	v_mad_u32_u24 v81, v6, s8, v7
	s_lshl_b64 s[10:11], s[26:27], 3
	s_mul_hi_i32 s8, s26, 0x68
	v_mov_b32_e32 v1, 0
	v_cndmask_b32_e32 v4, v8, v4, vcc
	s_lshl_b32 s17, s33, 6
	v_add_u32_e32 v75, 0x2180, v72
	v_add_u32_e32 v77, 0x2380, v72
	v_mad_u32_u24 v78, v2, s4, v72
	v_cmp_gt_u32_e64 s[4:5], 64, v25
	s_mul_i32 s18, s26, 0x68
	s_mov_b32 s12, 0
	v_mov_b32_e32 v82, s11
	v_mov_b32_e32 v83, s8
	v_add_u32_e32 v84, v79, v5
	s_branch .LBB14_145
.LBB14_144:                             ;   in Loop: Header=BB14_145 Depth=1
	s_or_b64 exec, exec, s[14:15]
	v_mul_f32_e32 v85, v39, v8
	v_fma_f32 v85, v38, v7, -v85
	v_mul_f32_e32 v8, v38, v8
	v_mul_f32_e32 v38, v41, v10
	v_add_f32_e32 v36, v36, v85
	v_fma_f32 v38, v40, v9, -v38
	v_mul_f32_e32 v10, v40, v10
	v_add_f32_e32 v36, v36, v38
	v_mul_f32_e32 v38, v43, v4
	v_fmac_f32_e32 v8, v39, v7
	v_fma_f32 v38, v42, v3, -v38
	v_mul_f32_e32 v4, v42, v4
	v_add_f32_e32 v7, v37, v8
	v_fmac_f32_e32 v10, v41, v9
	v_add_f32_e32 v36, v36, v38
	v_mul_f32_e32 v38, v45, v6
	v_mul_f32_e32 v6, v44, v6
	v_add_f32_e32 v7, v7, v10
	v_fmac_f32_e32 v4, v43, v3
	v_fma_f32 v38, v44, v5, -v38
	v_add_f32_e32 v3, v7, v4
	v_fmac_f32_e32 v6, v45, v5
	v_mul_f32_e32 v4, v47, v16
	v_add_f32_e32 v36, v36, v38
	v_add_f32_e32 v3, v3, v6
	v_fma_f32 v4, v46, v15, -v4
	v_mul_f32_e32 v6, v51, v18
	v_add_f32_e32 v4, v36, v4
	v_fma_f32 v6, v50, v17, -v6
	v_add_f32_e32 v4, v4, v6
	v_mul_f32_e32 v6, v49, v12
	v_mul_f32_e32 v5, v46, v16
	v_fma_f32 v6, v48, v11, -v6
	v_add_f32_e32 v4, v4, v6
	v_mul_f32_e32 v6, v53, v14
	v_fmac_f32_e32 v5, v47, v15
	v_fma_f32 v6, v52, v13, -v6
	v_add_f32_e32 v3, v3, v5
	v_mul_f32_e32 v5, v59, v24
	v_add_f32_e32 v4, v4, v6
	v_fma_f32 v5, v58, v23, -v5
	v_add_f32_e32 v4, v4, v5
	v_mul_f32_e32 v5, v55, v26
	v_mul_f32_e32 v7, v50, v18
	v_fma_f32 v5, v54, v25, -v5
	v_mul_f32_e32 v8, v48, v12
	v_fmac_f32_e32 v7, v51, v17
	v_add_f32_e32 v4, v4, v5
	v_mul_f32_e32 v5, v57, v20
	v_mul_f32_e32 v9, v52, v14
	v_add_f32_e32 v3, v3, v7
	v_fmac_f32_e32 v8, v49, v11
	v_fma_f32 v5, v56, v19, -v5
	v_add_f32_e32 v3, v3, v8
	v_fmac_f32_e32 v9, v53, v13
	v_mul_f32_e32 v6, v58, v24
	v_add_f32_e32 v4, v4, v5
	v_mul_f32_e32 v5, v61, v22
	v_add_f32_e32 v3, v3, v9
	v_mul_f32_e32 v7, v54, v26
	v_fma_f32 v5, v60, v21, -v5
	v_fmac_f32_e32 v6, v59, v23
	v_mul_f32_e32 v8, v56, v20
	v_add_f32_e32 v4, v4, v5
	v_add_f32_e32 v3, v3, v6
	v_fmac_f32_e32 v7, v55, v25
	v_mul_f32_e32 v5, v67, v32
	v_mul_f32_e32 v9, v60, v22
	v_add_f32_e32 v3, v3, v7
	v_fmac_f32_e32 v8, v57, v19
	v_fma_f32 v5, v66, v31, -v5
	v_add_f32_e32 v3, v3, v8
	v_fmac_f32_e32 v9, v61, v21
	v_mul_f32_e32 v6, v66, v32
	v_add_f32_e32 v4, v4, v5
	v_mul_f32_e32 v5, v65, v34
	v_add_f32_e32 v3, v3, v9
	v_fma_f32 v5, v64, v33, -v5
	v_mul_f32_e32 v7, v64, v34
	v_fmac_f32_e32 v6, v67, v31
	v_add_f32_e32 v4, v4, v5
	v_mul_f32_e32 v5, v69, v28
	v_mul_f32_e32 v8, v68, v28
	v_fmac_f32_e32 v7, v65, v33
	v_add_f32_e32 v3, v3, v6
	v_fma_f32 v5, v68, v27, -v5
	v_mul_f32_e32 v9, v70, v30
	v_fmac_f32_e32 v8, v69, v27
	v_add_f32_e32 v3, v3, v7
	v_add_f32_e32 v4, v4, v5
	v_mul_f32_e32 v5, v71, v30
	v_fmac_f32_e32 v9, v71, v29
	v_add_f32_e32 v3, v3, v8
	v_fma_f32 v5, v70, v29, -v5
	v_add_f32_e32 v37, v3, v9
	s_add_i32 s6, s6, -1
	s_add_i32 s12, s12, s17
	v_add_co_u32_e64 v3, s[8:9], s18, v62
	v_add_f32_e32 v36, v4, v5
	v_add_u32_e32 v0, 64, v0
	s_cmp_eq_u32 s6, 0
	v_addc_co_u32_e64 v4, s[8:9], v63, v83, s[8:9]
	s_waitcnt vmcnt(0)
	s_barrier
	s_cbranch_scc1 .LBB14_149
.LBB14_145:                             ; =>This Inner Loop Header: Depth=1
	s_and_saveexec_b64 s[14:15], s[2:3]
	s_cbranch_execz .LBB14_147
; %bb.146:                              ;   in Loop: Header=BB14_145 Depth=1
	s_ashr_i32 s13, s12, 31
	s_lshl_b64 s[8:9], s[12:13], 3
	v_mov_b32_e32 v6, s9
	v_add_co_u32_e64 v5, s[8:9], s8, v73
	v_addc_co_u32_e64 v6, s[8:9], v74, v6, s[8:9]
	global_load_dwordx2 v[5:6], v[5:6], off
	s_waitcnt vmcnt(0)
	ds_write_b64 v75, v[5:6]
.LBB14_147:                             ;   in Loop: Header=BB14_145 Depth=1
	s_or_b64 exec, exec, s[14:15]
	s_waitcnt lgkmcnt(0)
	s_barrier
	global_load_dwordx2 v[38:39], v[3:4], off
	v_add_co_u32_e64 v3, s[8:9], s10, v3
	v_addc_co_u32_e64 v4, s[8:9], v4, v82, s[8:9]
	global_load_dwordx2 v[40:41], v[3:4], off
	v_add_co_u32_e64 v3, s[8:9], s10, v3
	v_addc_co_u32_e64 v4, s[8:9], v4, v82, s[8:9]
	v_add_co_u32_e64 v11, s[8:9], s10, v3
	v_addc_co_u32_e64 v12, s[8:9], v4, v82, s[8:9]
	global_load_dwordx2 v[42:43], v[3:4], off
	global_load_dwordx2 v[44:45], v[11:12], off
	ds_read_b64 v[13:14], v77
	ds_read_b128 v[7:10], v76
	ds_read_b128 v[3:6], v76 offset:16
	v_add_co_u32_e64 v11, s[8:9], s18, v11
	v_addc_co_u32_e64 v12, s[8:9], v12, v83, s[8:9]
	v_add_co_u32_e64 v15, s[8:9], s10, v11
	v_addc_co_u32_e64 v16, s[8:9], v12, v82, s[8:9]
	;; [unrolled: 2-line block ×3, first 2 shown]
	s_waitcnt vmcnt(3) lgkmcnt(2)
	v_mul_f32_e32 v19, v39, v14
	v_mul_f32_e32 v20, v39, v13
	v_fmac_f32_e32 v19, v38, v13
	v_fma_f32 v20, v38, v14, -v20
	s_waitcnt vmcnt(2)
	v_mul_f32_e32 v21, v41, v14
	v_mul_f32_e32 v22, v41, v13
	v_fmac_f32_e32 v21, v40, v13
	v_fma_f32 v22, v40, v14, -v22
	ds_write2_b64 v78, v[19:20], v[21:22] offset1:67
	s_waitcnt vmcnt(1)
	v_mul_f32_e32 v23, v43, v14
	v_mul_f32_e32 v24, v43, v13
	s_waitcnt vmcnt(0)
	v_mul_f32_e32 v19, v45, v14
	v_mul_f32_e32 v20, v45, v13
	v_fmac_f32_e32 v23, v42, v13
	v_fma_f32 v24, v42, v14, -v24
	v_fmac_f32_e32 v19, v44, v13
	v_fma_f32 v20, v44, v14, -v20
	ds_write2_b64 v78, v[23:24], v[19:20] offset0:134 offset1:201
	s_waitcnt lgkmcnt(0)
	s_barrier
	ds_read2_b64 v[27:30], v79 offset1:1
	ds_read2_b64 v[31:34], v79 offset0:2 offset1:3
	s_waitcnt lgkmcnt(0)
	s_barrier
	global_load_dwordx2 v[46:47], v[11:12], off
	global_load_dwordx2 v[50:51], v[15:16], off
	;; [unrolled: 1-line block ×3, first 2 shown]
	v_add_co_u32_e64 v11, s[8:9], s10, v17
	v_addc_co_u32_e64 v12, s[8:9], v18, v82, s[8:9]
	global_load_dwordx2 v[52:53], v[11:12], off
	ds_read_b64 v[23:24], v77
	v_add_co_u32_e64 v19, s[8:9], s18, v11
	v_addc_co_u32_e64 v20, s[8:9], v12, v83, s[8:9]
	v_add_co_u32_e64 v21, s[8:9], s10, v19
	v_addc_co_u32_e64 v22, s[8:9], v20, v82, s[8:9]
	;; [unrolled: 2-line block ×3, first 2 shown]
	ds_read_b128 v[15:18], v76 offset:128
	ds_read_b128 v[11:14], v76 offset:144
	v_add_f32_e32 v27, 0, v27
	v_add_f32_e32 v28, 0, v28
	;; [unrolled: 1-line block ×6, first 2 shown]
	s_waitcnt vmcnt(3) lgkmcnt(2)
	v_mul_f32_e32 v54, v47, v24
	v_mul_f32_e32 v55, v47, v23
	s_waitcnt vmcnt(2)
	v_mul_f32_e32 v56, v51, v24
	v_mul_f32_e32 v57, v51, v23
	s_waitcnt vmcnt(1)
	v_mul_f32_e32 v58, v49, v24
	v_mul_f32_e32 v59, v49, v23
	v_fma_f32 v55, v46, v24, -v55
	s_waitcnt vmcnt(0)
	v_mul_f32_e32 v61, v53, v23
	v_mul_f32_e32 v60, v53, v24
	v_fma_f32 v57, v50, v24, -v57
	v_fma_f32 v59, v48, v24, -v59
	v_fmac_f32_e32 v54, v46, v23
	v_fmac_f32_e32 v56, v50, v23
	;; [unrolled: 1-line block ×3, first 2 shown]
	v_fma_f32 v61, v52, v24, -v61
	v_fmac_f32_e32 v60, v52, v23
	ds_write2_b64 v78, v[54:55], v[56:57] offset1:67
	ds_write2_b64 v78, v[58:59], v[60:61] offset0:134 offset1:201
	s_waitcnt lgkmcnt(0)
	s_barrier
	ds_read2_b64 v[85:88], v79 offset1:1
	ds_read2_b64 v[89:92], v79 offset0:2 offset1:3
	s_waitcnt lgkmcnt(0)
	s_barrier
	global_load_dwordx2 v[58:59], v[19:20], off
	global_load_dwordx2 v[54:55], v[21:22], off
	;; [unrolled: 1-line block ×3, first 2 shown]
	v_add_co_u32_e64 v19, s[8:9], s10, v25
	v_addc_co_u32_e64 v20, s[8:9], v26, v82, s[8:9]
	global_load_dwordx2 v[60:61], v[19:20], off
	ds_read_b64 v[64:65], v77
	v_add_co_u32_e64 v62, s[8:9], s18, v19
	v_addc_co_u32_e64 v63, s[8:9], v20, v83, s[8:9]
	v_add_co_u32_e64 v70, s[8:9], s10, v62
	v_addc_co_u32_e64 v71, s[8:9], v63, v82, s[8:9]
	;; [unrolled: 2-line block ×3, first 2 shown]
	ds_read_b128 v[23:26], v76 offset:256
	ds_read_b128 v[19:22], v76 offset:272
	s_waitcnt vmcnt(3) lgkmcnt(2)
	v_mul_f32_e32 v67, v59, v64
	v_mul_f32_e32 v66, v59, v65
	s_waitcnt vmcnt(2)
	v_mul_f32_e32 v69, v55, v64
	v_mul_f32_e32 v68, v55, v65
	s_waitcnt vmcnt(1)
	v_mul_f32_e32 v94, v57, v64
	v_mul_f32_e32 v93, v57, v65
	v_fma_f32 v67, v58, v65, -v67
	s_waitcnt vmcnt(0)
	v_mul_f32_e32 v96, v61, v64
	v_mul_f32_e32 v95, v61, v65
	v_fma_f32 v69, v54, v65, -v69
	v_fma_f32 v94, v56, v65, -v94
	;; [unrolled: 1-line block ×3, first 2 shown]
	v_fmac_f32_e32 v66, v58, v64
	v_fmac_f32_e32 v68, v54, v64
	;; [unrolled: 1-line block ×4, first 2 shown]
	ds_write2_b64 v78, v[66:67], v[68:69] offset1:67
	ds_write2_b64 v78, v[93:94], v[95:96] offset0:134 offset1:201
	s_waitcnt lgkmcnt(0)
	s_barrier
	ds_read2_b64 v[93:96], v79 offset1:1
	ds_read2_b64 v[97:100], v79 offset0:2 offset1:3
	s_waitcnt lgkmcnt(0)
	s_barrier
	global_load_dwordx2 v[66:67], v[62:63], off
	global_load_dwordx2 v[64:65], v[70:71], off
	;; [unrolled: 1-line block ×3, first 2 shown]
	v_add_co_u32_e64 v62, s[8:9], s10, v101
	v_addc_co_u32_e64 v63, s[8:9], v102, v82, s[8:9]
	global_load_dwordx2 v[70:71], v[62:63], off
	v_add_f32_e32 v101, v27, v33
	v_add_f32_e32 v102, v28, v34
	;; [unrolled: 1-line block ×10, first 2 shown]
	ds_read_b64 v[85:86], v77
	ds_read_b128 v[31:34], v76 offset:384
	ds_read_b128 v[27:30], v76 offset:400
	v_add_f32_e32 v87, 0, v93
	v_add_f32_e32 v88, 0, v94
	;; [unrolled: 1-line block ×8, first 2 shown]
	s_waitcnt vmcnt(3) lgkmcnt(2)
	v_mul_f32_e32 v88, v67, v85
	v_mul_f32_e32 v87, v67, v86
	s_waitcnt vmcnt(2)
	v_mul_f32_e32 v90, v65, v85
	v_mul_f32_e32 v89, v65, v86
	s_waitcnt vmcnt(1)
	v_mul_f32_e32 v92, v69, v85
	v_mul_f32_e32 v91, v69, v86
	v_fma_f32 v88, v66, v86, -v88
	s_waitcnt vmcnt(0)
	v_mul_f32_e32 v96, v71, v85
	v_mul_f32_e32 v95, v71, v86
	v_fma_f32 v90, v64, v86, -v90
	v_fmac_f32_e32 v87, v66, v85
	v_fmac_f32_e32 v89, v64, v85
	v_fma_f32 v92, v68, v86, -v92
	v_fmac_f32_e32 v91, v68, v85
	v_fma_f32 v96, v70, v86, -v96
	v_fmac_f32_e32 v95, v70, v85
	ds_write2_b64 v78, v[87:88], v[89:90] offset1:67
	ds_write2_b64 v78, v[91:92], v[95:96] offset0:134 offset1:201
	s_waitcnt lgkmcnt(0)
	s_barrier
	ds_read2_b64 v[85:88], v79 offset1:1
	ds_read2_b64 v[89:92], v79 offset0:2 offset1:3
	s_waitcnt lgkmcnt(0)
	s_barrier
	v_add_f32_e32 v85, 0, v85
	v_add_f32_e32 v86, 0, v86
	;; [unrolled: 1-line block ×8, first 2 shown]
	ds_write2_b64 v84, v[101:102], v[103:104] offset1:16
	ds_write2_b64 v84, v[93:94], v[85:86] offset0:32 offset1:48
	s_waitcnt lgkmcnt(0)
	s_barrier
	s_and_saveexec_b64 s[14:15], s[4:5]
	s_cbranch_execz .LBB14_144
; %bb.148:                              ;   in Loop: Header=BB14_145 Depth=1
	ds_read_b64 v[93:94], v80
	ds_read2_b64 v[85:88], v80 offset0:1 offset1:2
	ds_read2_b64 v[89:92], v80 offset0:3 offset1:4
	s_waitcnt lgkmcnt(1)
	v_add_f32_e32 v85, v85, v93
	v_add_f32_e32 v86, v86, v94
	;; [unrolled: 1-line block ×4, first 2 shown]
	ds_read2_b64 v[85:88], v80 offset0:5 offset1:6
	s_waitcnt lgkmcnt(1)
	v_add_f32_e32 v89, v93, v89
	v_add_f32_e32 v90, v94, v90
	;; [unrolled: 1-line block ×4, first 2 shown]
	s_waitcnt lgkmcnt(0)
	v_add_f32_e32 v85, v89, v85
	ds_read2_b64 v[89:92], v80 offset0:7 offset1:8
	v_add_f32_e32 v86, v93, v86
	v_add_f32_e32 v93, v85, v87
	;; [unrolled: 1-line block ×3, first 2 shown]
	ds_read2_b64 v[85:88], v80 offset0:9 offset1:10
	s_waitcnt lgkmcnt(1)
	v_add_f32_e32 v89, v93, v89
	v_add_f32_e32 v90, v94, v90
	;; [unrolled: 1-line block ×4, first 2 shown]
	s_waitcnt lgkmcnt(0)
	v_add_f32_e32 v85, v89, v85
	ds_read2_b64 v[89:92], v80 offset0:11 offset1:12
	v_add_f32_e32 v86, v93, v86
	v_add_f32_e32 v93, v85, v87
	;; [unrolled: 1-line block ×3, first 2 shown]
	ds_read2_b64 v[85:88], v80 offset0:13 offset1:14
	s_waitcnt lgkmcnt(1)
	v_add_f32_e32 v89, v93, v89
	v_add_f32_e32 v90, v94, v90
	v_add_f32_e32 v91, v89, v91
	v_add_f32_e32 v92, v90, v92
	ds_read_b64 v[89:90], v81
	s_waitcnt lgkmcnt(1)
	v_add_f32_e32 v85, v91, v85
	v_add_f32_e32 v86, v92, v86
	;; [unrolled: 1-line block ×4, first 2 shown]
	v_lshlrev_b64 v[87:88], 3, v[0:1]
	s_waitcnt lgkmcnt(0)
	v_add_f32_e32 v85, v85, v89
	v_mov_b32_e32 v89, s16
	v_add_co_u32_e64 v87, s[8:9], s7, v87
	v_add_f32_e32 v86, v86, v90
	v_addc_co_u32_e64 v88, s[8:9], v89, v88, s[8:9]
	global_store_dwordx2 v[87:88], v[85:86], off
	s_branch .LBB14_144
.LBB14_149:
	s_movk_i32 s2, 0x218
	v_mad_u32_u24 v0, v2, s2, v72
	s_nor_b64 s[0:1], s[0:1], vcc
	ds_write_b64 v0, v[36:37]
	s_waitcnt lgkmcnt(0)
	s_barrier
	s_and_saveexec_b64 s[2:3], s[0:1]
	s_cbranch_execz .LBB14_151
; %bb.150:
	ds_read2_b64 v[0:3], v72 offset1:67
	ds_read2_b64 v[4:7], v72 offset0:134 offset1:201
	v_ashrrev_i32_e32 v36, 31, v35
	s_waitcnt lgkmcnt(1)
	v_add_f32_e32 v0, v2, v0
	v_add_f32_e32 v1, v3, v1
	v_lshlrev_b64 v[2:3], 3, v[35:36]
	s_waitcnt lgkmcnt(0)
	v_add_f32_e32 v0, v4, v0
	v_add_f32_e32 v1, v5, v1
	v_mov_b32_e32 v4, s16
	v_add_co_u32_e32 v2, vcc, s7, v2
	v_add_f32_e32 v0, v0, v6
	v_add_f32_e32 v1, v1, v7
	v_addc_co_u32_e32 v3, vcc, v4, v3, vcc
	global_store_dwordx2 v[2:3], v[0:1], off
.LBB14_151:
	s_endpgm
	.section	.rodata,"a",@progbits
	.p2align	6, 0x0
	.amdhsa_kernel _ZL26rocblas_hemvn_kernel_lowerILb1ELi64ELi4ELi33ELi32ELi16Ei19rocblas_complex_numIfEPKS1_PS1_EviT6_lT7_lT5_lS6_lS7_lS5_lT8_i
		.amdhsa_group_segment_fixed_size 9600
		.amdhsa_private_segment_fixed_size 0
		.amdhsa_kernarg_size 376
		.amdhsa_user_sgpr_count 6
		.amdhsa_user_sgpr_private_segment_buffer 1
		.amdhsa_user_sgpr_dispatch_ptr 0
		.amdhsa_user_sgpr_queue_ptr 0
		.amdhsa_user_sgpr_kernarg_segment_ptr 1
		.amdhsa_user_sgpr_dispatch_id 0
		.amdhsa_user_sgpr_flat_scratch_init 0
		.amdhsa_user_sgpr_private_segment_size 0
		.amdhsa_uses_dynamic_stack 0
		.amdhsa_system_sgpr_private_segment_wavefront_offset 0
		.amdhsa_system_sgpr_workgroup_id_x 1
		.amdhsa_system_sgpr_workgroup_id_y 0
		.amdhsa_system_sgpr_workgroup_id_z 1
		.amdhsa_system_sgpr_workgroup_info 0
		.amdhsa_system_vgpr_workitem_id 1
		.amdhsa_next_free_vgpr 105
		.amdhsa_next_free_sgpr 93
		.amdhsa_reserve_vcc 1
		.amdhsa_reserve_flat_scratch 0
		.amdhsa_float_round_mode_32 0
		.amdhsa_float_round_mode_16_64 0
		.amdhsa_float_denorm_mode_32 3
		.amdhsa_float_denorm_mode_16_64 3
		.amdhsa_dx10_clamp 1
		.amdhsa_ieee_mode 1
		.amdhsa_fp16_overflow 0
		.amdhsa_exception_fp_ieee_invalid_op 0
		.amdhsa_exception_fp_denorm_src 0
		.amdhsa_exception_fp_ieee_div_zero 0
		.amdhsa_exception_fp_ieee_overflow 0
		.amdhsa_exception_fp_ieee_underflow 0
		.amdhsa_exception_fp_ieee_inexact 0
		.amdhsa_exception_int_div_zero 0
	.end_amdhsa_kernel
	.section	.text._ZL26rocblas_hemvn_kernel_lowerILb1ELi64ELi4ELi33ELi32ELi16Ei19rocblas_complex_numIfEPKS1_PS1_EviT6_lT7_lT5_lS6_lS7_lS5_lT8_i,"axG",@progbits,_ZL26rocblas_hemvn_kernel_lowerILb1ELi64ELi4ELi33ELi32ELi16Ei19rocblas_complex_numIfEPKS1_PS1_EviT6_lT7_lT5_lS6_lS7_lS5_lT8_i,comdat
.Lfunc_end14:
	.size	_ZL26rocblas_hemvn_kernel_lowerILb1ELi64ELi4ELi33ELi32ELi16Ei19rocblas_complex_numIfEPKS1_PS1_EviT6_lT7_lT5_lS6_lS7_lS5_lT8_i, .Lfunc_end14-_ZL26rocblas_hemvn_kernel_lowerILb1ELi64ELi4ELi33ELi32ELi16Ei19rocblas_complex_numIfEPKS1_PS1_EviT6_lT7_lT5_lS6_lS7_lS5_lT8_i
                                        ; -- End function
	.set _ZL26rocblas_hemvn_kernel_lowerILb1ELi64ELi4ELi33ELi32ELi16Ei19rocblas_complex_numIfEPKS1_PS1_EviT6_lT7_lT5_lS6_lS7_lS5_lT8_i.num_vgpr, 105
	.set _ZL26rocblas_hemvn_kernel_lowerILb1ELi64ELi4ELi33ELi32ELi16Ei19rocblas_complex_numIfEPKS1_PS1_EviT6_lT7_lT5_lS6_lS7_lS5_lT8_i.num_agpr, 0
	.set _ZL26rocblas_hemvn_kernel_lowerILb1ELi64ELi4ELi33ELi32ELi16Ei19rocblas_complex_numIfEPKS1_PS1_EviT6_lT7_lT5_lS6_lS7_lS5_lT8_i.numbered_sgpr, 46
	.set _ZL26rocblas_hemvn_kernel_lowerILb1ELi64ELi4ELi33ELi32ELi16Ei19rocblas_complex_numIfEPKS1_PS1_EviT6_lT7_lT5_lS6_lS7_lS5_lT8_i.num_named_barrier, 0
	.set _ZL26rocblas_hemvn_kernel_lowerILb1ELi64ELi4ELi33ELi32ELi16Ei19rocblas_complex_numIfEPKS1_PS1_EviT6_lT7_lT5_lS6_lS7_lS5_lT8_i.private_seg_size, 0
	.set _ZL26rocblas_hemvn_kernel_lowerILb1ELi64ELi4ELi33ELi32ELi16Ei19rocblas_complex_numIfEPKS1_PS1_EviT6_lT7_lT5_lS6_lS7_lS5_lT8_i.uses_vcc, 1
	.set _ZL26rocblas_hemvn_kernel_lowerILb1ELi64ELi4ELi33ELi32ELi16Ei19rocblas_complex_numIfEPKS1_PS1_EviT6_lT7_lT5_lS6_lS7_lS5_lT8_i.uses_flat_scratch, 0
	.set _ZL26rocblas_hemvn_kernel_lowerILb1ELi64ELi4ELi33ELi32ELi16Ei19rocblas_complex_numIfEPKS1_PS1_EviT6_lT7_lT5_lS6_lS7_lS5_lT8_i.has_dyn_sized_stack, 0
	.set _ZL26rocblas_hemvn_kernel_lowerILb1ELi64ELi4ELi33ELi32ELi16Ei19rocblas_complex_numIfEPKS1_PS1_EviT6_lT7_lT5_lS6_lS7_lS5_lT8_i.has_recursion, 0
	.set _ZL26rocblas_hemvn_kernel_lowerILb1ELi64ELi4ELi33ELi32ELi16Ei19rocblas_complex_numIfEPKS1_PS1_EviT6_lT7_lT5_lS6_lS7_lS5_lT8_i.has_indirect_call, 0
	.section	.AMDGPU.csdata,"",@progbits
; Kernel info:
; codeLenInByte = 8012
; TotalNumSgprs: 50
; NumVgprs: 105
; ScratchSize: 0
; MemoryBound: 1
; FloatMode: 240
; IeeeMode: 1
; LDSByteSize: 9600 bytes/workgroup (compile time only)
; SGPRBlocks: 12
; VGPRBlocks: 26
; NumSGPRsForWavesPerEU: 97
; NumVGPRsForWavesPerEU: 105
; Occupancy: 2
; WaveLimiterHint : 1
; COMPUTE_PGM_RSRC2:SCRATCH_EN: 0
; COMPUTE_PGM_RSRC2:USER_SGPR: 6
; COMPUTE_PGM_RSRC2:TRAP_HANDLER: 0
; COMPUTE_PGM_RSRC2:TGID_X_EN: 1
; COMPUTE_PGM_RSRC2:TGID_Y_EN: 0
; COMPUTE_PGM_RSRC2:TGID_Z_EN: 1
; COMPUTE_PGM_RSRC2:TIDIG_COMP_CNT: 1
	.section	.text._ZL36rocblas_hemvn_kernel_lower_block_sumILi64Ei19rocblas_complex_numIfEPS1_S1_EviT1_lS3_lT2_lT0_lPT3_i,"axG",@progbits,_ZL36rocblas_hemvn_kernel_lower_block_sumILi64Ei19rocblas_complex_numIfEPS1_S1_EviT1_lS3_lT2_lT0_lPT3_i,comdat
	.globl	_ZL36rocblas_hemvn_kernel_lower_block_sumILi64Ei19rocblas_complex_numIfEPS1_S1_EviT1_lS3_lT2_lT0_lPT3_i ; -- Begin function _ZL36rocblas_hemvn_kernel_lower_block_sumILi64Ei19rocblas_complex_numIfEPS1_S1_EviT1_lS3_lT2_lT0_lPT3_i
	.p2align	8
	.type	_ZL36rocblas_hemvn_kernel_lower_block_sumILi64Ei19rocblas_complex_numIfEPS1_S1_EviT1_lS3_lT2_lT0_lPT3_i,@function
_ZL36rocblas_hemvn_kernel_lower_block_sumILi64Ei19rocblas_complex_numIfEPS1_S1_EviT1_lS3_lT2_lT0_lPT3_i: ; @_ZL36rocblas_hemvn_kernel_lower_block_sumILi64Ei19rocblas_complex_numIfEPS1_S1_EviT1_lS3_lT2_lT0_lPT3_i
; %bb.0:
	s_load_dwordx4 s[8:11], s[4:5], 0x0
	s_load_dwordx2 s[2:3], s[4:5], 0x18
	s_mov_b64 s[12:13], -1
	s_waitcnt lgkmcnt(0)
	s_or_b32 s0, s9, s10
	s_and_b32 s11, s0, 0x7fffffff
	s_cmp_eq_u32 s11, 0
	s_cselect_b64 s[0:1], -1, 0
	s_cmp_lg_u32 s11, 0
	s_cbranch_scc1 .LBB15_2
; %bb.1:
	v_cmp_neq_f32_e64 s[12:13], s2, 1.0
	v_cmp_neq_f32_e64 s[14:15], s3, 0
	s_or_b64 s[12:13], s[12:13], s[14:15]
.LBB15_2:
	s_andn2_b64 vcc, exec, s[12:13]
	s_cbranch_vccnz .LBB15_19
; %bb.3:
	s_load_dwordx2 s[12:13], s[4:5], 0x40
	s_load_dwordx4 s[16:19], s[4:5], 0x28
	s_load_dword s15, s[4:5], 0x38
	v_lshl_or_b32 v4, s6, 6, v0
	s_waitcnt lgkmcnt(0)
	s_mul_i32 s11, s13, s7
	s_mul_hi_u32 s13, s12, s7
	s_mul_i32 s12, s12, s7
	s_add_i32 s13, s13, s11
	s_lshl_b64 s[12:13], s[12:13], 3
	s_add_u32 s11, s16, s12
	s_addc_u32 s14, s17, s13
	s_lshl_b64 s[12:13], s[18:19], 3
	s_add_u32 s11, s11, s12
	s_addc_u32 s14, s14, s13
	s_mov_b64 s[12:13], -1
	s_andn2_b64 vcc, exec, s[0:1]
	v_cmp_gt_i32_e64 s[0:1], s8, v4
	s_cbranch_vccnz .LBB15_9
; %bb.4:
	s_and_saveexec_b64 s[12:13], s[0:1]
	s_cbranch_execz .LBB15_8
; %bb.5:
	v_mul_lo_u32 v1, s15, v4
	v_cmp_neq_f32_e64 s[0:1], s2, 0
	v_cmp_neq_f32_e64 s[16:17], s3, 0
	s_or_b64 s[0:1], s[0:1], s[16:17]
	v_ashrrev_i32_e32 v2, 31, v1
	v_lshlrev_b64 v[2:3], 3, v[1:2]
	v_mov_b32_e32 v0, 0
	s_andn2_b64 vcc, exec, s[0:1]
	v_mov_b32_e32 v1, 0
	s_cbranch_vccnz .LBB15_7
; %bb.6:
	v_mov_b32_e32 v1, s14
	v_add_co_u32_e32 v0, vcc, s11, v2
	v_addc_co_u32_e32 v1, vcc, v1, v3, vcc
	global_load_dwordx2 v[5:6], v[0:1], off
	s_waitcnt vmcnt(0)
	v_mul_f32_e32 v0, s3, v6
	v_mul_f32_e32 v1, s2, v6
	v_fma_f32 v0, v5, s2, -v0
	v_fmac_f32_e32 v1, s3, v5
.LBB15_7:
	v_mov_b32_e32 v5, s14
	v_add_co_u32_e32 v2, vcc, s11, v2
	v_addc_co_u32_e32 v3, vcc, v5, v3, vcc
	global_store_dwordx2 v[2:3], v[0:1], off
.LBB15_8:
	s_or_b64 exec, exec, s[12:13]
	s_mov_b64 s[12:13], 0
.LBB15_9:
	s_andn2_b64 vcc, exec, s[12:13]
	s_cbranch_vccnz .LBB15_19
; %bb.10:
	v_cmp_gt_i32_e32 vcc, s8, v4
	s_and_saveexec_b64 s[0:1], vcc
	s_cbranch_execz .LBB15_19
; %bb.11:
	s_load_dword s12, s[4:5], 0x58
	v_mov_b32_e32 v3, 0
	v_mov_b32_e32 v5, 0
	s_waitcnt lgkmcnt(0)
	s_cmp_ge_i32 s6, s12
	s_cbranch_scc1 .LBB15_14
; %bb.12:
	s_load_dwordx2 s[0:1], s[4:5], 0x48
	s_ashr_i32 s5, s8, 31
	s_mul_i32 s13, s8, s6
	v_add_u32_e32 v0, s13, v4
	s_mul_hi_u32 s13, s8, s7
	s_mul_i32 s16, s5, s7
	s_add_i32 s13, s13, s16
	s_mul_i32 s7, s8, s7
	s_mov_b32 s4, s8
	s_mul_i32 s13, s13, s12
	s_mul_hi_u32 s8, s7, s12
	s_add_i32 s17, s8, s13
	s_mul_i32 s16, s7, s12
	v_ashrrev_i32_e32 v1, 31, v0
	s_lshl_b64 s[16:17], s[16:17], 3
	v_lshlrev_b64 v[0:1], 3, v[0:1]
	s_waitcnt lgkmcnt(0)
	s_add_u32 s0, s0, s16
	s_addc_u32 s1, s1, s17
	v_mov_b32_e32 v2, s1
	v_add_co_u32_e32 v0, vcc, s0, v0
	v_addc_co_u32_e32 v1, vcc, v2, v1, vcc
	v_add_co_u32_e32 v0, vcc, 4, v0
	s_lshl_b64 s[0:1], s[4:5], 3
	v_addc_co_u32_e32 v1, vcc, 0, v1, vcc
	v_mov_b32_e32 v3, 0
	v_mov_b32_e32 v2, s1
	v_mov_b32_e32 v5, 0
.LBB15_13:                              ; =>This Inner Loop Header: Depth=1
	global_load_dwordx2 v[6:7], v[0:1], off offset:-4
	s_add_i32 s6, s6, 1
	v_add_co_u32_e32 v0, vcc, s0, v0
	v_addc_co_u32_e32 v1, vcc, v1, v2, vcc
	s_cmp_ge_i32 s6, s12
	s_waitcnt vmcnt(0)
	v_add_f32_e32 v5, v5, v6
	v_add_f32_e32 v3, v3, v7
	s_cbranch_scc0 .LBB15_13
.LBB15_14:
	v_mul_lo_u32 v2, s15, v4
	v_cmp_neq_f32_e64 s[0:1], s2, 0
	v_cmp_neq_f32_e64 s[4:5], s3, 0
	s_or_b64 s[0:1], s[0:1], s[4:5]
	v_mul_f32_e32 v0, s10, v3
	v_mul_f32_e32 v1, s9, v3
	s_andn2_b64 vcc, exec, s[0:1]
	v_fma_f32 v0, v5, s9, -v0
	v_fmac_f32_e32 v1, s10, v5
	v_ashrrev_i32_e32 v3, 31, v2
	s_cbranch_vccz .LBB15_16
; %bb.15:
	s_cbranch_execz .LBB15_17
	s_branch .LBB15_18
.LBB15_16:
.LBB15_17:
	v_lshlrev_b64 v[4:5], 3, v[2:3]
	v_mov_b32_e32 v6, s14
	v_add_co_u32_e32 v4, vcc, s11, v4
	v_addc_co_u32_e32 v5, vcc, v6, v5, vcc
	global_load_dwordx2 v[4:5], v[4:5], off
	s_waitcnt vmcnt(0)
	v_mul_f32_e32 v6, s3, v5
	v_mul_f32_e32 v5, s2, v5
	v_fma_f32 v6, v4, s2, -v6
	v_fmac_f32_e32 v5, s3, v4
	v_add_f32_e32 v0, v0, v6
	v_add_f32_e32 v1, v1, v5
.LBB15_18:
	v_lshlrev_b64 v[2:3], 3, v[2:3]
	v_mov_b32_e32 v4, s14
	v_add_co_u32_e32 v2, vcc, s11, v2
	v_addc_co_u32_e32 v3, vcc, v4, v3, vcc
	global_store_dwordx2 v[2:3], v[0:1], off
.LBB15_19:
	s_endpgm
	.section	.rodata,"a",@progbits
	.p2align	6, 0x0
	.amdhsa_kernel _ZL36rocblas_hemvn_kernel_lower_block_sumILi64Ei19rocblas_complex_numIfEPS1_S1_EviT1_lS3_lT2_lT0_lPT3_i
		.amdhsa_group_segment_fixed_size 0
		.amdhsa_private_segment_fixed_size 0
		.amdhsa_kernarg_size 344
		.amdhsa_user_sgpr_count 6
		.amdhsa_user_sgpr_private_segment_buffer 1
		.amdhsa_user_sgpr_dispatch_ptr 0
		.amdhsa_user_sgpr_queue_ptr 0
		.amdhsa_user_sgpr_kernarg_segment_ptr 1
		.amdhsa_user_sgpr_dispatch_id 0
		.amdhsa_user_sgpr_flat_scratch_init 0
		.amdhsa_user_sgpr_private_segment_size 0
		.amdhsa_uses_dynamic_stack 0
		.amdhsa_system_sgpr_private_segment_wavefront_offset 0
		.amdhsa_system_sgpr_workgroup_id_x 1
		.amdhsa_system_sgpr_workgroup_id_y 0
		.amdhsa_system_sgpr_workgroup_id_z 1
		.amdhsa_system_sgpr_workgroup_info 0
		.amdhsa_system_vgpr_workitem_id 0
		.amdhsa_next_free_vgpr 8
		.amdhsa_next_free_sgpr 20
		.amdhsa_reserve_vcc 1
		.amdhsa_reserve_flat_scratch 0
		.amdhsa_float_round_mode_32 0
		.amdhsa_float_round_mode_16_64 0
		.amdhsa_float_denorm_mode_32 3
		.amdhsa_float_denorm_mode_16_64 3
		.amdhsa_dx10_clamp 1
		.amdhsa_ieee_mode 1
		.amdhsa_fp16_overflow 0
		.amdhsa_exception_fp_ieee_invalid_op 0
		.amdhsa_exception_fp_denorm_src 0
		.amdhsa_exception_fp_ieee_div_zero 0
		.amdhsa_exception_fp_ieee_overflow 0
		.amdhsa_exception_fp_ieee_underflow 0
		.amdhsa_exception_fp_ieee_inexact 0
		.amdhsa_exception_int_div_zero 0
	.end_amdhsa_kernel
	.section	.text._ZL36rocblas_hemvn_kernel_lower_block_sumILi64Ei19rocblas_complex_numIfEPS1_S1_EviT1_lS3_lT2_lT0_lPT3_i,"axG",@progbits,_ZL36rocblas_hemvn_kernel_lower_block_sumILi64Ei19rocblas_complex_numIfEPS1_S1_EviT1_lS3_lT2_lT0_lPT3_i,comdat
.Lfunc_end15:
	.size	_ZL36rocblas_hemvn_kernel_lower_block_sumILi64Ei19rocblas_complex_numIfEPS1_S1_EviT1_lS3_lT2_lT0_lPT3_i, .Lfunc_end15-_ZL36rocblas_hemvn_kernel_lower_block_sumILi64Ei19rocblas_complex_numIfEPS1_S1_EviT1_lS3_lT2_lT0_lPT3_i
                                        ; -- End function
	.set _ZL36rocblas_hemvn_kernel_lower_block_sumILi64Ei19rocblas_complex_numIfEPS1_S1_EviT1_lS3_lT2_lT0_lPT3_i.num_vgpr, 8
	.set _ZL36rocblas_hemvn_kernel_lower_block_sumILi64Ei19rocblas_complex_numIfEPS1_S1_EviT1_lS3_lT2_lT0_lPT3_i.num_agpr, 0
	.set _ZL36rocblas_hemvn_kernel_lower_block_sumILi64Ei19rocblas_complex_numIfEPS1_S1_EviT1_lS3_lT2_lT0_lPT3_i.numbered_sgpr, 20
	.set _ZL36rocblas_hemvn_kernel_lower_block_sumILi64Ei19rocblas_complex_numIfEPS1_S1_EviT1_lS3_lT2_lT0_lPT3_i.num_named_barrier, 0
	.set _ZL36rocblas_hemvn_kernel_lower_block_sumILi64Ei19rocblas_complex_numIfEPS1_S1_EviT1_lS3_lT2_lT0_lPT3_i.private_seg_size, 0
	.set _ZL36rocblas_hemvn_kernel_lower_block_sumILi64Ei19rocblas_complex_numIfEPS1_S1_EviT1_lS3_lT2_lT0_lPT3_i.uses_vcc, 1
	.set _ZL36rocblas_hemvn_kernel_lower_block_sumILi64Ei19rocblas_complex_numIfEPS1_S1_EviT1_lS3_lT2_lT0_lPT3_i.uses_flat_scratch, 0
	.set _ZL36rocblas_hemvn_kernel_lower_block_sumILi64Ei19rocblas_complex_numIfEPS1_S1_EviT1_lS3_lT2_lT0_lPT3_i.has_dyn_sized_stack, 0
	.set _ZL36rocblas_hemvn_kernel_lower_block_sumILi64Ei19rocblas_complex_numIfEPS1_S1_EviT1_lS3_lT2_lT0_lPT3_i.has_recursion, 0
	.set _ZL36rocblas_hemvn_kernel_lower_block_sumILi64Ei19rocblas_complex_numIfEPS1_S1_EviT1_lS3_lT2_lT0_lPT3_i.has_indirect_call, 0
	.section	.AMDGPU.csdata,"",@progbits
; Kernel info:
; codeLenInByte = 680
; TotalNumSgprs: 24
; NumVgprs: 8
; ScratchSize: 0
; MemoryBound: 0
; FloatMode: 240
; IeeeMode: 1
; LDSByteSize: 0 bytes/workgroup (compile time only)
; SGPRBlocks: 2
; VGPRBlocks: 1
; NumSGPRsForWavesPerEU: 24
; NumVGPRsForWavesPerEU: 8
; Occupancy: 10
; WaveLimiterHint : 0
; COMPUTE_PGM_RSRC2:SCRATCH_EN: 0
; COMPUTE_PGM_RSRC2:USER_SGPR: 6
; COMPUTE_PGM_RSRC2:TRAP_HANDLER: 0
; COMPUTE_PGM_RSRC2:TGID_X_EN: 1
; COMPUTE_PGM_RSRC2:TGID_Y_EN: 0
; COMPUTE_PGM_RSRC2:TGID_Z_EN: 1
; COMPUTE_PGM_RSRC2:TIDIG_COMP_CNT: 0
	.section	.text._ZL26rocblas_hemvn_kernel_upperILb1ELi64ELi4ELi33ELi32ELi16ElPK19rocblas_complex_numIdES3_PS1_EviT6_lT7_lT5_lS6_lS7_lS5_lT8_i,"axG",@progbits,_ZL26rocblas_hemvn_kernel_upperILb1ELi64ELi4ELi33ELi32ELi16ElPK19rocblas_complex_numIdES3_PS1_EviT6_lT7_lT5_lS6_lS7_lS5_lT8_i,comdat
	.globl	_ZL26rocblas_hemvn_kernel_upperILb1ELi64ELi4ELi33ELi32ELi16ElPK19rocblas_complex_numIdES3_PS1_EviT6_lT7_lT5_lS6_lS7_lS5_lT8_i ; -- Begin function _ZL26rocblas_hemvn_kernel_upperILb1ELi64ELi4ELi33ELi32ELi16ElPK19rocblas_complex_numIdES3_PS1_EviT6_lT7_lT5_lS6_lS7_lS5_lT8_i
	.p2align	8
	.type	_ZL26rocblas_hemvn_kernel_upperILb1ELi64ELi4ELi33ELi32ELi16ElPK19rocblas_complex_numIdES3_PS1_EviT6_lT7_lT5_lS6_lS7_lS5_lT8_i,@function
_ZL26rocblas_hemvn_kernel_upperILb1ELi64ELi4ELi33ELi32ELi16ElPK19rocblas_complex_numIdES3_PS1_EviT6_lT7_lT5_lS6_lS7_lS5_lT8_i: ; @_ZL26rocblas_hemvn_kernel_upperILb1ELi64ELi4ELi33ELi32ELi16ElPK19rocblas_complex_numIdES3_PS1_EviT6_lT7_lT5_lS6_lS7_lS5_lT8_i
; %bb.0:
	s_load_dwordx2 s[2:3], s[4:5], 0x84
	s_add_u32 s0, s4, 0x78
	s_addc_u32 s1, s5, 0
	s_waitcnt lgkmcnt(0)
	s_lshr_b32 s8, s2, 16
	s_and_b32 s2, s2, 0xffff
	s_and_b32 s3, s3, 0xffff
	s_mul_i32 s2, s8, s2
	s_mul_i32 s2, s2, s3
	s_cmpk_lg_i32 s2, 0x100
	s_cbranch_scc1 .LBB16_202
; %bb.1:
	s_load_dwordx16 s[8:23], s[4:5], 0x8
	s_waitcnt lgkmcnt(0)
	s_mul_i32 s3, s11, s7
	s_mul_hi_u32 s11, s10, s7
	s_mul_i32 s2, s10, s7
	s_add_i32 s3, s11, s3
	s_lshl_b64 s[2:3], s[2:3], 4
	s_add_u32 s2, s8, s2
	s_addc_u32 s3, s9, s3
	s_load_dwordx4 s[8:11], s[2:3], 0x0
	s_load_dwordx2 s[34:35], s[4:5], 0x68
	s_load_dwordx8 s[24:31], s[4:5], 0x48
	s_waitcnt lgkmcnt(0)
	v_cmp_neq_f64_e64 s[2:3], s[8:9], 0
	v_cmp_neq_f64_e64 s[8:9], s[10:11], 0
	s_or_b64 s[2:3], s[2:3], s[8:9]
	s_mov_b64 s[8:9], -1
	s_and_b64 vcc, exec, s[2:3]
	s_cbranch_vccnz .LBB16_3
; %bb.2:
	s_mul_i32 s8, s31, s7
	s_mul_hi_u32 s9, s30, s7
	s_add_i32 s9, s9, s8
	s_mul_i32 s8, s30, s7
	s_lshl_b64 s[8:9], s[8:9], 4
	s_add_u32 s28, s28, s8
	s_addc_u32 s29, s29, s9
	s_load_dwordx4 s[8:11], s[28:29], 0x0
	s_waitcnt lgkmcnt(0)
	v_cmp_neq_f64_e64 s[8:9], s[8:9], 1.0
	v_cmp_neq_f64_e64 s[10:11], s[10:11], 0
	s_or_b64 s[8:9], s[8:9], s[10:11]
.LBB16_3:
	s_andn2_b64 vcc, exec, s[8:9]
	s_cbranch_vccnz .LBB16_202
; %bb.4:
	s_andn2_b64 vcc, exec, s[2:3]
	s_cbranch_vccnz .LBB16_202
; %bb.5:
	s_load_dword s33, s[0:1], 0x0
	s_load_dword s37, s[4:5], 0x0
	s_mul_i32 s0, s27, s7
	s_mul_hi_u32 s1, s26, s7
	s_add_i32 s1, s1, s0
	s_mul_i32 s0, s26, s7
	s_lshl_b64 s[0:1], s[0:1], 4
	s_add_u32 s2, s20, s0
	s_addc_u32 s3, s21, s1
	s_lshl_b64 s[0:1], s[22:23], 4
	s_add_u32 s2, s2, s0
	s_addc_u32 s3, s3, s1
	s_lshl_b32 s22, s6, 6
	s_waitcnt lgkmcnt(0)
	s_ashr_i32 s38, s37, 31
	s_lshr_b32 s0, s38, 26
	v_add_u32_e32 v175, s22, v0
	s_add_i32 s0, s37, s0
	v_ashrrev_i32_e32 v176, 31, v175
	s_and_b32 s5, s0, 0xffffffc0
	v_mul_lo_u32 v4, s24, v176
	v_mul_lo_u32 v5, s25, v175
	v_mad_u64_u32 v[2:3], s[0:1], s24, v175, 0
	s_add_i32 s4, s33, -1
	s_sub_i32 s36, s37, s5
	v_add3_u32 v3, v3, v4, v5
	v_lshlrev_b64 v[2:3], 4, v[2:3]
	s_cmp_eq_u32 s6, s4
	v_mov_b32_e32 v4, s3
	v_add_co_u32_e32 v40, vcc, s2, v2
	s_cselect_b32 s20, s36, 0
	v_addc_co_u32_e32 v41, vcc, v4, v3, vcc
	v_cmp_eq_u32_e64 s[0:1], 0, v1
	s_and_saveexec_b64 s[2:3], s[0:1]
	s_cbranch_execz .LBB16_10
; %bb.6:
	s_cmp_lg_u32 s20, 0
	s_cselect_b64 s[4:5], -1, 0
	v_cmp_le_i32_e32 vcc, s20, v0
	v_mov_b32_e32 v2, 0x4700
	s_and_b64 s[4:5], s[4:5], vcc
	v_lshl_add_u32 v2, v0, 4, v2
	s_and_saveexec_b64 s[8:9], s[4:5]
	s_xor_b64 s[4:5], exec, s[8:9]
; %bb.7:
	v_mov_b32_e32 v3, 0
	v_mov_b32_e32 v4, v3
	;; [unrolled: 1-line block ×4, first 2 shown]
	ds_write_b128 v2, v[3:6]
                                        ; implicit-def: $vgpr2
; %bb.8:
	s_andn2_saveexec_b64 s[4:5], s[4:5]
	s_cbranch_execz .LBB16_10
; %bb.9:
	global_load_dwordx4 v[3:6], v[40:41], off
	s_waitcnt vmcnt(0)
	ds_write2_b64 v2, v[3:4], v[5:6] offset1:1
.LBB16_10:
	s_or_b64 exec, exec, s[2:3]
	v_lshl_add_u32 v44, v1, 6, v0
	s_mul_i32 s2, s19, s7
	s_mul_hi_u32 s3, s18, s7
	v_and_b32_e32 v10, 31, v0
	v_lshrrev_b32_e32 v13, 5, v44
	s_add_i32 s3, s3, s2
	s_mul_i32 s2, s18, s7
	v_mov_b32_e32 v11, 0
	s_lshl_b64 s[2:3], s[2:3], 4
	v_mad_u64_u32 v[2:3], s[4:5], s16, v13, v[10:11]
	s_add_u32 s8, s12, s2
	s_addc_u32 s9, s13, s3
	s_lshl_b64 s[2:3], s[14:15], 4
	s_add_u32 s4, s8, s2
	s_addc_u32 s5, s9, s3
	v_mad_u64_u32 v[3:4], s[2:3], s17, v13, v[3:4]
	s_ashr_i32 s23, s22, 31
	s_lshl_b64 s[2:3], s[22:23], 4
	s_add_u32 s2, s4, s2
	v_lshlrev_b64 v[38:39], 4, v[2:3]
	s_addc_u32 s3, s5, s3
	v_mov_b32_e32 v2, s3
	v_add_co_u32_e32 v3, vcc, s2, v38
	s_mul_hi_u32 s2, s16, s22
	s_mul_i32 s3, s16, s23
	s_add_i32 s2, s2, s3
	s_mul_i32 s3, s17, s22
	s_add_i32 s3, s2, s3
	s_mul_i32 s2, s16, s22
	s_lshl_b64 s[2:3], s[2:3], 4
	v_addc_co_u32_e32 v4, vcc, v2, v39, vcc
	s_cmp_eq_u32 s20, 0
	v_mov_b32_e32 v5, s3
	v_add_co_u32_e32 v2, vcc, s2, v3
	s_cselect_b64 s[18:19], -1, 0
	s_cmp_lg_u32 s20, 0
	v_addc_co_u32_e32 v3, vcc, v4, v5, vcc
	s_cselect_b64 s[26:27], -1, 0
	s_and_b64 vcc, exec, s[26:27]
	v_cmp_gt_i32_e64 s[2:3], s20, v10
	v_lshlrev_b32_e32 v15, 4, v10
	v_lshlrev_b32_e32 v14, 4, v10
	s_cbranch_vccz .LBB16_28
; %bb.11:
	v_sub_co_u32_e32 v4, vcc, v2, v15
	s_ashr_i32 s21, s20, 31
	v_subbrev_co_u32_e32 v5, vcc, 0, v3, vcc
	s_lshl_b64 s[4:5], s[20:21], 4
	v_mov_b32_e32 v6, s5
	v_add_co_u32_e32 v4, vcc, s4, v4
	v_addc_co_u32_e32 v5, vcc, v5, v6, vcc
	v_add_co_u32_e32 v4, vcc, -16, v4
	v_addc_co_u32_e32 v5, vcc, -1, v5, vcc
	s_movk_i32 s8, 0x210
	v_cndmask_b32_e64 v5, v5, v3, s[2:3]
	v_cndmask_b32_e64 v4, v4, v2, s[2:3]
	v_cmp_le_i32_e32 vcc, s20, v13
	v_mad_u32_u24 v7, v13, s8, v14
	s_and_saveexec_b64 s[8:9], vcc
	s_xor_b64 s[8:9], exec, s[8:9]
; %bb.12:
	v_mov_b32_e32 v16, 0
	v_mov_b32_e32 v17, v16
	;; [unrolled: 1-line block ×4, first 2 shown]
	ds_write_b128 v7, v[16:19]
                                        ; implicit-def: $vgpr7
; %bb.13:
	s_or_saveexec_b64 s[8:9], s[8:9]
	v_mul_u32_u24_e32 v6, 0x210, v13
	s_xor_b64 exec, exec, s[8:9]
	s_cbranch_execz .LBB16_15
; %bb.14:
	global_load_dwordx4 v[16:19], v[4:5], off
	s_waitcnt vmcnt(0)
	ds_write2_b64 v7, v[16:17], v[18:19] offset1:1
.LBB16_15:
	s_or_b64 exec, exec, s[8:9]
	v_add_u32_e32 v7, 8, v13
	v_cmp_le_i32_e32 vcc, s20, v7
	v_add_u32_e32 v7, v6, v14
	s_and_saveexec_b64 s[8:9], vcc
	s_xor_b64 s[8:9], exec, s[8:9]
; %bb.16:
	v_mov_b32_e32 v16, 0
	v_mov_b32_e32 v17, v16
	;; [unrolled: 1-line block ×4, first 2 shown]
	ds_write_b128 v7, v[16:19] offset:4224
; %bb.17:
	s_andn2_saveexec_b64 s[8:9], s[8:9]
	s_cbranch_execz .LBB16_19
; %bb.18:
	s_lshl_b64 s[10:11], s[16:17], 7
	v_mov_b32_e32 v9, s11
	v_add_co_u32_e32 v8, vcc, s10, v4
	v_addc_co_u32_e32 v9, vcc, v5, v9, vcc
	global_load_dwordx4 v[16:19], v[8:9], off
	s_movk_i32 s10, 0x1080
	v_add3_u32 v8, v6, v14, s10
	s_waitcnt vmcnt(0)
	ds_write2_b64 v8, v[16:17], v[18:19] offset1:1
.LBB16_19:
	s_or_b64 exec, exec, s[8:9]
	v_add_u32_e32 v8, 16, v13
	v_cmp_le_i32_e32 vcc, s20, v8
	s_and_saveexec_b64 s[8:9], vcc
	s_xor_b64 s[8:9], exec, s[8:9]
; %bb.20:
	v_mov_b32_e32 v16, 0
	v_mov_b32_e32 v17, v16
	;; [unrolled: 1-line block ×4, first 2 shown]
	ds_write_b128 v7, v[16:19] offset:8448
; %bb.21:
	s_andn2_saveexec_b64 s[8:9], s[8:9]
	s_cbranch_execz .LBB16_23
; %bb.22:
	s_lshl_b64 s[10:11], s[16:17], 8
	v_mov_b32_e32 v9, s11
	v_add_co_u32_e32 v8, vcc, s10, v4
	v_addc_co_u32_e32 v9, vcc, v5, v9, vcc
	global_load_dwordx4 v[16:19], v[8:9], off
	s_movk_i32 s10, 0x2100
	v_add3_u32 v8, v6, v14, s10
	s_waitcnt vmcnt(0)
	ds_write2_b64 v8, v[16:17], v[18:19] offset1:1
.LBB16_23:
	s_or_b64 exec, exec, s[8:9]
	v_add_u32_e32 v8, 24, v13
	v_cmp_le_i32_e32 vcc, s20, v8
	s_and_saveexec_b64 s[8:9], vcc
	s_xor_b64 s[8:9], exec, s[8:9]
; %bb.24:
	v_mov_b32_e32 v16, 0
	v_mov_b32_e32 v17, v16
	;; [unrolled: 1-line block ×4, first 2 shown]
	ds_write_b128 v7, v[16:19] offset:12672
                                        ; implicit-def: $vgpr6
; %bb.25:
	s_andn2_saveexec_b64 s[8:9], s[8:9]
	s_cbranch_execz .LBB16_27
; %bb.26:
	v_mov_b32_e32 v7, 0x180
	v_mad_u64_u32 v[7:8], s[10:11], s16, v7, v[4:5]
	s_mul_i32 s10, s17, 0x180
	v_add_u32_e32 v8, s10, v8
	global_load_dwordx4 v[16:19], v[7:8], off
	s_movk_i32 s10, 0x3180
	v_add3_u32 v6, v6, v14, s10
	s_waitcnt vmcnt(0)
	ds_write2_b64 v6, v[16:17], v[18:19] offset1:1
.LBB16_27:
	s_or_b64 exec, exec, s[8:9]
	v_add_co_u32_e32 v4, vcc, v4, v15
	v_addc_co_u32_e32 v5, vcc, 0, v5, vcc
	v_mov_b32_e32 v6, s5
	v_subrev_co_u32_e32 v4, vcc, s4, v4
	v_subb_co_u32_e32 v5, vcc, v5, v6, vcc
	v_add_co_u32_e32 v4, vcc, 16, v4
	v_addc_co_u32_e32 v5, vcc, 0, v5, vcc
	v_cndmask_b32_e64 v7, v5, v3, s[2:3]
	v_cndmask_b32_e64 v6, v4, v2, s[2:3]
	s_branch .LBB16_30
.LBB16_28:
                                        ; implicit-def: $vgpr6_vgpr7
	s_cbranch_execz .LBB16_30
; %bb.29:
	s_lshl_b64 s[2:3], s[16:17], 7
	v_mov_b32_e32 v12, s3
	v_add_co_u32_e32 v8, vcc, s2, v2
	v_addc_co_u32_e32 v9, vcc, v3, v12, vcc
	global_load_dwordx4 v[4:7], v[2:3], off
	global_load_dwordx4 v[16:19], v[8:9], off
	v_add_co_u32_e32 v8, vcc, s2, v8
	v_addc_co_u32_e32 v9, vcc, v9, v12, vcc
	v_add_co_u32_e32 v11, vcc, s2, v8
	v_addc_co_u32_e32 v12, vcc, v9, v12, vcc
	global_load_dwordx4 v[20:23], v[8:9], off
	global_load_dwordx4 v[24:27], v[11:12], off
	v_mul_u32_u24_e32 v8, 0x210, v13
	v_lshl_add_u32 v8, v10, 4, v8
	v_add_u32_e32 v9, 0x1080, v8
	v_add_u32_e32 v11, 0x2100, v8
	v_add_u32_e32 v12, 0x3180, v8
	s_waitcnt vmcnt(3)
	ds_write2_b64 v8, v[4:5], v[6:7] offset1:1
	s_waitcnt vmcnt(2)
	ds_write2_b64 v9, v[16:17], v[18:19] offset1:1
	;; [unrolled: 2-line block ×4, first 2 shown]
	v_mov_b32_e32 v7, v3
	v_mov_b32_e32 v6, v2
.LBB16_30:
	v_lshlrev_b32_e32 v18, 2, v13
	v_mul_u32_u24_e32 v16, 0x210, v10
	v_cmp_le_u32_e64 s[4:5], v18, v10
	s_mov_b64 s[2:3], 0
	s_waitcnt lgkmcnt(0)
	s_barrier
                                        ; implicit-def: $vgpr2
	s_and_saveexec_b64 s[8:9], s[4:5]
	s_xor_b64 s[8:9], exec, s[8:9]
	s_cbranch_execz .LBB16_34
; %bb.31:
	v_cmp_eq_u32_e32 vcc, v18, v10
                                        ; implicit-def: $vgpr2
	s_and_saveexec_b64 s[10:11], vcc
	s_xor_b64 s[10:11], exec, s[10:11]
; %bb.32:
	s_mov_b64 s[2:3], exec
	v_add_u32_e32 v2, v14, v16
; %bb.33:
	s_or_b64 exec, exec, s[10:11]
	s_and_b64 s[2:3], s[2:3], exec
.LBB16_34:
	s_or_saveexec_b64 s[8:9], s[8:9]
	v_lshl_or_b32 v3, v10, 9, v14
	v_mov_b32_e32 v4, 0
	v_mov_b32_e32 v5, 0
	v_lshl_add_u32 v8, v18, 4, v3
	s_xor_b64 exec, exec, s[8:9]
	s_cbranch_execz .LBB16_36
; %bb.35:
	s_movk_i32 s10, 0x840
	v_mad_u32_u24 v2, v13, s10, v14
	ds_read_b128 v[2:5], v2
	s_or_b64 s[2:3], s[2:3], exec
	s_waitcnt lgkmcnt(0)
	v_xor_b32_e32 v5, 0x80000000, v5
	ds_write_b64 v8, v[2:3]
	v_mov_b32_e32 v2, v8
.LBB16_36:
	s_or_b64 exec, exec, s[8:9]
	s_and_saveexec_b64 s[8:9], s[2:3]
; %bb.37:
	ds_write_b64 v2, v[4:5] offset:8
; %bb.38:
	s_or_b64 exec, exec, s[8:9]
	v_or_b32_e32 v19, 1, v18
	v_cmp_ge_u32_e64 s[14:15], v18, v10
	s_mov_b64 s[2:3], 0
                                        ; implicit-def: $vgpr4_vgpr5
                                        ; implicit-def: $vgpr9
	s_and_saveexec_b64 s[8:9], s[14:15]
	s_xor_b64 s[8:9], exec, s[8:9]
	s_cbranch_execnz .LBB16_78
; %bb.39:
	s_andn2_saveexec_b64 s[8:9], s[8:9]
	s_cbranch_execnz .LBB16_79
.LBB16_40:
	s_or_b64 exec, exec, s[8:9]
	s_and_saveexec_b64 s[8:9], s[2:3]
.LBB16_41:
	ds_write_b64 v9, v[4:5] offset:8
.LBB16_42:
	s_or_b64 exec, exec, s[8:9]
	v_or_b32_e32 v20, 2, v18
	v_cmp_le_u32_e64 s[8:9], v20, v10
	s_mov_b64 s[2:3], 0
                                        ; implicit-def: $vgpr9
	s_and_saveexec_b64 s[10:11], s[8:9]
	s_xor_b64 s[10:11], exec, s[10:11]
	s_cbranch_execz .LBB16_46
; %bb.43:
	v_cmp_eq_u32_e32 vcc, v20, v10
                                        ; implicit-def: $vgpr9
	s_and_saveexec_b64 s[12:13], vcc
; %bb.44:
	s_mov_b64 s[2:3], exec
	v_add_u32_e32 v9, v14, v16
; %bb.45:
	s_or_b64 exec, exec, s[12:13]
	s_and_b64 s[2:3], s[2:3], exec
.LBB16_46:
	s_or_saveexec_b64 s[10:11], s[10:11]
	v_mov_b32_e32 v4, 0
	v_mov_b32_e32 v5, 0
	s_xor_b64 exec, exec, s[10:11]
	s_cbranch_execz .LBB16_48
; %bb.47:
	s_movk_i32 s12, 0x210
	v_mad_u32_u24 v2, v20, s12, v14
	ds_read_b128 v[2:5], v2
	v_add_u32_e32 v9, 32, v8
	s_or_b64 s[2:3], s[2:3], exec
	s_waitcnt lgkmcnt(0)
	v_xor_b32_e32 v5, 0x80000000, v5
	ds_write_b64 v8, v[2:3] offset:32
.LBB16_48:
	s_or_b64 exec, exec, s[10:11]
	s_and_saveexec_b64 s[10:11], s[2:3]
; %bb.49:
	ds_write_b64 v9, v[4:5] offset:8
; %bb.50:
	s_or_b64 exec, exec, s[10:11]
	v_or_b32_e32 v21, 3, v18
	v_cmp_le_u32_e64 s[10:11], v21, v10
	s_mov_b64 s[2:3], 0
                                        ; implicit-def: $vgpr9
	s_and_saveexec_b64 s[12:13], s[10:11]
	s_xor_b64 s[12:13], exec, s[12:13]
	s_cbranch_execz .LBB16_54
; %bb.51:
	v_cmp_eq_u32_e32 vcc, v21, v10
                                        ; implicit-def: $vgpr9
	s_and_saveexec_b64 s[28:29], vcc
; %bb.52:
	s_mov_b64 s[2:3], exec
	v_add_u32_e32 v9, v14, v16
; %bb.53:
	s_or_b64 exec, exec, s[28:29]
	s_and_b64 s[2:3], s[2:3], exec
                                        ; implicit-def: $vgpr8
.LBB16_54:
	s_or_saveexec_b64 s[12:13], s[12:13]
	v_mov_b32_e32 v4, 0
	v_mov_b32_e32 v5, 0
	s_xor_b64 exec, exec, s[12:13]
	s_cbranch_execz .LBB16_56
; %bb.55:
	s_movk_i32 s21, 0x210
	v_mad_u32_u24 v2, v21, s21, v14
	ds_read_b128 v[2:5], v2
	v_add_u32_e32 v9, 48, v8
	s_or_b64 s[2:3], s[2:3], exec
	s_waitcnt lgkmcnt(0)
	v_xor_b32_e32 v5, 0x80000000, v5
	ds_write_b64 v8, v[2:3] offset:48
.LBB16_56:
	s_or_b64 exec, exec, s[12:13]
	s_and_saveexec_b64 s[12:13], s[2:3]
; %bb.57:
	ds_write_b64 v9, v[4:5] offset:8
; %bb.58:
	s_or_b64 exec, exec, s[12:13]
	s_movk_i32 s2, 0x840
	v_lshlrev_b32_e32 v22, 4, v18
	s_waitcnt lgkmcnt(0)
	s_barrier
	v_mad_u32_u24 v8, v13, s2, v14
	ds_read_b128 v[2:5], v22 offset:18176
	ds_read_b128 v[23:26], v8
	ds_read_b128 v[27:30], v22 offset:18192
	s_movk_i32 s21, 0x210
	v_mad_u32_u24 v17, v19, s21, v14
	ds_read_b128 v[31:34], v17
	ds_read_b128 v[45:48], v22 offset:18208
	s_waitcnt lgkmcnt(3)
	v_mul_f64 v[8:9], v[4:5], v[25:26]
	v_mul_f64 v[11:12], v[2:3], v[25:26]
	v_cmp_gt_u32_e64 s[2:3], 32, v44
	s_waitcnt lgkmcnt(1)
	v_mul_f64 v[42:43], v[29:30], v[33:34]
	v_mul_f64 v[49:50], v[27:28], v[33:34]
	ds_read_b128 v[33:36], v17 offset:528
	v_fma_f64 v[8:9], v[2:3], v[23:24], -v[8:9]
	v_fma_f64 v[11:12], v[4:5], v[23:24], v[11:12]
	ds_read_b128 v[2:5], v22 offset:18224
	ds_read_b128 v[23:26], v17 offset:1056
	v_fma_f64 v[27:28], v[27:28], v[31:32], -v[42:43]
	s_waitcnt lgkmcnt(2)
	v_mul_f64 v[42:43], v[47:48], v[35:36]
	v_fma_f64 v[29:30], v[29:30], v[31:32], v[49:50]
	v_mul_f64 v[31:32], v[45:46], v[35:36]
	s_waitcnt lgkmcnt(0)
	v_mul_f64 v[35:36], v[4:5], v[25:26]
	v_add_f64 v[8:9], v[8:9], 0
	v_add_f64 v[11:12], v[11:12], 0
	v_mul_f64 v[25:26], v[2:3], v[25:26]
	v_fma_f64 v[42:43], v[45:46], v[33:34], -v[42:43]
	s_barrier
	v_add_f64 v[8:9], v[8:9], v[27:28]
	v_fma_f64 v[27:28], v[47:48], v[33:34], v[31:32]
	v_add_f64 v[11:12], v[11:12], v[29:30]
	v_fma_f64 v[29:30], v[2:3], v[23:24], -v[35:36]
	v_fma_f64 v[4:5], v[4:5], v[23:24], v[25:26]
	v_mov_b32_e32 v2, 0
	v_mov_b32_e32 v3, 0
	v_add_f64 v[8:9], v[8:9], v[42:43]
	v_add_f64 v[11:12], v[11:12], v[27:28]
	;; [unrolled: 1-line block ×3, first 2 shown]
	v_mul_u32_u24_e32 v8, 33, v10
	v_add_f64 v[25:26], v[11:12], v[4:5]
	v_mov_b32_e32 v4, 0
	v_lshlrev_b32_e32 v45, 4, v8
	v_mov_b32_e32 v5, 0
	v_lshl_add_u32 v46, v13, 4, v45
	ds_write_b128 v46, v[23:26]
	s_waitcnt lgkmcnt(0)
	s_barrier
	s_and_saveexec_b64 s[12:13], s[2:3]
	s_cbranch_execz .LBB16_60
; %bb.59:
	ds_read_b128 v[2:5], v45
	ds_read_b128 v[23:26], v45 offset:16
	s_waitcnt lgkmcnt(0)
	v_add_f64 v[8:9], v[23:24], v[2:3]
	v_add_f64 v[11:12], v[25:26], v[4:5]
	ds_read_b128 v[2:5], v45 offset:32
	ds_read_b128 v[23:26], v45 offset:48
	s_waitcnt lgkmcnt(1)
	v_add_f64 v[2:3], v[8:9], v[2:3]
	v_add_f64 v[4:5], v[11:12], v[4:5]
	s_waitcnt lgkmcnt(0)
	v_add_f64 v[8:9], v[2:3], v[23:24]
	v_add_f64 v[11:12], v[4:5], v[25:26]
	ds_read_b128 v[2:5], v45 offset:64
	ds_read_b128 v[23:26], v45 offset:80
	s_waitcnt lgkmcnt(1)
	v_add_f64 v[2:3], v[8:9], v[2:3]
	v_add_f64 v[4:5], v[11:12], v[4:5]
	;; [unrolled: 8-line block ×3, first 2 shown]
	s_waitcnt lgkmcnt(0)
	v_add_f64 v[2:3], v[2:3], v[23:24]
	v_add_f64 v[4:5], v[4:5], v[25:26]
.LBB16_60:
	s_or_b64 exec, exec, s[12:13]
	s_lshl_b64 s[12:13], s[16:17], 9
	v_mov_b32_e32 v8, s13
	v_add_co_u32_e32 v23, vcc, s12, v6
	v_addc_co_u32_e32 v24, vcc, v7, v8, vcc
	v_add_co_u32_e32 v6, vcc, 0x200, v23
	v_addc_co_u32_e32 v7, vcc, 0, v24, vcc
	v_mad_u32_u24 v17, v13, s21, v14
	s_and_b64 vcc, exec, s[26:27]
	s_barrier
	s_cbranch_vccz .LBB16_82
; %bb.61:
	v_sub_co_u32_e32 v9, vcc, v23, v15
	s_ashr_i32 s21, s20, 31
	v_subbrev_co_u32_e32 v11, vcc, 0, v24, vcc
	s_lshl_b64 s[28:29], s[20:21], 4
	v_mov_b32_e32 v12, s29
	v_add_co_u32_e32 v9, vcc, s28, v9
	v_addc_co_u32_e32 v11, vcc, v11, v12, vcc
	v_or_b32_e32 v8, 32, v10
	v_add_co_u32_e32 v12, vcc, -16, v9
	v_addc_co_u32_e32 v9, vcc, -1, v11, vcc
	v_cmp_gt_i32_e64 s[12:13], s20, v8
	s_sub_i32 s21, s20, 32
	v_cndmask_b32_e64 v9, v9, v7, s[12:13]
	v_cndmask_b32_e64 v8, v12, v6, s[12:13]
	v_cmp_le_i32_e32 vcc, s21, v13
	s_and_saveexec_b64 s[30:31], vcc
	s_xor_b64 s[30:31], exec, s[30:31]
; %bb.62:
	v_mov_b32_e32 v25, 0
	v_mov_b32_e32 v26, v25
	;; [unrolled: 1-line block ×4, first 2 shown]
	ds_write_b128 v17, v[25:28]
; %bb.63:
	s_andn2_saveexec_b64 s[30:31], s[30:31]
	s_cbranch_execz .LBB16_65
; %bb.64:
	global_load_dwordx4 v[25:28], v[8:9], off
	s_waitcnt vmcnt(0)
	ds_write2_b64 v17, v[25:26], v[27:28] offset1:1
.LBB16_65:
	s_or_b64 exec, exec, s[30:31]
	v_add_u32_e32 v11, 8, v13
	v_cmp_le_i32_e32 vcc, s21, v11
	s_and_saveexec_b64 s[30:31], vcc
	s_xor_b64 s[30:31], exec, s[30:31]
	s_cbranch_execz .LBB16_67
; %bb.66:
	s_movk_i32 s39, 0x210
	v_mov_b32_e32 v25, 0
	v_mad_u32_u24 v11, v11, s39, v14
	v_mov_b32_e32 v26, v25
	v_mov_b32_e32 v27, v25
	;; [unrolled: 1-line block ×3, first 2 shown]
	ds_write_b128 v11, v[25:28]
                                        ; implicit-def: $vgpr11
.LBB16_67:
	s_andn2_saveexec_b64 s[30:31], s[30:31]
	s_cbranch_execz .LBB16_69
; %bb.68:
	s_lshl_b64 s[40:41], s[16:17], 7
	v_mov_b32_e32 v12, s41
	v_add_co_u32_e32 v25, vcc, s40, v8
	v_addc_co_u32_e32 v26, vcc, v9, v12, vcc
	global_load_dwordx4 v[25:28], v[25:26], off
	s_movk_i32 s39, 0x210
	v_mad_u32_u24 v11, v11, s39, v14
	s_waitcnt vmcnt(0)
	ds_write2_b64 v11, v[25:26], v[27:28] offset1:1
.LBB16_69:
	s_or_b64 exec, exec, s[30:31]
	v_add_u32_e32 v11, 16, v13
	v_cmp_le_i32_e32 vcc, s21, v11
	s_and_saveexec_b64 s[30:31], vcc
	s_xor_b64 s[30:31], exec, s[30:31]
	s_cbranch_execz .LBB16_71
; %bb.70:
	s_movk_i32 s39, 0x210
	v_mov_b32_e32 v25, 0
	v_mad_u32_u24 v11, v11, s39, v14
	v_mov_b32_e32 v26, v25
	v_mov_b32_e32 v27, v25
	;; [unrolled: 1-line block ×3, first 2 shown]
	ds_write_b128 v11, v[25:28]
                                        ; implicit-def: $vgpr11
.LBB16_71:
	s_andn2_saveexec_b64 s[30:31], s[30:31]
	s_cbranch_execz .LBB16_73
; %bb.72:
	s_lshl_b64 s[40:41], s[16:17], 8
	v_mov_b32_e32 v12, s41
	v_add_co_u32_e32 v25, vcc, s40, v8
	v_addc_co_u32_e32 v26, vcc, v9, v12, vcc
	global_load_dwordx4 v[25:28], v[25:26], off
	s_movk_i32 s39, 0x210
	v_mad_u32_u24 v11, v11, s39, v14
	s_waitcnt vmcnt(0)
	ds_write2_b64 v11, v[25:26], v[27:28] offset1:1
.LBB16_73:
	s_or_b64 exec, exec, s[30:31]
	v_add_u32_e32 v11, 24, v13
	v_cmp_le_i32_e32 vcc, s21, v11
	s_and_saveexec_b64 s[30:31], vcc
	s_xor_b64 s[30:31], exec, s[30:31]
	s_cbranch_execz .LBB16_75
; %bb.74:
	s_movk_i32 s21, 0x210
	v_mov_b32_e32 v25, 0
	v_mad_u32_u24 v11, v11, s21, v14
	v_mov_b32_e32 v26, v25
	v_mov_b32_e32 v27, v25
	;; [unrolled: 1-line block ×3, first 2 shown]
	ds_write_b128 v11, v[25:28]
                                        ; implicit-def: $vgpr11
.LBB16_75:
	s_andn2_saveexec_b64 s[30:31], s[30:31]
	s_cbranch_execz .LBB16_77
; %bb.76:
	v_mov_b32_e32 v12, 0x180
	v_mad_u64_u32 v[25:26], s[40:41], s16, v12, v[8:9]
	s_mul_i32 s21, s17, 0x180
	v_add_u32_e32 v26, s21, v26
	global_load_dwordx4 v[25:28], v[25:26], off
	s_movk_i32 s21, 0x210
	v_mad_u32_u24 v11, v11, s21, v14
	s_waitcnt vmcnt(0)
	ds_write2_b64 v11, v[25:26], v[27:28] offset1:1
.LBB16_77:
	s_or_b64 exec, exec, s[30:31]
	v_add_co_u32_e32 v8, vcc, v8, v15
	v_addc_co_u32_e32 v9, vcc, 0, v9, vcc
	v_mov_b32_e32 v11, s29
	v_subrev_co_u32_e32 v8, vcc, s28, v8
	v_subb_co_u32_e32 v9, vcc, v9, v11, vcc
	v_add_co_u32_e32 v8, vcc, 0x210, v8
	v_addc_co_u32_e32 v9, vcc, 0, v9, vcc
	v_cndmask_b32_e64 v12, v9, v7, s[12:13]
	v_cndmask_b32_e64 v11, v8, v6, s[12:13]
	s_branch .LBB16_84
.LBB16_78:
	s_movk_i32 s10, 0x210
	v_mad_u32_u24 v2, v19, s10, v14
	ds_read_b128 v[2:5], v2
	s_mov_b64 s[2:3], exec
	v_add_u32_e32 v9, 16, v8
	s_waitcnt lgkmcnt(0)
	v_xor_b32_e32 v5, 0x80000000, v5
	ds_write_b64 v8, v[2:3] offset:16
	s_andn2_saveexec_b64 s[8:9], s[8:9]
	s_cbranch_execz .LBB16_40
.LBB16_79:
	v_cmp_eq_u32_e32 vcc, v19, v10
	s_mov_b64 s[10:11], s[2:3]
                                        ; implicit-def: $vgpr9
	s_and_saveexec_b64 s[12:13], vcc
; %bb.80:
	v_add_u32_e32 v9, v14, v16
	s_or_b64 s[10:11], s[2:3], exec
; %bb.81:
	s_or_b64 exec, exec, s[12:13]
	v_mov_b32_e32 v4, 0
	s_andn2_b64 s[2:3], s[2:3], exec
	s_and_b64 s[10:11], s[10:11], exec
	v_mov_b32_e32 v5, 0
	s_or_b64 s[2:3], s[2:3], s[10:11]
	s_or_b64 exec, exec, s[8:9]
	s_and_saveexec_b64 s[8:9], s[2:3]
	s_cbranch_execnz .LBB16_41
	s_branch .LBB16_42
.LBB16_82:
                                        ; implicit-def: $vgpr11_vgpr12
	s_cbranch_execz .LBB16_84
; %bb.83:
	s_lshl_b64 s[12:13], s[16:17], 7
	v_mov_b32_e32 v12, s13
	v_add_co_u32_e32 v8, vcc, s12, v23
	v_addc_co_u32_e32 v9, vcc, v24, v12, vcc
	global_load_dwordx4 v[23:26], v[6:7], off
	global_load_dwordx4 v[27:30], v[8:9], off offset:512
	v_add_co_u32_e32 v8, vcc, s12, v8
	v_addc_co_u32_e32 v9, vcc, v9, v12, vcc
	v_add_co_u32_e32 v11, vcc, s12, v8
	v_addc_co_u32_e32 v12, vcc, v9, v12, vcc
	global_load_dwordx4 v[31:34], v[8:9], off offset:512
	global_load_dwordx4 v[47:50], v[11:12], off offset:512
	v_add_u32_e32 v11, 0x3180, v17
	v_add_u32_e32 v8, 0x1080, v17
	;; [unrolled: 1-line block ×3, first 2 shown]
	s_waitcnt vmcnt(3)
	ds_write2_b64 v17, v[23:24], v[25:26] offset1:1
	s_waitcnt vmcnt(2)
	ds_write2_b64 v8, v[27:28], v[29:30] offset1:1
	;; [unrolled: 2-line block ×4, first 2 shown]
	v_mov_b32_e32 v12, v7
	v_mov_b32_e32 v11, v6
.LBB16_84:
	v_mul_u32_u24_e32 v7, 0x840, v13
	s_mov_b64 s[12:13], 0
	s_waitcnt lgkmcnt(0)
	s_barrier
                                        ; implicit-def: $vgpr6
	s_and_saveexec_b64 s[28:29], s[4:5]
	s_xor_b64 s[4:5], exec, s[28:29]
	s_cbranch_execz .LBB16_88
; %bb.85:
	v_cmp_eq_u32_e32 vcc, v18, v10
                                        ; implicit-def: $vgpr6
	s_and_saveexec_b64 s[28:29], vcc
	s_xor_b64 s[28:29], exec, s[28:29]
; %bb.86:
	s_mov_b64 s[12:13], exec
	v_add_u32_e32 v6, v14, v16
; %bb.87:
	s_or_b64 exec, exec, s[28:29]
	s_and_b64 s[12:13], s[12:13], exec
.LBB16_88:
	s_or_saveexec_b64 s[4:5], s[4:5]
	v_mov_b32_e32 v8, 0
	v_mov_b32_e32 v9, 0
	v_add_u32_e32 v34, v14, v7
	v_lshl_add_u32 v18, v18, 4, v45
	s_xor_b64 exec, exec, s[4:5]
	s_cbranch_execz .LBB16_90
; %bb.89:
	ds_read_b128 v[6:9], v34
	s_or_b64 s[12:13], s[12:13], exec
	s_waitcnt lgkmcnt(0)
	v_xor_b32_e32 v9, 0x80000000, v9
	ds_write_b64 v18, v[6:7]
	v_mov_b32_e32 v6, v18
.LBB16_90:
	s_or_b64 exec, exec, s[4:5]
	v_mul_u32_u24_e32 v7, 0x210, v19
	s_and_saveexec_b64 s[4:5], s[12:13]
; %bb.91:
	ds_write_b64 v6, v[8:9] offset:8
; %bb.92:
	s_or_b64 exec, exec, s[4:5]
	s_mov_b64 s[4:5], 0
	v_add_u32_e32 v47, v14, v7
                                        ; implicit-def: $vgpr8_vgpr9
                                        ; implicit-def: $vgpr23
	s_and_saveexec_b64 s[12:13], s[14:15]
	s_xor_b64 s[12:13], exec, s[12:13]
	s_cbranch_execnz .LBB16_132
; %bb.93:
	s_andn2_saveexec_b64 s[12:13], s[12:13]
	s_cbranch_execnz .LBB16_133
.LBB16_94:
	s_or_b64 exec, exec, s[12:13]
	s_and_saveexec_b64 s[12:13], s[4:5]
.LBB16_95:
	ds_write_b64 v23, v[8:9] offset:8
.LBB16_96:
	s_or_b64 exec, exec, s[12:13]
	s_mov_b64 s[4:5], 0
                                        ; implicit-def: $vgpr19
	s_and_saveexec_b64 s[12:13], s[8:9]
	s_xor_b64 s[8:9], exec, s[12:13]
	s_cbranch_execz .LBB16_100
; %bb.97:
	v_cmp_eq_u32_e32 vcc, v20, v10
                                        ; implicit-def: $vgpr19
	s_and_saveexec_b64 s[12:13], vcc
; %bb.98:
	s_mov_b64 s[4:5], exec
	v_add_u32_e32 v19, v14, v16
; %bb.99:
	s_or_b64 exec, exec, s[12:13]
	s_and_b64 s[4:5], s[4:5], exec
.LBB16_100:
	s_or_saveexec_b64 s[8:9], s[8:9]
	v_mov_b32_e32 v8, 0
	v_mov_b32_e32 v9, 0
	s_xor_b64 exec, exec, s[8:9]
	s_cbranch_execz .LBB16_102
; %bb.101:
	ds_read_b128 v[6:9], v47 offset:528
	v_add_u32_e32 v19, 32, v18
	s_or_b64 s[4:5], s[4:5], exec
	s_waitcnt lgkmcnt(0)
	v_xor_b32_e32 v9, 0x80000000, v9
	ds_write_b64 v18, v[6:7] offset:32
.LBB16_102:
	s_or_b64 exec, exec, s[8:9]
	s_and_saveexec_b64 s[8:9], s[4:5]
; %bb.103:
	ds_write_b64 v19, v[8:9] offset:8
; %bb.104:
	s_or_b64 exec, exec, s[8:9]
	s_mov_b64 s[4:5], 0
                                        ; implicit-def: $vgpr19
	s_and_saveexec_b64 s[8:9], s[10:11]
	s_xor_b64 s[8:9], exec, s[8:9]
	s_cbranch_execz .LBB16_108
; %bb.105:
	v_cmp_eq_u32_e32 vcc, v21, v10
                                        ; implicit-def: $vgpr19
	s_and_saveexec_b64 s[10:11], vcc
; %bb.106:
	s_mov_b64 s[4:5], exec
	v_add_u32_e32 v19, v14, v16
; %bb.107:
	s_or_b64 exec, exec, s[10:11]
	s_and_b64 s[4:5], s[4:5], exec
                                        ; implicit-def: $vgpr18
.LBB16_108:
	s_or_saveexec_b64 s[8:9], s[8:9]
	v_mov_b32_e32 v8, 0
	v_mov_b32_e32 v9, 0
	s_xor_b64 exec, exec, s[8:9]
	s_cbranch_execz .LBB16_110
; %bb.109:
	ds_read_b128 v[6:9], v47 offset:1056
	v_add_u32_e32 v19, 48, v18
	s_or_b64 s[4:5], s[4:5], exec
	s_waitcnt lgkmcnt(0)
	v_xor_b32_e32 v9, 0x80000000, v9
	ds_write_b64 v18, v[6:7] offset:48
.LBB16_110:
	s_or_b64 exec, exec, s[8:9]
	v_add_u32_e32 v16, 0x4700, v22
	s_and_saveexec_b64 s[8:9], s[4:5]
; %bb.111:
	ds_write_b64 v19, v[8:9] offset:8
; %bb.112:
	s_or_b64 exec, exec, s[8:9]
	s_waitcnt lgkmcnt(0)
	s_barrier
	ds_read_b128 v[6:9], v34
	ds_read_b128 v[18:21], v16 offset:512
	ds_read_b128 v[22:25], v16 offset:528
	;; [unrolled: 1-line block ×3, first 2 shown]
	ds_read_b128 v[30:33], v47
	ds_read_b128 v[48:51], v16 offset:544
	ds_read_b128 v[52:55], v47 offset:528
	v_cmp_eq_u32_e64 s[4:5], 1, v13
	s_waitcnt lgkmcnt(5)
	v_mul_f64 v[35:36], v[20:21], v[8:9]
	v_mul_f64 v[8:9], v[18:19], v[8:9]
	s_waitcnt lgkmcnt(2)
	v_mul_f64 v[42:43], v[24:25], v[32:33]
	v_mul_f64 v[32:33], v[22:23], v[32:33]
	v_fma_f64 v[18:19], v[18:19], v[6:7], -v[35:36]
	v_fma_f64 v[20:21], v[20:21], v[6:7], v[8:9]
	s_waitcnt lgkmcnt(0)
	v_mul_f64 v[35:36], v[50:51], v[54:55]
	v_mul_f64 v[54:55], v[48:49], v[54:55]
	v_fma_f64 v[22:23], v[22:23], v[30:31], -v[42:43]
	v_fma_f64 v[24:25], v[24:25], v[30:31], v[32:33]
	ds_read_b128 v[6:9], v16 offset:560
	s_waitcnt lgkmcnt(0)
	v_add_f64 v[18:19], v[18:19], 0
	v_add_f64 v[20:21], v[20:21], 0
	v_fma_f64 v[32:33], v[48:49], v[52:53], -v[35:36]
	v_mul_f64 v[30:31], v[8:9], v[28:29]
	v_mul_f64 v[28:29], v[6:7], v[28:29]
	v_fma_f64 v[35:36], v[50:51], v[52:53], v[54:55]
	s_barrier
	v_add_f64 v[18:19], v[18:19], v[22:23]
	v_add_f64 v[20:21], v[20:21], v[24:25]
	v_fma_f64 v[6:7], v[6:7], v[26:27], -v[30:31]
	v_fma_f64 v[8:9], v[8:9], v[26:27], v[28:29]
	v_add_f64 v[18:19], v[18:19], v[32:33]
	v_add_f64 v[20:21], v[20:21], v[35:36]
	;; [unrolled: 1-line block ×4, first 2 shown]
	ds_write_b128 v46, v[6:9]
	s_waitcnt lgkmcnt(0)
	s_barrier
	s_and_saveexec_b64 s[8:9], s[4:5]
	s_cbranch_execz .LBB16_114
; %bb.113:
	ds_read_b128 v[2:5], v45
	ds_read_b128 v[6:9], v45 offset:16
	s_waitcnt lgkmcnt(0)
	v_add_f64 v[18:19], v[6:7], v[2:3]
	v_add_f64 v[20:21], v[8:9], v[4:5]
	ds_read_b128 v[2:5], v45 offset:32
	ds_read_b128 v[6:9], v45 offset:48
	s_waitcnt lgkmcnt(1)
	v_add_f64 v[2:3], v[18:19], v[2:3]
	v_add_f64 v[4:5], v[20:21], v[4:5]
	s_waitcnt lgkmcnt(0)
	v_add_f64 v[18:19], v[2:3], v[6:7]
	v_add_f64 v[20:21], v[4:5], v[8:9]
	ds_read_b128 v[2:5], v45 offset:64
	ds_read_b128 v[6:9], v45 offset:80
	s_waitcnt lgkmcnt(1)
	v_add_f64 v[2:3], v[18:19], v[2:3]
	v_add_f64 v[4:5], v[20:21], v[4:5]
	;; [unrolled: 8-line block ×3, first 2 shown]
	s_waitcnt lgkmcnt(0)
	v_add_f64 v[2:3], v[2:3], v[6:7]
	v_add_f64 v[4:5], v[4:5], v[8:9]
.LBB16_114:
	s_or_b64 exec, exec, s[8:9]
	v_add_co_u32_e32 v6, vcc, 0xfffffe00, v11
	v_addc_co_u32_e32 v7, vcc, -1, v12, vcc
	s_and_b64 vcc, exec, s[26:27]
	s_barrier
	s_cbranch_vccz .LBB16_136
; %bb.115:
	v_sub_co_u32_e32 v8, vcc, v11, v15
	s_ashr_i32 s21, s20, 31
	v_subbrev_co_u32_e32 v9, vcc, 0, v12, vcc
	s_lshl_b64 s[10:11], s[20:21], 4
	v_mov_b32_e32 v18, s11
	v_add_co_u32_e32 v8, vcc, s10, v8
	v_addc_co_u32_e32 v9, vcc, v9, v18, vcc
	v_add_co_u32_e32 v8, vcc, 0xfffffdf0, v8
	v_addc_co_u32_e32 v9, vcc, -1, v9, vcc
	v_cmp_gt_i32_e32 vcc, s20, v10
	s_sub_i32 s14, s20, 32
	v_cndmask_b32_e32 v9, v9, v7, vcc
	v_cndmask_b32_e32 v8, v8, v6, vcc
	v_cmp_le_i32_e64 s[8:9], s14, v13
	s_and_saveexec_b64 s[12:13], s[8:9]
	s_xor_b64 s[8:9], exec, s[12:13]
; %bb.116:
	v_mov_b32_e32 v18, 0
	v_mov_b32_e32 v19, v18
	;; [unrolled: 1-line block ×4, first 2 shown]
	ds_write_b128 v17, v[18:21]
; %bb.117:
	s_andn2_saveexec_b64 s[8:9], s[8:9]
	s_cbranch_execz .LBB16_119
; %bb.118:
	global_load_dwordx4 v[18:21], v[8:9], off
	s_waitcnt vmcnt(0)
	ds_write2_b64 v17, v[18:19], v[20:21] offset1:1
.LBB16_119:
	s_or_b64 exec, exec, s[8:9]
	v_add_u32_e32 v10, 8, v13
	v_cmp_le_i32_e64 s[8:9], s14, v10
	s_and_saveexec_b64 s[12:13], s[8:9]
	s_xor_b64 s[8:9], exec, s[12:13]
	s_cbranch_execz .LBB16_121
; %bb.120:
	s_movk_i32 s12, 0x210
	v_mov_b32_e32 v18, 0
	v_mad_u32_u24 v22, v10, s12, v14
	v_mov_b32_e32 v19, v18
	v_mov_b32_e32 v20, v18
	;; [unrolled: 1-line block ×3, first 2 shown]
	ds_write_b128 v22, v[18:21]
.LBB16_121:
	s_andn2_saveexec_b64 s[12:13], s[8:9]
	s_cbranch_execz .LBB16_123
; %bb.122:
	s_lshl_b64 s[8:9], s[16:17], 7
	v_mov_b32_e32 v19, s9
	v_add_co_u32_e64 v18, s[8:9], s8, v8
	v_addc_co_u32_e64 v19, s[8:9], v9, v19, s[8:9]
	global_load_dwordx4 v[18:21], v[18:19], off
	s_movk_i32 s8, 0x210
	v_mad_u32_u24 v22, v10, s8, v14
	s_waitcnt vmcnt(0)
	ds_write2_b64 v22, v[18:19], v[20:21] offset1:1
.LBB16_123:
	s_or_b64 exec, exec, s[12:13]
	v_add_u32_e32 v19, 16, v13
	v_cmp_le_i32_e64 s[8:9], s14, v19
	s_and_saveexec_b64 s[12:13], s[8:9]
	s_xor_b64 s[8:9], exec, s[12:13]
	s_cbranch_execz .LBB16_125
; %bb.124:
	s_movk_i32 s12, 0x210
	v_mov_b32_e32 v20, 0
	v_mad_u32_u24 v18, v19, s12, v14
	v_mov_b32_e32 v21, v20
	v_mov_b32_e32 v22, v20
	;; [unrolled: 1-line block ×3, first 2 shown]
	ds_write_b128 v18, v[20:23]
.LBB16_125:
	s_andn2_saveexec_b64 s[12:13], s[8:9]
	s_cbranch_execz .LBB16_127
; %bb.126:
	s_lshl_b64 s[8:9], s[16:17], 8
	v_mov_b32_e32 v18, s9
	v_add_co_u32_e64 v20, s[8:9], s8, v8
	v_addc_co_u32_e64 v21, s[8:9], v9, v18, s[8:9]
	global_load_dwordx4 v[20:23], v[20:21], off
	s_movk_i32 s8, 0x210
	v_mad_u32_u24 v18, v19, s8, v14
	s_waitcnt vmcnt(0)
	ds_write2_b64 v18, v[20:21], v[22:23] offset1:1
.LBB16_127:
	s_or_b64 exec, exec, s[12:13]
	v_add_u32_e32 v18, 24, v13
	v_cmp_le_i32_e64 s[8:9], s14, v18
	s_and_saveexec_b64 s[12:13], s[8:9]
	s_xor_b64 s[8:9], exec, s[12:13]
	s_cbranch_execz .LBB16_129
; %bb.128:
	s_movk_i32 s12, 0x210
	v_mov_b32_e32 v20, 0
	v_mad_u32_u24 v24, v18, s12, v14
	v_mov_b32_e32 v21, v20
	v_mov_b32_e32 v22, v20
	;; [unrolled: 1-line block ×3, first 2 shown]
	ds_write_b128 v24, v[20:23]
.LBB16_129:
	s_andn2_saveexec_b64 s[8:9], s[8:9]
	s_cbranch_execz .LBB16_131
; %bb.130:
	v_mov_b32_e32 v20, 0x180
	v_mad_u64_u32 v[20:21], s[12:13], s16, v20, v[8:9]
	s_mul_i32 s12, s17, 0x180
	v_add_u32_e32 v21, s12, v21
	global_load_dwordx4 v[20:23], v[20:21], off
	s_movk_i32 s12, 0x210
	v_mad_u32_u24 v24, v18, s12, v14
	s_waitcnt vmcnt(0)
	ds_write2_b64 v24, v[20:21], v[22:23] offset1:1
.LBB16_131:
	s_or_b64 exec, exec, s[8:9]
	v_add_co_u32_e64 v8, s[8:9], v8, v15
	v_addc_co_u32_e64 v9, s[8:9], 0, v9, s[8:9]
	v_mov_b32_e32 v15, s11
	v_subrev_co_u32_e64 v8, s[8:9], s10, v8
	v_subb_co_u32_e64 v9, s[8:9], v9, v15, s[8:9]
	v_add_co_u32_e64 v8, s[8:9], 16, v8
	v_addc_co_u32_e64 v9, s[8:9], 0, v9, s[8:9]
	v_cndmask_b32_e32 v43, v9, v7, vcc
	v_cndmask_b32_e32 v42, v8, v6, vcc
	s_branch .LBB16_138
.LBB16_132:
	ds_read_b128 v[6:9], v47
	s_mov_b64 s[4:5], exec
	v_add_u32_e32 v23, 16, v18
                                        ; implicit-def: $vgpr19
	s_waitcnt lgkmcnt(0)
	v_xor_b32_e32 v9, 0x80000000, v9
	ds_write_b64 v18, v[6:7] offset:16
	s_andn2_saveexec_b64 s[12:13], s[12:13]
	s_cbranch_execz .LBB16_94
.LBB16_133:
	v_cmp_eq_u32_e32 vcc, v19, v10
	s_mov_b64 s[14:15], s[4:5]
                                        ; implicit-def: $vgpr23
	s_and_saveexec_b64 s[28:29], vcc
; %bb.134:
	v_add_u32_e32 v23, v14, v16
	s_or_b64 s[14:15], s[4:5], exec
; %bb.135:
	s_or_b64 exec, exec, s[28:29]
	v_mov_b32_e32 v8, 0
	s_andn2_b64 s[4:5], s[4:5], exec
	s_and_b64 s[14:15], s[14:15], exec
	v_mov_b32_e32 v9, 0
	s_or_b64 s[4:5], s[4:5], s[14:15]
	s_or_b64 exec, exec, s[12:13]
	s_and_saveexec_b64 s[12:13], s[4:5]
	s_cbranch_execnz .LBB16_95
	s_branch .LBB16_96
.LBB16_136:
                                        ; implicit-def: $vgpr42_vgpr43
                                        ; implicit-def: $vgpr10
                                        ; implicit-def: $vgpr19
                                        ; implicit-def: $vgpr18
	s_cbranch_execz .LBB16_138
; %bb.137:
	s_lshl_b64 s[8:9], s[16:17], 7
	v_mov_b32_e32 v15, s9
	v_add_co_u32_e32 v8, vcc, s8, v11
	v_addc_co_u32_e32 v9, vcc, v12, v15, vcc
	global_load_dwordx4 v[20:23], v[6:7], off
	global_load_dwordx4 v[24:27], v[8:9], off offset:-512
	v_add_co_u32_e32 v8, vcc, s8, v8
	v_addc_co_u32_e32 v9, vcc, v9, v15, vcc
	v_add_co_u32_e32 v10, vcc, s8, v8
	v_addc_co_u32_e32 v11, vcc, v9, v15, vcc
	global_load_dwordx4 v[28:31], v[8:9], off offset:-512
	global_load_dwordx4 v[48:51], v[10:11], off offset:-512
	v_add_u32_e32 v10, 8, v13
	s_movk_i32 s8, 0x210
	v_mov_b32_e32 v43, v7
	v_add_u32_e32 v19, 16, v13
	v_add_u32_e32 v18, 24, v13
	v_mad_u32_u24 v8, v10, s8, v14
	v_mov_b32_e32 v42, v6
	v_add_u32_e32 v9, 0x1080, v8
	v_add_u32_e32 v11, 0x2100, v8
	s_waitcnt vmcnt(3)
	ds_write2_b64 v17, v[20:21], v[22:23] offset1:1
	s_waitcnt vmcnt(2)
	ds_write2_b64 v8, v[24:25], v[26:27] offset1:1
	;; [unrolled: 2-line block ×4, first 2 shown]
.LBB16_138:
	v_lshlrev_b32_e32 v11, 4, v13
	v_add_u32_e32 v6, v45, v11
	s_waitcnt lgkmcnt(0)
	s_barrier
	ds_read_b128 v[6:9], v6
	ds_read_b128 v[11:14], v11 offset:18176
	v_lshlrev_b32_e32 v10, 4, v10
	v_add_u32_e32 v15, v45, v10
	ds_read_b128 v[20:23], v15
	ds_read_b128 v[24:27], v10 offset:18176
	v_lshlrev_b32_e32 v10, 4, v19
	s_waitcnt lgkmcnt(2)
	v_mul_f64 v[32:33], v[8:9], v[13:14]
	v_mul_f64 v[8:9], v[8:9], v[11:12]
	v_add_u32_e32 v15, v45, v10
	s_waitcnt lgkmcnt(0)
	v_mul_f64 v[35:36], v[22:23], v[26:27]
	ds_read_b128 v[28:31], v15
	ds_read_b128 v[48:51], v10 offset:18176
	v_mul_f64 v[22:23], v[22:23], v[24:25]
	v_fma_f64 v[10:11], v[6:7], v[11:12], v[32:33]
	v_fma_f64 v[14:15], v[6:7], v[13:14], -v[8:9]
	s_waitcnt lgkmcnt(0)
	v_mul_f64 v[32:33], v[30:31], v[50:51]
	v_fma_f64 v[24:25], v[20:21], v[24:25], v[35:36]
	v_mul_f64 v[30:31], v[30:31], v[48:49]
	v_add_f64 v[35:36], v[10:11], 0
	v_lshlrev_b32_e32 v10, 4, v18
	v_fma_f64 v[17:18], v[20:21], v[26:27], -v[22:23]
	v_add_f64 v[14:15], v[14:15], 0
	v_add_u32_e32 v6, v45, v10
	ds_read_b128 v[6:9], v6
	ds_read_b128 v[10:13], v10 offset:18176
	v_fma_f64 v[21:22], v[28:29], v[48:49], v[32:33]
	v_add_f64 v[19:20], v[35:36], v[24:25]
	v_fma_f64 v[25:26], v[28:29], v[50:51], -v[30:31]
	s_waitcnt lgkmcnt(0)
	v_mul_f64 v[23:24], v[8:9], v[12:13]
	v_mul_f64 v[8:9], v[8:9], v[10:11]
	v_add_f64 v[14:15], v[14:15], v[17:18]
	v_add_f64 v[19:20], v[19:20], v[21:22]
	v_fma_f64 v[17:18], v[6:7], v[10:11], v[23:24]
	v_fma_f64 v[27:28], v[6:7], v[12:13], -v[8:9]
	v_add_f64 v[14:15], v[14:15], v[25:26]
	ds_read_b128 v[30:33], v16 offset:512
	ds_read_b128 v[22:25], v16 offset:528
	;; [unrolled: 1-line block ×4, first 2 shown]
	v_add_f64 v[48:49], v[19:20], v[17:18]
	v_add_f64 v[50:51], v[14:15], v[27:28]
	ds_read_b128 v[26:29], v47
	ds_read_b128 v[18:21], v47 offset:528
	ds_read_b128 v[34:37], v34
	ds_read_b128 v[14:17], v47 offset:1056
	s_waitcnt lgkmcnt(0)
	s_barrier
	ds_write_b128 v46, v[48:51]
	s_waitcnt lgkmcnt(0)
	s_barrier
	s_and_saveexec_b64 s[8:9], s[4:5]
	s_cbranch_execz .LBB16_140
; %bb.139:
	ds_read_b128 v[47:50], v45
	ds_read_b128 v[51:54], v45 offset:16
	s_waitcnt lgkmcnt(1)
	v_add_f64 v[2:3], v[2:3], v[47:48]
	v_add_f64 v[4:5], v[4:5], v[49:50]
	s_waitcnt lgkmcnt(0)
	v_add_f64 v[51:52], v[2:3], v[51:52]
	v_add_f64 v[53:54], v[4:5], v[53:54]
	ds_read_b128 v[2:5], v45 offset:32
	ds_read_b128 v[47:50], v45 offset:48
	s_waitcnt lgkmcnt(1)
	v_add_f64 v[2:3], v[51:52], v[2:3]
	v_add_f64 v[4:5], v[53:54], v[4:5]
	s_waitcnt lgkmcnt(0)
	v_add_f64 v[51:52], v[2:3], v[47:48]
	v_add_f64 v[53:54], v[4:5], v[49:50]
	ds_read_b128 v[2:5], v45 offset:64
	;; [unrolled: 8-line block ×3, first 2 shown]
	ds_read_b128 v[47:50], v45 offset:112
	s_waitcnt lgkmcnt(1)
	v_add_f64 v[2:3], v[51:52], v[2:3]
	v_add_f64 v[4:5], v[53:54], v[4:5]
	s_waitcnt lgkmcnt(0)
	v_add_f64 v[2:3], v[2:3], v[47:48]
	v_add_f64 v[4:5], v[4:5], v[49:50]
.LBB16_140:
	s_or_b64 exec, exec, s[8:9]
	v_mul_f64 v[47:48], v[32:33], v[36:37]
	v_mul_f64 v[36:37], v[30:31], v[36:37]
	;; [unrolled: 1-line block ×4, first 2 shown]
	s_barrier
	v_fma_f64 v[30:31], v[30:31], v[34:35], -v[47:48]
	v_fma_f64 v[32:33], v[32:33], v[34:35], v[36:37]
	v_mul_f64 v[34:35], v[12:13], v[20:21]
	v_mul_f64 v[20:21], v[10:11], v[20:21]
	v_fma_f64 v[22:23], v[22:23], v[26:27], -v[49:50]
	v_fma_f64 v[24:25], v[24:25], v[26:27], v[28:29]
	v_add_f64 v[26:27], v[30:31], 0
	v_add_f64 v[28:29], v[32:33], 0
	v_mul_f64 v[30:31], v[8:9], v[16:17]
	v_mul_f64 v[16:17], v[6:7], v[16:17]
	v_fma_f64 v[10:11], v[10:11], v[18:19], -v[34:35]
	v_fma_f64 v[12:13], v[12:13], v[18:19], v[20:21]
	v_add_f64 v[18:19], v[26:27], v[22:23]
	v_add_f64 v[20:21], v[28:29], v[24:25]
	v_fma_f64 v[6:7], v[6:7], v[14:15], -v[30:31]
	v_fma_f64 v[8:9], v[8:9], v[14:15], v[16:17]
	v_add_f64 v[10:11], v[18:19], v[10:11]
	v_add_f64 v[12:13], v[20:21], v[12:13]
	;; [unrolled: 1-line block ×4, first 2 shown]
	ds_write_b128 v46, v[6:9]
	s_waitcnt lgkmcnt(0)
	s_barrier
	s_and_saveexec_b64 s[4:5], s[2:3]
	s_cbranch_execz .LBB16_142
; %bb.141:
	ds_read_b128 v[6:9], v45
	ds_read_b128 v[10:13], v45 offset:16
	s_waitcnt lgkmcnt(1)
	v_add_f64 v[2:3], v[2:3], v[6:7]
	v_add_f64 v[4:5], v[4:5], v[8:9]
	s_waitcnt lgkmcnt(0)
	v_add_f64 v[10:11], v[2:3], v[10:11]
	v_add_f64 v[12:13], v[4:5], v[12:13]
	ds_read_b128 v[2:5], v45 offset:32
	ds_read_b128 v[6:9], v45 offset:48
	s_waitcnt lgkmcnt(1)
	v_add_f64 v[2:3], v[10:11], v[2:3]
	v_add_f64 v[4:5], v[12:13], v[4:5]
	s_waitcnt lgkmcnt(0)
	v_add_f64 v[10:11], v[2:3], v[6:7]
	v_add_f64 v[12:13], v[4:5], v[8:9]
	ds_read_b128 v[2:5], v45 offset:64
	;; [unrolled: 8-line block ×3, first 2 shown]
	ds_read_b128 v[6:9], v45 offset:112
	s_waitcnt lgkmcnt(1)
	v_add_f64 v[2:3], v[10:11], v[2:3]
	v_add_f64 v[4:5], v[12:13], v[4:5]
	s_waitcnt lgkmcnt(0)
	v_add_f64 v[2:3], v[2:3], v[6:7]
	v_add_f64 v[4:5], v[4:5], v[8:9]
.LBB16_142:
	s_or_b64 exec, exec, s[4:5]
	s_mul_hi_u32 s2, s37, s7
	s_mul_i32 s38, s38, s7
	s_add_i32 s2, s2, s38
	s_mul_i32 s4, s37, s7
	s_mul_i32 s2, s2, s33
	s_mul_hi_u32 s3, s4, s33
	s_add_i32 s3, s3, s2
	s_mul_i32 s2, s4, s33
	s_lshl_b64 s[2:3], s[2:3], 4
	s_add_u32 s4, s34, s2
	s_addc_u32 s5, s35, s3
	s_mul_hi_i32 s3, s37, s6
	s_mul_i32 s2, s37, s6
	s_lshl_b64 s[2:3], s[2:3], 4
	s_add_u32 s7, s4, s2
	s_addc_u32 s21, s5, s3
	s_add_i32 s2, s6, 1
	s_cmp_ge_u32 s2, s33
	v_lshlrev_b32_e32 v177, 4, v0
	s_barrier
	s_cbranch_scc1 .LBB16_200
; %bb.143:
	s_mul_i32 s2, s24, s23
	s_mul_hi_u32 s3, s24, s22
	s_add_i32 s2, s3, s2
	s_mul_i32 s3, s25, s22
	s_add_i32 s3, s2, s3
	s_mul_i32 s2, s24, s22
	s_lshl_b64 s[2:3], s[2:3], 4
	v_mov_b32_e32 v6, s3
	v_subrev_co_u32_e32 v179, vcc, s2, v40
	v_subb_co_u32_e32 v180, vcc, v41, v6, vcc
	v_lshrrev_b32_e32 v6, 4, v44
	v_lshlrev_b32_e32 v8, 6, v6
	v_mul_i32_i24_e32 v11, 0xffffffd0, v6
	v_and_b32_e32 v6, 48, v0
	v_and_b32_e32 v7, 15, v0
	v_lshlrev_b32_e32 v10, 6, v1
	s_movk_i32 s4, 0x430
	v_lshlrev_b32_e32 v6, 4, v6
	v_mad_u32_u24 v186, v7, s4, v6
	v_or_b32_e32 v6, 0xf0, v177
	v_add_u32_e32 v9, 0x200, v10
	v_mad_u32_u24 v185, v7, s4, v8
	v_mad_u32_u24 v187, v7, s4, v6
	v_mad_u64_u32 v[7:8], s[4:5], s16, v9, 0
	v_add_u32_e32 v13, 0x530, v10
	v_add_u32_e32 v182, 0x4300, v10
	v_mad_u64_u32 v[8:9], s[4:5], s17, v9, v[8:9]
	v_sub_co_u32_e32 v7, vcc, v7, v38
	v_subb_co_u32_e32 v9, vcc, v8, v39, vcc
	v_or_b32_e32 v12, 8, v7
	v_mad_u64_u32 v[7:8], s[4:5], s16, v13, 0
	v_add_co_u32_e32 v203, vcc, v42, v12
	v_addc_co_u32_e32 v204, vcc, v43, v9, vcc
	v_mad_u64_u32 v[8:9], s[4:5], s17, v13, v[8:9]
	v_sub_co_u32_e32 v9, vcc, v7, v38
	v_add_u32_e32 v13, 0x220, v10
	v_subb_co_u32_e32 v12, vcc, v8, v39, vcc
	v_mad_u64_u32 v[7:8], s[4:5], s16, v13, 0
	v_add_co_u32_e32 v205, vcc, v42, v9
	v_mad_u64_u32 v[8:9], s[4:5], s17, v13, v[8:9]
	v_addc_co_u32_e32 v206, vcc, v43, v12, vcc
	v_sub_co_u32_e32 v9, vcc, v7, v38
	v_add_u32_e32 v13, 0x520, v10
	v_subb_co_u32_e32 v12, vcc, v8, v39, vcc
	v_mad_u64_u32 v[7:8], s[4:5], s16, v13, 0
	v_add_co_u32_e32 v207, vcc, v42, v9
	v_mad_u64_u32 v[8:9], s[4:5], s17, v13, v[8:9]
	v_addc_co_u32_e32 v208, vcc, v43, v12, vcc
	;; [unrolled: 7-line block ×3, first 2 shown]
	v_sub_co_u32_e32 v7, vcc, v7, v38
	v_add_u32_e32 v13, 0x510, v10
	v_subb_co_u32_e32 v9, vcc, v8, v39, vcc
	v_or_b32_e32 v12, 8, v7
	v_mad_u64_u32 v[7:8], s[4:5], s16, v13, 0
	v_add_co_u32_e32 v211, vcc, v42, v12
	v_addc_co_u32_e32 v212, vcc, v43, v9, vcc
	v_mad_u64_u32 v[8:9], s[4:5], s17, v13, v[8:9]
	v_sub_co_u32_e32 v9, vcc, v7, v38
	v_add_u32_e32 v13, 0x230, v10
	v_subb_co_u32_e32 v12, vcc, v8, v39, vcc
	v_mad_u64_u32 v[7:8], s[4:5], s16, v13, 0
	v_add_co_u32_e32 v213, vcc, v42, v9
	v_mad_u64_u32 v[8:9], s[4:5], s17, v13, v[8:9]
	v_addc_co_u32_e32 v214, vcc, v43, v12, vcc
	v_sub_co_u32_e32 v7, vcc, v7, v38
	v_add_u32_e32 v13, 0x500, v10
	v_subb_co_u32_e32 v9, vcc, v8, v39, vcc
	v_or_b32_e32 v12, 8, v7
	v_mad_u64_u32 v[7:8], s[4:5], s16, v13, 0
	v_add_co_u32_e32 v215, vcc, v42, v12
	v_addc_co_u32_e32 v216, vcc, v43, v9, vcc
	v_mad_u64_u32 v[8:9], s[4:5], s17, v13, v[8:9]
	v_sub_co_u32_e32 v9, vcc, v7, v38
	v_add_u32_e32 v13, 0x300, v10
	v_subb_co_u32_e32 v12, vcc, v8, v39, vcc
	v_mad_u64_u32 v[7:8], s[4:5], s16, v13, 0
	v_add_co_u32_e32 v217, vcc, v42, v9
	v_mad_u64_u32 v[8:9], s[4:5], s17, v13, v[8:9]
	v_addc_co_u32_e32 v218, vcc, v43, v12, vcc
	;; [unrolled: 15-line block ×5, first 2 shown]
	v_sub_co_u32_e32 v7, vcc, v7, v38
	v_add_u32_e32 v10, 0x400, v10
	v_subb_co_u32_e32 v9, vcc, v8, v39, vcc
	v_or_b32_e32 v12, 8, v7
	v_mad_u64_u32 v[7:8], s[4:5], s16, v10, 0
	v_add_co_u32_e32 v231, vcc, v42, v12
	v_addc_co_u32_e32 v232, vcc, v43, v9, vcc
	v_mad_u64_u32 v[8:9], s[4:5], s17, v10, v[8:9]
	v_sub_co_u32_e32 v7, vcc, v7, v38
	v_subb_co_u32_e32 v8, vcc, v8, v39, vcc
	v_or_b32_e32 v7, 8, v7
	v_lshlrev_b32_e32 v178, 2, v1
	s_movk_i32 s2, 0x10c0
	v_add_co_u32_e32 v233, vcc, v42, v7
	s_add_i32 s23, s33, -2
	v_add_u32_e32 v181, 0x4300, v177
	v_add_u32_e32 v183, 0x4700, v177
	v_mad_u32_u24 v184, v1, s2, v177
	v_cmp_gt_u32_e64 s[2:3], 64, v44
	v_or_b32_e32 v188, 1, v178
	v_or_b32_e32 v189, 2, v178
	;; [unrolled: 1-line block ×3, first 2 shown]
	v_add_u32_e32 v191, 16, v178
	v_add_u32_e32 v192, 17, v178
	;; [unrolled: 1-line block ×12, first 2 shown]
	s_add_i32 s22, s22, 64
	v_mov_b32_e32 v6, 0
	s_lshl_b64 s[10:11], s[16:17], 10
	v_addc_co_u32_e32 v234, vcc, v43, v8, vcc
	v_add_u32_e32 v235, v185, v11
	s_cmp_eq_u32 s23, s6
	s_cselect_b32 s16, s36, 0
	s_and_saveexec_b64 s[4:5], s[0:1]
	s_cbranch_execz .LBB16_148
.LBB16_144:
	s_cmp_lg_u32 s16, 0
	s_cselect_b64 s[8:9], -1, 0
	v_cmp_le_i32_e32 vcc, s16, v0
	s_and_b64 s[8:9], s[8:9], vcc
	s_and_saveexec_b64 s[12:13], s[8:9]
	s_xor_b64 s[8:9], exec, s[12:13]
; %bb.145:
	v_mov_b32_e32 v7, v6
	v_mov_b32_e32 v8, v6
	;; [unrolled: 1-line block ×3, first 2 shown]
	ds_write_b128 v181, v[6:9]
; %bb.146:
	s_andn2_saveexec_b64 s[8:9], s[8:9]
	s_cbranch_execz .LBB16_148
; %bb.147:
	s_ashr_i32 s8, s22, 31
	s_mul_hi_u32 s9, s24, s22
	s_mul_i32 s8, s24, s8
	s_add_i32 s8, s9, s8
	s_mul_i32 s9, s25, s22
	s_add_i32 s9, s8, s9
	s_mul_i32 s8, s24, s22
	s_lshl_b64 s[8:9], s[8:9], 4
	v_mov_b32_e32 v8, s9
	v_add_co_u32_e32 v7, vcc, s8, v179
	v_addc_co_u32_e32 v8, vcc, v180, v8, vcc
	global_load_dwordx4 v[7:10], v[7:8], off
	s_waitcnt vmcnt(0)
	ds_write2_b64 v181, v[7:8], v[9:10] offset1:1
.LBB16_148:                             ; =>This Inner Loop Header: Depth=1
	s_or_b64 exec, exec, s[4:5]
	s_cmp_eq_u32 s16, 0
	v_add_co_u32_e32 v19, vcc, v203, v177
	s_cselect_b64 s[12:13], -1, 0
	s_cmp_lg_u32 s16, 0
	v_addc_co_u32_e32 v20, vcc, 0, v204, vcc
	s_cselect_b64 s[8:9], -1, 0
	s_and_b64 vcc, exec, s[8:9]
	s_waitcnt lgkmcnt(0)
	s_barrier
	s_cbranch_vccz .LBB16_156
; %bb.149:                              ;   in Loop: Header=BB16_148 Depth=1
	v_mov_b32_e32 v11, 0
	v_mov_b32_e32 v7, 0
	;; [unrolled: 1-line block ×6, first 2 shown]
	v_cmp_gt_i32_e32 vcc, s16, v178
	s_and_saveexec_b64 s[4:5], vcc
	s_cbranch_execz .LBB16_151
; %bb.150:                              ;   in Loop: Header=BB16_148 Depth=1
	global_load_dwordx4 v[7:10], v[19:20], off offset:-8
.LBB16_151:                             ;   in Loop: Header=BB16_148 Depth=1
	s_or_b64 exec, exec, s[4:5]
	v_mov_b32_e32 v13, 0
	v_mov_b32_e32 v14, 0
	v_cmp_gt_i32_e32 vcc, s16, v188
	s_and_saveexec_b64 s[4:5], vcc
	s_cbranch_execz .LBB16_153
; %bb.152:                              ;   in Loop: Header=BB16_148 Depth=1
	v_add_co_u32_e32 v11, vcc, v211, v177
	v_addc_co_u32_e32 v12, vcc, 0, v212, vcc
	global_load_dwordx4 v[11:14], v[11:12], off offset:-8
.LBB16_153:                             ;   in Loop: Header=BB16_148 Depth=1
	s_or_b64 exec, exec, s[4:5]
	v_mov_b32_e32 v15, 0
	v_mov_b32_e32 v17, 0
	;; [unrolled: 1-line block ×4, first 2 shown]
	v_cmp_gt_i32_e32 vcc, s16, v189
	s_and_saveexec_b64 s[4:5], vcc
	s_cbranch_execz .LBB16_155
; %bb.154:                              ;   in Loop: Header=BB16_148 Depth=1
	v_add_co_u32_e32 v15, vcc, v207, v177
	v_addc_co_u32_e32 v16, vcc, 0, v208, vcc
	global_load_dwordx4 v[15:18], v[15:16], off
.LBB16_155:                             ;   in Loop: Header=BB16_148 Depth=1
	s_or_b64 exec, exec, s[4:5]
	v_cmp_gt_i32_e64 s[4:5], s16, v190
	s_branch .LBB16_158
.LBB16_156:                             ;   in Loop: Header=BB16_148 Depth=1
	s_mov_b64 s[4:5], 0
                                        ; implicit-def: $vgpr17_vgpr18
                                        ; implicit-def: $vgpr13_vgpr14
                                        ; implicit-def: $vgpr9_vgpr10
	s_cbranch_execz .LBB16_158
; %bb.157:                              ;   in Loop: Header=BB16_148 Depth=1
	s_waitcnt vmcnt(0)
	v_add_co_u32_e32 v11, vcc, v211, v177
	v_addc_co_u32_e32 v12, vcc, 0, v212, vcc
	v_add_co_u32_e32 v15, vcc, v207, v177
	v_addc_co_u32_e32 v16, vcc, 0, v208, vcc
	global_load_dwordx4 v[7:10], v[19:20], off offset:-8
	s_or_b64 s[4:5], s[4:5], exec
	global_load_dwordx4 v[11:14], v[11:12], off offset:-8
	s_nop 0
	global_load_dwordx4 v[15:18], v[15:16], off
.LBB16_158:                             ;   in Loop: Header=BB16_148 Depth=1
	v_mov_b32_e32 v19, 0
	v_mov_b32_e32 v21, 0
	;; [unrolled: 1-line block ×4, first 2 shown]
	s_and_saveexec_b64 s[14:15], s[4:5]
	s_cbranch_execz .LBB16_160
; %bb.159:                              ;   in Loop: Header=BB16_148 Depth=1
	v_add_co_u32_e32 v19, vcc, v215, v177
	v_addc_co_u32_e32 v20, vcc, 0, v216, vcc
	global_load_dwordx4 v[19:22], v[19:20], off offset:-8
.LBB16_160:                             ;   in Loop: Header=BB16_148 Depth=1
	s_or_b64 exec, exec, s[14:15]
	ds_read_b128 v[23:26], v183
	s_andn2_b64 vcc, exec, s[8:9]
	s_waitcnt vmcnt(0) lgkmcnt(0)
	v_mul_f64 v[27:28], v[9:10], v[25:26]
	v_mul_f64 v[29:30], v[9:10], v[23:24]
	;; [unrolled: 1-line block ×8, first 2 shown]
	v_fma_f64 v[27:28], v[7:8], v[23:24], v[27:28]
	v_fma_f64 v[29:30], v[7:8], v[25:26], -v[29:30]
	v_fma_f64 v[31:32], v[11:12], v[23:24], v[31:32]
	v_fma_f64 v[33:34], v[11:12], v[25:26], -v[33:34]
	;; [unrolled: 2-line block ×4, first 2 shown]
	ds_read_b128 v[47:50], v182
	ds_read_b128 v[43:46], v182 offset:16
	ds_read_b128 v[35:38], v182 offset:32
	;; [unrolled: 1-line block ×3, first 2 shown]
	ds_write_b128 v184, v[27:30]
	ds_write_b128 v184, v[31:34] offset:1072
	ds_write_b128 v184, v[39:42] offset:2144
	;; [unrolled: 1-line block ×3, first 2 shown]
	s_waitcnt lgkmcnt(0)
	s_barrier
	ds_read_b128 v[95:98], v185
	ds_read_b128 v[91:94], v185 offset:16
	ds_read_b128 v[87:90], v185 offset:32
	;; [unrolled: 1-line block ×3, first 2 shown]
	v_cndmask_b32_e64 v27, 0, 1, s[8:9]
	v_add_co_u32_e64 v51, s[8:9], v219, v177
	v_cmp_ne_u32_e64 s[4:5], 1, v27
	v_addc_co_u32_e64 v52, s[8:9], 0, v220, s[8:9]
	s_waitcnt lgkmcnt(0)
	s_barrier
	s_cbranch_vccnz .LBB16_168
; %bb.161:                              ;   in Loop: Header=BB16_148 Depth=1
	v_mov_b32_e32 v27, 0
	v_mov_b32_e32 v31, 0
	;; [unrolled: 1-line block ×6, first 2 shown]
	v_cmp_gt_i32_e32 vcc, s16, v191
	s_and_saveexec_b64 s[8:9], vcc
	s_cbranch_execz .LBB16_163
; %bb.162:                              ;   in Loop: Header=BB16_148 Depth=1
	global_load_dwordx4 v[31:34], v[51:52], off offset:-8
.LBB16_163:                             ;   in Loop: Header=BB16_148 Depth=1
	s_or_b64 exec, exec, s[8:9]
	v_mov_b32_e32 v29, 0
	v_mov_b32_e32 v30, 0
	v_cmp_gt_i32_e32 vcc, s16, v192
	s_and_saveexec_b64 s[8:9], vcc
	s_cbranch_execz .LBB16_165
; %bb.164:                              ;   in Loop: Header=BB16_148 Depth=1
	v_add_co_u32_e32 v27, vcc, v223, v177
	v_addc_co_u32_e32 v28, vcc, 0, v224, vcc
	global_load_dwordx4 v[27:30], v[27:28], off offset:-8
.LBB16_165:                             ;   in Loop: Header=BB16_148 Depth=1
	s_or_b64 exec, exec, s[8:9]
	v_mov_b32_e32 v39, 0
	v_mov_b32_e32 v41, 0
	;; [unrolled: 1-line block ×4, first 2 shown]
	v_cmp_gt_i32_e32 vcc, s16, v193
	s_and_saveexec_b64 s[8:9], vcc
	s_cbranch_execz .LBB16_167
; %bb.166:                              ;   in Loop: Header=BB16_148 Depth=1
	v_add_co_u32_e32 v39, vcc, v227, v177
	v_addc_co_u32_e32 v40, vcc, 0, v228, vcc
	global_load_dwordx4 v[39:42], v[39:40], off offset:-8
.LBB16_167:                             ;   in Loop: Header=BB16_148 Depth=1
	s_or_b64 exec, exec, s[8:9]
	v_cmp_gt_i32_e64 s[8:9], s16, v194
	s_branch .LBB16_170
.LBB16_168:                             ;   in Loop: Header=BB16_148 Depth=1
	s_mov_b64 s[8:9], 0
                                        ; implicit-def: $vgpr41_vgpr42
                                        ; implicit-def: $vgpr29_vgpr30
                                        ; implicit-def: $vgpr33_vgpr34
	s_cbranch_execz .LBB16_170
; %bb.169:                              ;   in Loop: Header=BB16_148 Depth=1
	s_waitcnt vmcnt(0)
	v_add_co_u32_e32 v27, vcc, v223, v177
	v_addc_co_u32_e32 v28, vcc, 0, v224, vcc
	v_add_co_u32_e32 v39, vcc, v227, v177
	v_addc_co_u32_e32 v40, vcc, 0, v228, vcc
	global_load_dwordx4 v[31:34], v[51:52], off offset:-8
	s_or_b64 s[8:9], s[8:9], exec
	global_load_dwordx4 v[27:30], v[27:28], off offset:-8
	s_nop 0
	global_load_dwordx4 v[39:42], v[39:40], off offset:-8
.LBB16_170:                             ;   in Loop: Header=BB16_148 Depth=1
	v_mov_b32_e32 v51, 0
	v_mov_b32_e32 v53, 0
	;; [unrolled: 1-line block ×4, first 2 shown]
	s_and_saveexec_b64 s[14:15], s[8:9]
	s_cbranch_execz .LBB16_172
; %bb.171:                              ;   in Loop: Header=BB16_148 Depth=1
	v_add_co_u32_e32 v51, vcc, v231, v177
	v_addc_co_u32_e32 v52, vcc, 0, v232, vcc
	global_load_dwordx4 v[51:54], v[51:52], off offset:-8
.LBB16_172:                             ;   in Loop: Header=BB16_148 Depth=1
	s_or_b64 exec, exec, s[14:15]
	ds_read_b128 v[55:58], v183
	s_and_b64 vcc, exec, s[4:5]
	s_waitcnt vmcnt(0) lgkmcnt(0)
	v_mul_f64 v[59:60], v[33:34], v[57:58]
	v_mul_f64 v[61:62], v[33:34], v[55:56]
	;; [unrolled: 1-line block ×8, first 2 shown]
	v_fma_f64 v[63:64], v[31:32], v[55:56], v[59:60]
	v_fma_f64 v[65:66], v[31:32], v[57:58], -v[61:62]
	v_fma_f64 v[67:68], v[27:28], v[55:56], v[67:68]
	v_fma_f64 v[69:70], v[27:28], v[57:58], -v[69:70]
	v_fma_f64 v[79:80], v[39:40], v[55:56], v[71:72]
	v_fma_f64 v[81:82], v[39:40], v[57:58], -v[73:74]
	v_fma_f64 v[99:100], v[51:52], v[55:56], v[75:76]
	v_fma_f64 v[101:102], v[51:52], v[57:58], -v[77:78]
	ds_read_b128 v[75:78], v182 offset:256
	ds_read_b128 v[71:74], v182 offset:272
	;; [unrolled: 1-line block ×4, first 2 shown]
	ds_write_b128 v184, v[63:66]
	ds_write_b128 v184, v[67:70] offset:1072
	ds_write_b128 v184, v[79:82] offset:2144
	;; [unrolled: 1-line block ×3, first 2 shown]
	s_waitcnt lgkmcnt(0)
	s_barrier
	ds_read_b128 v[147:150], v185
	ds_read_b128 v[139:142], v185 offset:16
	ds_read_b128 v[135:138], v185 offset:32
	;; [unrolled: 1-line block ×3, first 2 shown]
	v_add_co_u32_e64 v99, s[8:9], v233, v177
	v_addc_co_u32_e64 v100, s[8:9], 0, v234, s[8:9]
	s_waitcnt lgkmcnt(0)
	s_barrier
	s_cbranch_vccnz .LBB16_180
; %bb.173:                              ;   in Loop: Header=BB16_148 Depth=1
	v_mov_b32_e32 v67, 0
	v_mov_b32_e32 v63, 0
	;; [unrolled: 1-line block ×6, first 2 shown]
	v_cmp_gt_i32_e32 vcc, s16, v195
	s_and_saveexec_b64 s[8:9], vcc
	s_cbranch_execz .LBB16_175
; %bb.174:                              ;   in Loop: Header=BB16_148 Depth=1
	global_load_dwordx4 v[63:66], v[99:100], off offset:-8
.LBB16_175:                             ;   in Loop: Header=BB16_148 Depth=1
	s_or_b64 exec, exec, s[8:9]
	v_mov_b32_e32 v69, 0
	v_mov_b32_e32 v70, 0
	v_cmp_gt_i32_e32 vcc, s16, v196
	s_and_saveexec_b64 s[8:9], vcc
	s_cbranch_execz .LBB16_177
; %bb.176:                              ;   in Loop: Header=BB16_148 Depth=1
	v_add_co_u32_e32 v67, vcc, v229, v177
	v_addc_co_u32_e32 v68, vcc, 0, v230, vcc
	global_load_dwordx4 v[67:70], v[67:68], off
.LBB16_177:                             ;   in Loop: Header=BB16_148 Depth=1
	s_or_b64 exec, exec, s[8:9]
	v_mov_b32_e32 v79, 0
	v_mov_b32_e32 v81, 0
	;; [unrolled: 1-line block ×4, first 2 shown]
	v_cmp_gt_i32_e32 vcc, s16, v197
	s_and_saveexec_b64 s[8:9], vcc
	s_cbranch_execz .LBB16_179
; %bb.178:                              ;   in Loop: Header=BB16_148 Depth=1
	v_add_co_u32_e32 v79, vcc, v225, v177
	v_addc_co_u32_e32 v80, vcc, 0, v226, vcc
	global_load_dwordx4 v[79:82], v[79:80], off
.LBB16_179:                             ;   in Loop: Header=BB16_148 Depth=1
	s_or_b64 exec, exec, s[8:9]
	v_cmp_gt_i32_e64 s[8:9], s16, v198
	s_branch .LBB16_182
.LBB16_180:                             ;   in Loop: Header=BB16_148 Depth=1
	s_mov_b64 s[8:9], 0
                                        ; implicit-def: $vgpr81_vgpr82
                                        ; implicit-def: $vgpr69_vgpr70
                                        ; implicit-def: $vgpr65_vgpr66
	s_cbranch_execz .LBB16_182
; %bb.181:                              ;   in Loop: Header=BB16_148 Depth=1
	s_waitcnt vmcnt(0)
	v_add_co_u32_e32 v67, vcc, v229, v177
	v_addc_co_u32_e32 v68, vcc, 0, v230, vcc
	v_add_co_u32_e32 v79, vcc, v225, v177
	v_addc_co_u32_e32 v80, vcc, 0, v226, vcc
	global_load_dwordx4 v[63:66], v[99:100], off offset:-8
	s_or_b64 s[8:9], s[8:9], exec
	global_load_dwordx4 v[67:70], v[67:68], off
	s_nop 0
	global_load_dwordx4 v[79:82], v[79:80], off
.LBB16_182:                             ;   in Loop: Header=BB16_148 Depth=1
	v_mov_b32_e32 v99, 0
	v_mov_b32_e32 v101, 0
	;; [unrolled: 1-line block ×4, first 2 shown]
	s_and_saveexec_b64 s[14:15], s[8:9]
	s_cbranch_execz .LBB16_184
; %bb.183:                              ;   in Loop: Header=BB16_148 Depth=1
	v_add_co_u32_e32 v99, vcc, v221, v177
	v_addc_co_u32_e32 v100, vcc, 0, v222, vcc
	global_load_dwordx4 v[99:102], v[99:100], off
.LBB16_184:                             ;   in Loop: Header=BB16_148 Depth=1
	s_or_b64 exec, exec, s[14:15]
	ds_read_b128 v[103:106], v183
	s_and_b64 vcc, exec, s[4:5]
	s_waitcnt vmcnt(0) lgkmcnt(0)
	v_mul_f64 v[107:108], v[65:66], v[105:106]
	v_mul_f64 v[109:110], v[65:66], v[103:104]
	;; [unrolled: 1-line block ×8, first 2 shown]
	v_fma_f64 v[119:120], v[63:64], v[103:104], v[107:108]
	v_fma_f64 v[121:122], v[63:64], v[105:106], -v[109:110]
	v_fma_f64 v[123:124], v[67:68], v[103:104], v[111:112]
	v_fma_f64 v[125:126], v[67:68], v[105:106], -v[113:114]
	;; [unrolled: 2-line block ×4, first 2 shown]
	ds_read_b128 v[115:118], v182 offset:512
	ds_read_b128 v[111:114], v182 offset:528
	;; [unrolled: 1-line block ×4, first 2 shown]
	ds_write_b128 v184, v[119:122]
	ds_write_b128 v184, v[123:126] offset:1072
	ds_write_b128 v184, v[127:130] offset:2144
	ds_write_b128 v184, v[143:146] offset:3216
	s_waitcnt lgkmcnt(0)
	s_barrier
	ds_read_b128 v[155:158], v185
	ds_read_b128 v[151:154], v185 offset:16
	ds_read_b128 v[171:174], v185 offset:32
	;; [unrolled: 1-line block ×3, first 2 shown]
	v_add_co_u32_e64 v143, s[4:5], v217, v177
	v_addc_co_u32_e64 v144, s[4:5], 0, v218, s[4:5]
	s_waitcnt lgkmcnt(0)
	s_barrier
	s_cbranch_vccnz .LBB16_192
; %bb.185:                              ;   in Loop: Header=BB16_148 Depth=1
	v_mov_b32_e32 v123, 0
	v_mov_b32_e32 v119, 0
	;; [unrolled: 1-line block ×6, first 2 shown]
	v_cmp_gt_i32_e32 vcc, s16, v199
	s_and_saveexec_b64 s[4:5], vcc
	s_cbranch_execz .LBB16_187
; %bb.186:                              ;   in Loop: Header=BB16_148 Depth=1
	global_load_dwordx4 v[119:122], v[143:144], off
.LBB16_187:                             ;   in Loop: Header=BB16_148 Depth=1
	s_or_b64 exec, exec, s[4:5]
	v_mov_b32_e32 v125, 0
	v_mov_b32_e32 v126, 0
	v_cmp_gt_i32_e32 vcc, s16, v200
	s_and_saveexec_b64 s[4:5], vcc
	s_cbranch_execz .LBB16_189
; %bb.188:                              ;   in Loop: Header=BB16_148 Depth=1
	v_add_co_u32_e32 v123, vcc, v213, v177
	v_addc_co_u32_e32 v124, vcc, 0, v214, vcc
	global_load_dwordx4 v[123:126], v[123:124], off
.LBB16_189:                             ;   in Loop: Header=BB16_148 Depth=1
	s_or_b64 exec, exec, s[4:5]
	v_mov_b32_e32 v127, 0
	v_mov_b32_e32 v129, 0
	;; [unrolled: 1-line block ×4, first 2 shown]
	v_cmp_gt_i32_e32 vcc, s16, v201
	s_and_saveexec_b64 s[4:5], vcc
	s_cbranch_execz .LBB16_191
; %bb.190:                              ;   in Loop: Header=BB16_148 Depth=1
	v_add_co_u32_e32 v127, vcc, v209, v177
	v_addc_co_u32_e32 v128, vcc, 0, v210, vcc
	global_load_dwordx4 v[127:130], v[127:128], off
.LBB16_191:                             ;   in Loop: Header=BB16_148 Depth=1
	s_or_b64 exec, exec, s[4:5]
	v_cmp_gt_i32_e64 s[4:5], s16, v202
	s_branch .LBB16_194
.LBB16_192:                             ;   in Loop: Header=BB16_148 Depth=1
	s_mov_b64 s[4:5], 0
                                        ; implicit-def: $vgpr129_vgpr130
                                        ; implicit-def: $vgpr125_vgpr126
                                        ; implicit-def: $vgpr121_vgpr122
	s_cbranch_execz .LBB16_194
; %bb.193:                              ;   in Loop: Header=BB16_148 Depth=1
	s_waitcnt vmcnt(0)
	v_add_co_u32_e32 v123, vcc, v213, v177
	v_addc_co_u32_e32 v124, vcc, 0, v214, vcc
	v_add_co_u32_e32 v127, vcc, v209, v177
	v_addc_co_u32_e32 v128, vcc, 0, v210, vcc
	global_load_dwordx4 v[119:122], v[143:144], off
	s_or_b64 s[4:5], s[4:5], exec
	global_load_dwordx4 v[123:126], v[123:124], off
	s_nop 0
	global_load_dwordx4 v[127:130], v[127:128], off
.LBB16_194:                             ;   in Loop: Header=BB16_148 Depth=1
	v_mov_b32_e32 v143, 0
	v_mov_b32_e32 v145, 0
	;; [unrolled: 1-line block ×4, first 2 shown]
	s_and_saveexec_b64 s[8:9], s[4:5]
	s_cbranch_execz .LBB16_196
; %bb.195:                              ;   in Loop: Header=BB16_148 Depth=1
	v_add_co_u32_e32 v143, vcc, v205, v177
	v_addc_co_u32_e32 v144, vcc, 0, v206, vcc
	global_load_dwordx4 v[143:146], v[143:144], off
.LBB16_196:                             ;   in Loop: Header=BB16_148 Depth=1
	s_or_b64 exec, exec, s[8:9]
	v_add_f64 v[155:156], v[155:156], 0
	v_add_f64 v[157:158], v[157:158], 0
	ds_read_b128 v[159:162], v183
	v_add_f64 v[147:148], v[147:148], 0
	v_add_f64 v[149:150], v[149:150], 0
	v_cmp_gt_i32_e32 vcc, s16, v0
	s_or_b64 s[4:5], s[12:13], vcc
	s_waitcnt vmcnt(0) lgkmcnt(0)
	v_mul_f64 v[163:164], v[121:122], v[161:162]
	v_mul_f64 v[165:166], v[121:122], v[159:160]
	;; [unrolled: 1-line block ×3, first 2 shown]
	v_add_f64 v[252:253], v[155:156], v[151:152]
	v_mul_f64 v[151:152], v[125:126], v[159:160]
	v_add_f64 v[254:255], v[157:158], v[153:154]
	v_mul_f64 v[153:154], v[129:130], v[161:162]
	v_mul_f64 v[155:156], v[129:130], v[159:160]
	;; [unrolled: 1-line block ×4, first 2 shown]
	v_fma_f64 v[236:237], v[119:120], v[159:160], v[163:164]
	v_fma_f64 v[238:239], v[119:120], v[161:162], -v[165:166]
	v_fma_f64 v[240:241], v[123:124], v[159:160], v[240:241]
	v_fma_f64 v[242:243], v[123:124], v[161:162], -v[151:152]
	;; [unrolled: 2-line block ×4, first 2 shown]
	ds_read_b128 v[163:166], v182 offset:768
	ds_read_b128 v[159:162], v182 offset:784
	;; [unrolled: 1-line block ×4, first 2 shown]
	ds_write_b128 v184, v[236:239]
	ds_write_b128 v184, v[240:243] offset:1072
	ds_write_b128 v184, v[244:247] offset:2144
	;; [unrolled: 1-line block ×3, first 2 shown]
	s_waitcnt lgkmcnt(0)
	s_barrier
	ds_read_b128 v[236:239], v185
	v_add_f64 v[240:241], v[95:96], 0
	v_add_f64 v[242:243], v[97:98], 0
	ds_read_b128 v[95:98], v185 offset:16
	v_add_f64 v[139:140], v[147:148], v[139:140]
	s_waitcnt lgkmcnt(1)
	v_add_f64 v[236:237], v[236:237], 0
	v_add_f64 v[238:239], v[238:239], 0
	;; [unrolled: 1-line block ×6, first 2 shown]
	ds_read_b128 v[91:94], v185 offset:32
	v_add_f64 v[135:136], v[139:140], v[135:136]
	s_waitcnt lgkmcnt(1)
	v_add_f64 v[95:96], v[236:237], v[95:96]
	v_add_f64 v[97:98], v[238:239], v[97:98]
	;; [unrolled: 1-line block ×6, first 2 shown]
	ds_read_b128 v[87:90], v185 offset:48
	s_and_b64 s[8:9], s[2:3], s[4:5]
	s_waitcnt lgkmcnt(1)
	v_add_f64 v[149:150], v[95:96], v[91:92]
	v_add_f64 v[171:172], v[97:98], v[93:94]
	;; [unrolled: 1-line block ×8, first 2 shown]
	s_waitcnt lgkmcnt(0)
	v_add_f64 v[87:88], v[149:150], v[87:88]
	v_add_f64 v[89:90], v[171:172], v[89:90]
	s_barrier
	ds_write_b128 v235, v[83:86]
	ds_write_b128 v235, v[95:98] offset:256
	ds_write_b128 v235, v[91:94] offset:512
	;; [unrolled: 1-line block ×3, first 2 shown]
	s_waitcnt lgkmcnt(0)
	s_barrier
	s_and_saveexec_b64 s[4:5], s[8:9]
	s_cbranch_execz .LBB16_198
; %bb.197:                              ;   in Loop: Header=BB16_148 Depth=1
	ds_read_b128 v[83:86], v186
	ds_read_b128 v[87:90], v186 offset:16
	s_waitcnt lgkmcnt(0)
	v_add_f64 v[91:92], v[87:88], v[83:84]
	v_add_f64 v[93:94], v[89:90], v[85:86]
	ds_read_b128 v[83:86], v186 offset:32
	ds_read_b128 v[87:90], v186 offset:48
	s_waitcnt lgkmcnt(1)
	v_add_f64 v[83:84], v[91:92], v[83:84]
	v_add_f64 v[85:86], v[93:94], v[85:86]
	s_waitcnt lgkmcnt(0)
	v_add_f64 v[91:92], v[83:84], v[87:88]
	v_add_f64 v[93:94], v[85:86], v[89:90]
	ds_read_b128 v[83:86], v186 offset:64
	ds_read_b128 v[87:90], v186 offset:80
	s_waitcnt lgkmcnt(1)
	v_add_f64 v[83:84], v[91:92], v[83:84]
	v_add_f64 v[85:86], v[93:94], v[85:86]
	;; [unrolled: 8-line block ×6, first 2 shown]
	s_waitcnt lgkmcnt(0)
	v_add_f64 v[91:92], v[83:84], v[87:88]
	v_add_f64 v[93:94], v[85:86], v[89:90]
	ds_read_b128 v[83:86], v186 offset:224
	ds_read_b128 v[87:90], v187
	s_waitcnt lgkmcnt(1)
	v_add_f64 v[83:84], v[91:92], v[83:84]
	v_add_f64 v[85:86], v[93:94], v[85:86]
	s_waitcnt lgkmcnt(0)
	v_add_f64 v[83:84], v[83:84], v[87:88]
	v_add_f64 v[85:86], v[85:86], v[89:90]
	v_add_u32_e32 v87, s22, v0
	v_ashrrev_i32_e32 v88, 31, v87
	v_lshlrev_b64 v[87:88], 4, v[87:88]
	v_mov_b32_e32 v89, s21
	v_add_co_u32_e32 v87, vcc, s7, v87
	v_addc_co_u32_e32 v88, vcc, v89, v88, vcc
	global_store_dwordx4 v[87:88], v[83:86], off
.LBB16_198:                             ;   in Loop: Header=BB16_148 Depth=1
	s_or_b64 exec, exec, s[4:5]
	v_mul_f64 v[83:84], v[9:10], v[49:50]
	v_mul_f64 v[49:50], v[7:8], v[49:50]
	v_mul_f64 v[85:86], v[13:14], v[45:46]
	v_mul_f64 v[45:46], v[11:12], v[45:46]
	v_add_co_u32_e32 v203, vcc, s10, v203
	s_add_i32 s4, s6, 1
	s_add_i32 s22, s22, 64
	v_fma_f64 v[7:8], v[7:8], v[47:48], -v[83:84]
	v_fma_f64 v[9:10], v[9:10], v[47:48], v[49:50]
	v_mul_f64 v[47:48], v[17:18], v[37:38]
	v_mul_f64 v[37:38], v[15:16], v[37:38]
	v_fma_f64 v[11:12], v[11:12], v[43:44], -v[85:86]
	v_fma_f64 v[13:14], v[13:14], v[43:44], v[45:46]
	v_mul_f64 v[49:50], v[21:22], v[25:26]
	v_mul_f64 v[43:44], v[29:30], v[73:74]
	v_add_f64 v[2:3], v[2:3], v[7:8]
	v_add_f64 v[4:5], v[4:5], v[9:10]
	v_mul_f64 v[7:8], v[19:20], v[25:26]
	v_fma_f64 v[15:16], v[15:16], v[35:36], -v[47:48]
	v_fma_f64 v[17:18], v[17:18], v[35:36], v[37:38]
	v_mul_f64 v[9:10], v[33:34], v[77:78]
	v_mul_f64 v[25:26], v[31:32], v[77:78]
	v_fma_f64 v[19:20], v[19:20], v[23:24], -v[49:50]
	v_add_f64 v[2:3], v[2:3], v[11:12]
	v_add_f64 v[4:5], v[4:5], v[13:14]
	v_fma_f64 v[7:8], v[21:22], v[23:24], v[7:8]
	v_mul_f64 v[11:12], v[27:28], v[73:74]
	v_mul_f64 v[13:14], v[41:42], v[61:62]
	v_fma_f64 v[9:10], v[31:32], v[75:76], -v[9:10]
	v_fma_f64 v[25:26], v[33:34], v[75:76], v[25:26]
	v_mul_f64 v[35:36], v[39:40], v[61:62]
	v_add_f64 v[2:3], v[2:3], v[15:16]
	v_add_f64 v[4:5], v[4:5], v[17:18]
	v_fma_f64 v[27:28], v[27:28], v[71:72], -v[43:44]
	v_fma_f64 v[11:12], v[29:30], v[71:72], v[11:12]
	v_mul_f64 v[37:38], v[53:54], v[57:58]
	v_mul_f64 v[15:16], v[51:52], v[57:58]
	v_fma_f64 v[13:14], v[39:40], v[59:60], -v[13:14]
	v_fma_f64 v[35:36], v[41:42], v[59:60], v[35:36]
	v_add_f64 v[2:3], v[2:3], v[19:20]
	v_add_f64 v[4:5], v[4:5], v[7:8]
	v_mul_f64 v[17:18], v[65:66], v[117:118]
	v_mul_f64 v[21:22], v[63:64], v[117:118]
	v_fma_f64 v[37:38], v[51:52], v[55:56], -v[37:38]
	v_fma_f64 v[15:16], v[53:54], v[55:56], v[15:16]
	v_mul_f64 v[23:24], v[69:70], v[113:114]
	v_mul_f64 v[7:8], v[67:68], v[113:114]
	v_add_f64 v[2:3], v[2:3], v[9:10]
	v_add_f64 v[4:5], v[4:5], v[25:26]
	v_fma_f64 v[17:18], v[63:64], v[115:116], -v[17:18]
	v_fma_f64 v[21:22], v[65:66], v[115:116], v[21:22]
	v_mul_f64 v[19:20], v[81:82], v[109:110]
	v_mul_f64 v[31:32], v[79:80], v[109:110]
	;; [unrolled: 1-line block ×3, first 2 shown]
	v_fma_f64 v[7:8], v[69:70], v[111:112], v[7:8]
	v_add_f64 v[2:3], v[2:3], v[27:28]
	v_add_f64 v[4:5], v[4:5], v[11:12]
	v_mul_f64 v[9:10], v[99:100], v[105:106]
	v_mul_f64 v[25:26], v[121:122], v[165:166]
	;; [unrolled: 1-line block ×6, first 2 shown]
	v_add_f64 v[2:3], v[2:3], v[13:14]
	v_add_f64 v[4:5], v[4:5], v[35:36]
	v_fma_f64 v[9:10], v[101:102], v[103:104], v[9:10]
	v_mul_f64 v[39:40], v[127:128], v[157:158]
	v_mov_b32_e32 v35, s11
	v_addc_co_u32_e32 v204, vcc, v204, v35, vcc
	v_add_co_u32_e32 v205, vcc, s10, v205
	v_add_f64 v[2:3], v[2:3], v[37:38]
	v_add_f64 v[4:5], v[4:5], v[15:16]
	v_fma_f64 v[15:16], v[67:68], v[111:112], -v[23:24]
	v_addc_co_u32_e32 v206, vcc, v206, v35, vcc
	v_add_co_u32_e32 v207, vcc, s10, v207
	v_addc_co_u32_e32 v208, vcc, v208, v35, vcc
	v_add_f64 v[2:3], v[2:3], v[17:18]
	v_add_f64 v[4:5], v[4:5], v[21:22]
	v_fma_f64 v[17:18], v[79:80], v[107:108], -v[19:20]
	v_fma_f64 v[19:20], v[81:82], v[107:108], v[31:32]
	v_add_co_u32_e32 v209, vcc, s10, v209
	v_addc_co_u32_e32 v210, vcc, v210, v35, vcc
	v_add_f64 v[2:3], v[2:3], v[15:16]
	v_add_f64 v[4:5], v[4:5], v[7:8]
	v_fma_f64 v[7:8], v[99:100], v[103:104], -v[33:34]
	v_fma_f64 v[15:16], v[119:120], v[163:164], -v[25:26]
	v_mul_f64 v[41:42], v[145:146], v[153:154]
	v_mul_f64 v[13:14], v[143:144], v[153:154]
	v_add_co_u32_e32 v211, vcc, s10, v211
	v_add_f64 v[2:3], v[2:3], v[17:18]
	v_add_f64 v[4:5], v[4:5], v[19:20]
	v_fma_f64 v[17:18], v[121:122], v[163:164], v[29:30]
	v_addc_co_u32_e32 v212, vcc, v212, v35, vcc
	v_add_co_u32_e32 v213, vcc, s10, v213
	v_addc_co_u32_e32 v214, vcc, v214, v35, vcc
	v_add_f64 v[2:3], v[2:3], v[7:8]
	v_add_f64 v[4:5], v[4:5], v[9:10]
	v_fma_f64 v[7:8], v[123:124], v[159:160], -v[43:44]
	v_fma_f64 v[9:10], v[125:126], v[159:160], v[11:12]
	v_fma_f64 v[11:12], v[127:128], v[155:156], -v[27:28]
	v_add_co_u32_e32 v215, vcc, s10, v215
	v_addc_co_u32_e32 v216, vcc, v216, v35, vcc
	v_add_f64 v[2:3], v[2:3], v[15:16]
	v_add_f64 v[4:5], v[4:5], v[17:18]
	v_fma_f64 v[15:16], v[129:130], v[155:156], v[39:40]
	v_add_co_u32_e32 v217, vcc, s10, v217
	v_addc_co_u32_e32 v218, vcc, v218, v35, vcc
	v_add_co_u32_e32 v219, vcc, s10, v219
	v_add_f64 v[2:3], v[2:3], v[7:8]
	v_add_f64 v[4:5], v[4:5], v[9:10]
	v_fma_f64 v[7:8], v[143:144], v[151:152], -v[41:42]
	v_fma_f64 v[9:10], v[145:146], v[151:152], v[13:14]
	v_addc_co_u32_e32 v220, vcc, v220, v35, vcc
	v_add_co_u32_e32 v221, vcc, s10, v221
	v_add_f64 v[2:3], v[2:3], v[11:12]
	v_add_f64 v[4:5], v[4:5], v[15:16]
	v_addc_co_u32_e32 v222, vcc, v222, v35, vcc
	v_add_co_u32_e32 v223, vcc, s10, v223
	v_addc_co_u32_e32 v224, vcc, v224, v35, vcc
	v_add_co_u32_e32 v225, vcc, s10, v225
	v_addc_co_u32_e32 v226, vcc, v226, v35, vcc
	v_add_f64 v[2:3], v[2:3], v[7:8]
	v_add_f64 v[4:5], v[4:5], v[9:10]
	v_add_co_u32_e32 v227, vcc, s10, v227
	v_addc_co_u32_e32 v228, vcc, v228, v35, vcc
	v_add_co_u32_e32 v229, vcc, s10, v229
	v_addc_co_u32_e32 v230, vcc, v230, v35, vcc
	;; [unrolled: 2-line block ×3, first 2 shown]
	s_add_i32 s5, s6, 2
	v_add_co_u32_e32 v233, vcc, s10, v233
	s_cmp_ge_u32 s5, s33
	v_addc_co_u32_e32 v234, vcc, v234, v35, vcc
	s_waitcnt vmcnt(0)
	s_barrier
	s_cbranch_scc1 .LBB16_200
; %bb.199:                              ;   in Loop: Header=BB16_148 Depth=1
	s_mov_b32 s6, s4
	s_cmp_eq_u32 s23, s6
	s_cselect_b32 s16, s36, 0
	s_and_saveexec_b64 s[4:5], s[0:1]
	s_cbranch_execnz .LBB16_144
	s_branch .LBB16_148
.LBB16_200:
	s_movk_i32 s2, 0x430
	v_cmp_gt_i32_e32 vcc, s20, v0
	v_mad_u32_u24 v1, v1, s2, v177
	s_or_b64 s[2:3], s[18:19], vcc
	s_and_b64 s[0:1], s[0:1], s[2:3]
	ds_write_b128 v1, v[2:5]
	s_waitcnt lgkmcnt(0)
	s_barrier
	s_and_saveexec_b64 s[2:3], s[0:1]
	s_cbranch_execz .LBB16_202
; %bb.201:
	ds_read_b128 v[0:3], v177 offset:1072
	ds_read_b128 v[4:7], v177
	s_waitcnt lgkmcnt(0)
	v_add_f64 v[8:9], v[0:1], v[4:5]
	v_add_f64 v[10:11], v[2:3], v[6:7]
	ds_read_b128 v[0:3], v177 offset:2144
	ds_read_b128 v[4:7], v177 offset:3216
	s_waitcnt lgkmcnt(1)
	v_add_f64 v[0:1], v[8:9], v[0:1]
	v_add_f64 v[2:3], v[10:11], v[2:3]
	s_waitcnt lgkmcnt(0)
	v_add_f64 v[0:1], v[0:1], v[4:5]
	v_add_f64 v[2:3], v[2:3], v[6:7]
	v_lshlrev_b64 v[4:5], 4, v[175:176]
	v_mov_b32_e32 v6, s21
	v_add_co_u32_e32 v4, vcc, s7, v4
	v_addc_co_u32_e32 v5, vcc, v6, v5, vcc
	global_store_dwordx4 v[4:5], v[0:3], off
.LBB16_202:
	s_endpgm
	.section	.rodata,"a",@progbits
	.p2align	6, 0x0
	.amdhsa_kernel _ZL26rocblas_hemvn_kernel_upperILb1ELi64ELi4ELi33ELi32ELi16ElPK19rocblas_complex_numIdES3_PS1_EviT6_lT7_lT5_lS6_lS7_lS5_lT8_i
		.amdhsa_group_segment_fixed_size 19200
		.amdhsa_private_segment_fixed_size 0
		.amdhsa_kernarg_size 376
		.amdhsa_user_sgpr_count 6
		.amdhsa_user_sgpr_private_segment_buffer 1
		.amdhsa_user_sgpr_dispatch_ptr 0
		.amdhsa_user_sgpr_queue_ptr 0
		.amdhsa_user_sgpr_kernarg_segment_ptr 1
		.amdhsa_user_sgpr_dispatch_id 0
		.amdhsa_user_sgpr_flat_scratch_init 0
		.amdhsa_user_sgpr_private_segment_size 0
		.amdhsa_uses_dynamic_stack 0
		.amdhsa_system_sgpr_private_segment_wavefront_offset 0
		.amdhsa_system_sgpr_workgroup_id_x 1
		.amdhsa_system_sgpr_workgroup_id_y 0
		.amdhsa_system_sgpr_workgroup_id_z 1
		.amdhsa_system_sgpr_workgroup_info 0
		.amdhsa_system_vgpr_workitem_id 1
		.amdhsa_next_free_vgpr 256
		.amdhsa_next_free_sgpr 98
		.amdhsa_reserve_vcc 1
		.amdhsa_reserve_flat_scratch 0
		.amdhsa_float_round_mode_32 0
		.amdhsa_float_round_mode_16_64 0
		.amdhsa_float_denorm_mode_32 3
		.amdhsa_float_denorm_mode_16_64 3
		.amdhsa_dx10_clamp 1
		.amdhsa_ieee_mode 1
		.amdhsa_fp16_overflow 0
		.amdhsa_exception_fp_ieee_invalid_op 0
		.amdhsa_exception_fp_denorm_src 0
		.amdhsa_exception_fp_ieee_div_zero 0
		.amdhsa_exception_fp_ieee_overflow 0
		.amdhsa_exception_fp_ieee_underflow 0
		.amdhsa_exception_fp_ieee_inexact 0
		.amdhsa_exception_int_div_zero 0
	.end_amdhsa_kernel
	.section	.text._ZL26rocblas_hemvn_kernel_upperILb1ELi64ELi4ELi33ELi32ELi16ElPK19rocblas_complex_numIdES3_PS1_EviT6_lT7_lT5_lS6_lS7_lS5_lT8_i,"axG",@progbits,_ZL26rocblas_hemvn_kernel_upperILb1ELi64ELi4ELi33ELi32ELi16ElPK19rocblas_complex_numIdES3_PS1_EviT6_lT7_lT5_lS6_lS7_lS5_lT8_i,comdat
.Lfunc_end16:
	.size	_ZL26rocblas_hemvn_kernel_upperILb1ELi64ELi4ELi33ELi32ELi16ElPK19rocblas_complex_numIdES3_PS1_EviT6_lT7_lT5_lS6_lS7_lS5_lT8_i, .Lfunc_end16-_ZL26rocblas_hemvn_kernel_upperILb1ELi64ELi4ELi33ELi32ELi16ElPK19rocblas_complex_numIdES3_PS1_EviT6_lT7_lT5_lS6_lS7_lS5_lT8_i
                                        ; -- End function
	.set _ZL26rocblas_hemvn_kernel_upperILb1ELi64ELi4ELi33ELi32ELi16ElPK19rocblas_complex_numIdES3_PS1_EviT6_lT7_lT5_lS6_lS7_lS5_lT8_i.num_vgpr, 256
	.set _ZL26rocblas_hemvn_kernel_upperILb1ELi64ELi4ELi33ELi32ELi16ElPK19rocblas_complex_numIdES3_PS1_EviT6_lT7_lT5_lS6_lS7_lS5_lT8_i.num_agpr, 0
	.set _ZL26rocblas_hemvn_kernel_upperILb1ELi64ELi4ELi33ELi32ELi16ElPK19rocblas_complex_numIdES3_PS1_EviT6_lT7_lT5_lS6_lS7_lS5_lT8_i.numbered_sgpr, 42
	.set _ZL26rocblas_hemvn_kernel_upperILb1ELi64ELi4ELi33ELi32ELi16ElPK19rocblas_complex_numIdES3_PS1_EviT6_lT7_lT5_lS6_lS7_lS5_lT8_i.num_named_barrier, 0
	.set _ZL26rocblas_hemvn_kernel_upperILb1ELi64ELi4ELi33ELi32ELi16ElPK19rocblas_complex_numIdES3_PS1_EviT6_lT7_lT5_lS6_lS7_lS5_lT8_i.private_seg_size, 0
	.set _ZL26rocblas_hemvn_kernel_upperILb1ELi64ELi4ELi33ELi32ELi16ElPK19rocblas_complex_numIdES3_PS1_EviT6_lT7_lT5_lS6_lS7_lS5_lT8_i.uses_vcc, 1
	.set _ZL26rocblas_hemvn_kernel_upperILb1ELi64ELi4ELi33ELi32ELi16ElPK19rocblas_complex_numIdES3_PS1_EviT6_lT7_lT5_lS6_lS7_lS5_lT8_i.uses_flat_scratch, 0
	.set _ZL26rocblas_hemvn_kernel_upperILb1ELi64ELi4ELi33ELi32ELi16ElPK19rocblas_complex_numIdES3_PS1_EviT6_lT7_lT5_lS6_lS7_lS5_lT8_i.has_dyn_sized_stack, 0
	.set _ZL26rocblas_hemvn_kernel_upperILb1ELi64ELi4ELi33ELi32ELi16ElPK19rocblas_complex_numIdES3_PS1_EviT6_lT7_lT5_lS6_lS7_lS5_lT8_i.has_recursion, 0
	.set _ZL26rocblas_hemvn_kernel_upperILb1ELi64ELi4ELi33ELi32ELi16ElPK19rocblas_complex_numIdES3_PS1_EviT6_lT7_lT5_lS6_lS7_lS5_lT8_i.has_indirect_call, 0
	.section	.AMDGPU.csdata,"",@progbits
; Kernel info:
; codeLenInByte = 11444
; TotalNumSgprs: 46
; NumVgprs: 256
; ScratchSize: 0
; MemoryBound: 1
; FloatMode: 240
; IeeeMode: 1
; LDSByteSize: 19200 bytes/workgroup (compile time only)
; SGPRBlocks: 12
; VGPRBlocks: 63
; NumSGPRsForWavesPerEU: 102
; NumVGPRsForWavesPerEU: 256
; Occupancy: 1
; WaveLimiterHint : 0
; COMPUTE_PGM_RSRC2:SCRATCH_EN: 0
; COMPUTE_PGM_RSRC2:USER_SGPR: 6
; COMPUTE_PGM_RSRC2:TRAP_HANDLER: 0
; COMPUTE_PGM_RSRC2:TGID_X_EN: 1
; COMPUTE_PGM_RSRC2:TGID_Y_EN: 0
; COMPUTE_PGM_RSRC2:TGID_Z_EN: 1
; COMPUTE_PGM_RSRC2:TIDIG_COMP_CNT: 1
	.section	.text._ZL36rocblas_hemvn_kernel_upper_block_sumILi64ElPK19rocblas_complex_numIdEPS1_S1_EviT1_lS5_lT2_lT0_lPT3_i,"axG",@progbits,_ZL36rocblas_hemvn_kernel_upper_block_sumILi64ElPK19rocblas_complex_numIdEPS1_S1_EviT1_lS5_lT2_lT0_lPT3_i,comdat
	.globl	_ZL36rocblas_hemvn_kernel_upper_block_sumILi64ElPK19rocblas_complex_numIdEPS1_S1_EviT1_lS5_lT2_lT0_lPT3_i ; -- Begin function _ZL36rocblas_hemvn_kernel_upper_block_sumILi64ElPK19rocblas_complex_numIdEPS1_S1_EviT1_lS5_lT2_lT0_lPT3_i
	.p2align	8
	.type	_ZL36rocblas_hemvn_kernel_upper_block_sumILi64ElPK19rocblas_complex_numIdEPS1_S1_EviT1_lS5_lT2_lT0_lPT3_i,@function
_ZL36rocblas_hemvn_kernel_upper_block_sumILi64ElPK19rocblas_complex_numIdEPS1_S1_EviT1_lS5_lT2_lT0_lPT3_i: ; @_ZL36rocblas_hemvn_kernel_upper_block_sumILi64ElPK19rocblas_complex_numIdEPS1_S1_EviT1_lS5_lT2_lT0_lPT3_i
; %bb.0:
	s_load_dwordx8 s[8:15], s[4:5], 0x8
	s_waitcnt lgkmcnt(0)
	s_mul_i32 s0, s11, s7
	s_mul_hi_u32 s1, s10, s7
	s_add_i32 s1, s1, s0
	s_mul_i32 s0, s10, s7
	s_lshl_b64 s[0:1], s[0:1], 4
	s_add_u32 s0, s8, s0
	s_addc_u32 s1, s9, s1
	s_load_dwordx4 s[20:23], s[0:1], 0x0
	s_mul_i32 s9, s15, s7
	s_mul_hi_u32 s10, s14, s7
	s_mul_i32 s8, s14, s7
	s_add_i32 s9, s10, s9
	s_waitcnt lgkmcnt(0)
	v_cmp_neq_f64_e64 s[0:1], s[20:21], 0
	v_cmp_neq_f64_e64 s[2:3], s[22:23], 0
	s_lshl_b64 s[8:9], s[8:9], 4
	s_add_u32 s8, s12, s8
	s_addc_u32 s9, s13, s9
	s_load_dwordx4 s[16:19], s[8:9], 0x0
	s_or_b64 s[0:1], s[0:1], s[2:3]
	s_mov_b64 s[2:3], -1
	s_and_b64 vcc, exec, s[0:1]
	s_cbranch_vccnz .LBB17_2
; %bb.1:
	s_waitcnt lgkmcnt(0)
	v_cmp_neq_f64_e64 s[2:3], s[16:17], 1.0
	v_cmp_neq_f64_e64 s[8:9], s[18:19], 0
	s_or_b64 s[2:3], s[2:3], s[8:9]
.LBB17_2:
	s_andn2_b64 vcc, exec, s[2:3]
	s_cbranch_vccnz .LBB17_22
; %bb.3:
	s_load_dwordx8 s[8:15], s[4:5], 0x30
	s_load_dwordx2 s[2:3], s[4:5], 0x28
	s_load_dword s24, s[4:5], 0x0
	s_xor_b64 s[0:1], s[0:1], -1
	v_lshl_or_b32 v4, s6, 6, v0
	s_waitcnt lgkmcnt(0)
	s_mul_i32 s13, s13, s7
	s_mul_hi_u32 s25, s12, s7
	s_add_i32 s13, s25, s13
	s_mul_i32 s12, s12, s7
	s_lshl_b64 s[12:13], s[12:13], 4
	s_add_u32 s12, s2, s12
	s_addc_u32 s13, s3, s13
	s_lshl_b64 s[2:3], s[8:9], 4
	s_add_u32 s26, s12, s2
	s_addc_u32 s27, s13, s3
	s_andn2_b64 vcc, exec, s[0:1]
	v_cmp_gt_i32_e64 s[0:1], s24, v4
	s_cbranch_vccnz .LBB17_8
; %bb.4:
	s_mov_b64 s[8:9], 0
	s_mov_b64 s[2:3], 0
                                        ; implicit-def: $vgpr2_vgpr3
                                        ; implicit-def: $vgpr5_vgpr6
	s_and_saveexec_b64 s[12:13], s[0:1]
	s_cbranch_execz .LBB17_9
; %bb.5:
	v_cmp_neq_f64_e64 s[0:1], s[16:17], 0
	v_cmp_neq_f64_e64 s[2:3], s[18:19], 0
	v_ashrrev_i32_e32 v0, 31, v4
	v_mul_lo_u32 v7, s11, v4
	v_mad_u64_u32 v[5:6], s[28:29], s10, v4, 0
	v_mul_lo_u32 v8, s10, v0
	v_mov_b32_e32 v2, 0
	v_mov_b32_e32 v0, 0
	s_or_b64 s[0:1], s[0:1], s[2:3]
	v_mov_b32_e32 v3, 0
	s_andn2_b64 vcc, exec, s[0:1]
	v_mov_b32_e32 v1, 0
	v_add3_u32 v6, v6, v8, v7
	s_cbranch_vccnz .LBB17_7
; %bb.6:
	v_lshlrev_b64 v[0:1], 4, v[5:6]
	v_mov_b32_e32 v2, s27
	v_add_co_u32_e32 v0, vcc, s26, v0
	v_addc_co_u32_e32 v1, vcc, v2, v1, vcc
	global_load_dwordx4 v[7:10], v[0:1], off
	s_waitcnt vmcnt(0)
	v_mul_f64 v[0:1], s[18:19], v[9:10]
	v_mul_f64 v[2:3], s[16:17], v[9:10]
	v_fma_f64 v[0:1], s[16:17], v[7:8], -v[0:1]
	v_fma_f64 v[2:3], s[18:19], v[7:8], v[2:3]
.LBB17_7:
	s_mov_b64 s[2:3], exec
	s_or_b64 exec, exec, s[12:13]
	s_and_b64 vcc, exec, s[8:9]
	s_cbranch_vccnz .LBB17_10
	s_branch .LBB17_20
.LBB17_8:
	s_mov_b64 s[2:3], 0
                                        ; implicit-def: $vgpr2_vgpr3
                                        ; implicit-def: $vgpr5_vgpr6
	s_cbranch_execnz .LBB17_10
	s_branch .LBB17_20
.LBB17_9:
	s_or_b64 exec, exec, s[12:13]
	s_and_b64 vcc, exec, s[8:9]
	s_cbranch_vccz .LBB17_20
.LBB17_10:
	v_cmp_gt_i32_e32 vcc, s24, v4
                                        ; implicit-def: $vgpr2_vgpr3
                                        ; implicit-def: $vgpr5_vgpr6
	s_and_saveexec_b64 s[0:1], vcc
	s_cbranch_execz .LBB17_19
; %bb.11:
	v_mov_b32_e32 v0, 0
	v_mov_b32_e32 v2, 0
	;; [unrolled: 1-line block ×3, first 2 shown]
	s_cmp_lt_i32 s6, 0
	v_mov_b32_e32 v3, 0
	v_ashrrev_i32_e32 v5, 31, v4
	s_cbranch_scc1 .LBB17_14
; %bb.12:
	s_load_dword s4, s[4:5], 0x58
	s_ashr_i32 s25, s24, 31
	s_mul_hi_u32 s5, s24, s7
	s_mul_i32 s8, s25, s7
	s_add_i32 s5, s5, s8
	s_mul_i32 s7, s24, s7
	s_waitcnt lgkmcnt(0)
	s_mul_i32 s5, s5, s4
	s_mul_hi_u32 s8, s7, s4
	s_add_i32 s5, s8, s5
	s_mul_i32 s4, s7, s4
	s_add_i32 s6, s6, 1
	s_lshl_b64 s[4:5], s[4:5], 4
	v_lshlrev_b64 v[0:1], 4, v[4:5]
	s_add_u32 s4, s14, s4
	s_addc_u32 s5, s15, s5
	v_mov_b32_e32 v2, s5
	v_add_co_u32_e32 v0, vcc, s4, v0
	v_addc_co_u32_e32 v1, vcc, v2, v1, vcc
	v_add_co_u32_e32 v6, vcc, 8, v0
	v_addc_co_u32_e32 v7, vcc, 0, v1, vcc
	s_lshl_b64 s[4:5], s[24:25], 4
	v_mov_b32_e32 v0, 0
	v_mov_b32_e32 v2, 0
	;; [unrolled: 1-line block ×5, first 2 shown]
.LBB17_13:                              ; =>This Inner Loop Header: Depth=1
	global_load_dwordx4 v[9:12], v[6:7], off offset:-8
	s_add_i32 s6, s6, -1
	v_add_co_u32_e32 v6, vcc, s4, v6
	s_cmp_eq_u32 s6, 0
	v_addc_co_u32_e32 v7, vcc, v7, v8, vcc
	s_waitcnt vmcnt(0)
	v_add_f64 v[2:3], v[2:3], v[9:10]
	v_add_f64 v[0:1], v[0:1], v[11:12]
	s_cbranch_scc0 .LBB17_13
.LBB17_14:
	v_mul_f64 v[6:7], s[22:23], v[0:1]
	v_mul_f64 v[8:9], s[20:21], v[0:1]
	v_cmp_neq_f64_e64 s[4:5], s[16:17], 0
	v_cmp_neq_f64_e64 s[6:7], s[18:19], 0
	v_fma_f64 v[0:1], s[20:21], v[2:3], -v[6:7]
	v_fma_f64 v[2:3], s[22:23], v[2:3], v[8:9]
	v_mul_lo_u32 v7, s11, v4
	v_mul_lo_u32 v8, s10, v5
	s_or_b64 s[4:5], s[4:5], s[6:7]
	s_andn2_b64 vcc, exec, s[4:5]
	s_mov_b64 s[4:5], 0
	s_cbranch_vccz .LBB17_16
; %bb.15:
	v_mad_u64_u32 v[5:6], s[6:7], s10, v4, 0
	v_add3_u32 v6, v6, v8, v7
	s_andn2_b64 vcc, exec, s[4:5]
	s_cbranch_vccz .LBB17_17
	s_branch .LBB17_18
.LBB17_16:
                                        ; implicit-def: $vgpr5_vgpr6
.LBB17_17:
	v_mad_u64_u32 v[5:6], s[4:5], s10, v4, 0
	v_mov_b32_e32 v4, s27
	v_add3_u32 v6, v6, v8, v7
	v_lshlrev_b64 v[7:8], 4, v[5:6]
	v_add_co_u32_e32 v7, vcc, s26, v7
	v_addc_co_u32_e32 v8, vcc, v4, v8, vcc
	global_load_dwordx4 v[7:10], v[7:8], off
	s_waitcnt vmcnt(0)
	v_mul_f64 v[11:12], s[18:19], v[9:10]
	v_mul_f64 v[9:10], s[16:17], v[9:10]
	v_fma_f64 v[11:12], s[16:17], v[7:8], -v[11:12]
	v_fma_f64 v[7:8], s[18:19], v[7:8], v[9:10]
	v_add_f64 v[0:1], v[0:1], v[11:12]
	v_add_f64 v[2:3], v[2:3], v[7:8]
.LBB17_18:
	s_or_b64 s[2:3], s[2:3], exec
.LBB17_19:
	s_or_b64 exec, exec, s[0:1]
.LBB17_20:
	s_and_saveexec_b64 s[0:1], s[2:3]
	s_cbranch_execz .LBB17_22
; %bb.21:
	v_lshlrev_b64 v[4:5], 4, v[5:6]
	v_mov_b32_e32 v6, s27
	v_add_co_u32_e32 v4, vcc, s26, v4
	v_addc_co_u32_e32 v5, vcc, v6, v5, vcc
	global_store_dwordx4 v[4:5], v[0:3], off
.LBB17_22:
	s_endpgm
	.section	.rodata,"a",@progbits
	.p2align	6, 0x0
	.amdhsa_kernel _ZL36rocblas_hemvn_kernel_upper_block_sumILi64ElPK19rocblas_complex_numIdEPS1_S1_EviT1_lS5_lT2_lT0_lPT3_i
		.amdhsa_group_segment_fixed_size 0
		.amdhsa_private_segment_fixed_size 0
		.amdhsa_kernarg_size 344
		.amdhsa_user_sgpr_count 6
		.amdhsa_user_sgpr_private_segment_buffer 1
		.amdhsa_user_sgpr_dispatch_ptr 0
		.amdhsa_user_sgpr_queue_ptr 0
		.amdhsa_user_sgpr_kernarg_segment_ptr 1
		.amdhsa_user_sgpr_dispatch_id 0
		.amdhsa_user_sgpr_flat_scratch_init 0
		.amdhsa_user_sgpr_private_segment_size 0
		.amdhsa_uses_dynamic_stack 0
		.amdhsa_system_sgpr_private_segment_wavefront_offset 0
		.amdhsa_system_sgpr_workgroup_id_x 1
		.amdhsa_system_sgpr_workgroup_id_y 0
		.amdhsa_system_sgpr_workgroup_id_z 1
		.amdhsa_system_sgpr_workgroup_info 0
		.amdhsa_system_vgpr_workitem_id 0
		.amdhsa_next_free_vgpr 13
		.amdhsa_next_free_sgpr 30
		.amdhsa_reserve_vcc 1
		.amdhsa_reserve_flat_scratch 0
		.amdhsa_float_round_mode_32 0
		.amdhsa_float_round_mode_16_64 0
		.amdhsa_float_denorm_mode_32 3
		.amdhsa_float_denorm_mode_16_64 3
		.amdhsa_dx10_clamp 1
		.amdhsa_ieee_mode 1
		.amdhsa_fp16_overflow 0
		.amdhsa_exception_fp_ieee_invalid_op 0
		.amdhsa_exception_fp_denorm_src 0
		.amdhsa_exception_fp_ieee_div_zero 0
		.amdhsa_exception_fp_ieee_overflow 0
		.amdhsa_exception_fp_ieee_underflow 0
		.amdhsa_exception_fp_ieee_inexact 0
		.amdhsa_exception_int_div_zero 0
	.end_amdhsa_kernel
	.section	.text._ZL36rocblas_hemvn_kernel_upper_block_sumILi64ElPK19rocblas_complex_numIdEPS1_S1_EviT1_lS5_lT2_lT0_lPT3_i,"axG",@progbits,_ZL36rocblas_hemvn_kernel_upper_block_sumILi64ElPK19rocblas_complex_numIdEPS1_S1_EviT1_lS5_lT2_lT0_lPT3_i,comdat
.Lfunc_end17:
	.size	_ZL36rocblas_hemvn_kernel_upper_block_sumILi64ElPK19rocblas_complex_numIdEPS1_S1_EviT1_lS5_lT2_lT0_lPT3_i, .Lfunc_end17-_ZL36rocblas_hemvn_kernel_upper_block_sumILi64ElPK19rocblas_complex_numIdEPS1_S1_EviT1_lS5_lT2_lT0_lPT3_i
                                        ; -- End function
	.set _ZL36rocblas_hemvn_kernel_upper_block_sumILi64ElPK19rocblas_complex_numIdEPS1_S1_EviT1_lS5_lT2_lT0_lPT3_i.num_vgpr, 13
	.set _ZL36rocblas_hemvn_kernel_upper_block_sumILi64ElPK19rocblas_complex_numIdEPS1_S1_EviT1_lS5_lT2_lT0_lPT3_i.num_agpr, 0
	.set _ZL36rocblas_hemvn_kernel_upper_block_sumILi64ElPK19rocblas_complex_numIdEPS1_S1_EviT1_lS5_lT2_lT0_lPT3_i.numbered_sgpr, 30
	.set _ZL36rocblas_hemvn_kernel_upper_block_sumILi64ElPK19rocblas_complex_numIdEPS1_S1_EviT1_lS5_lT2_lT0_lPT3_i.num_named_barrier, 0
	.set _ZL36rocblas_hemvn_kernel_upper_block_sumILi64ElPK19rocblas_complex_numIdEPS1_S1_EviT1_lS5_lT2_lT0_lPT3_i.private_seg_size, 0
	.set _ZL36rocblas_hemvn_kernel_upper_block_sumILi64ElPK19rocblas_complex_numIdEPS1_S1_EviT1_lS5_lT2_lT0_lPT3_i.uses_vcc, 1
	.set _ZL36rocblas_hemvn_kernel_upper_block_sumILi64ElPK19rocblas_complex_numIdEPS1_S1_EviT1_lS5_lT2_lT0_lPT3_i.uses_flat_scratch, 0
	.set _ZL36rocblas_hemvn_kernel_upper_block_sumILi64ElPK19rocblas_complex_numIdEPS1_S1_EviT1_lS5_lT2_lT0_lPT3_i.has_dyn_sized_stack, 0
	.set _ZL36rocblas_hemvn_kernel_upper_block_sumILi64ElPK19rocblas_complex_numIdEPS1_S1_EviT1_lS5_lT2_lT0_lPT3_i.has_recursion, 0
	.set _ZL36rocblas_hemvn_kernel_upper_block_sumILi64ElPK19rocblas_complex_numIdEPS1_S1_EviT1_lS5_lT2_lT0_lPT3_i.has_indirect_call, 0
	.section	.AMDGPU.csdata,"",@progbits
; Kernel info:
; codeLenInByte = 908
; TotalNumSgprs: 34
; NumVgprs: 13
; ScratchSize: 0
; MemoryBound: 0
; FloatMode: 240
; IeeeMode: 1
; LDSByteSize: 0 bytes/workgroup (compile time only)
; SGPRBlocks: 4
; VGPRBlocks: 3
; NumSGPRsForWavesPerEU: 34
; NumVGPRsForWavesPerEU: 13
; Occupancy: 10
; WaveLimiterHint : 0
; COMPUTE_PGM_RSRC2:SCRATCH_EN: 0
; COMPUTE_PGM_RSRC2:USER_SGPR: 6
; COMPUTE_PGM_RSRC2:TRAP_HANDLER: 0
; COMPUTE_PGM_RSRC2:TGID_X_EN: 1
; COMPUTE_PGM_RSRC2:TGID_Y_EN: 0
; COMPUTE_PGM_RSRC2:TGID_Z_EN: 1
; COMPUTE_PGM_RSRC2:TIDIG_COMP_CNT: 0
	.section	.text._ZL26rocblas_hemvn_kernel_upperILb1ELi64ELi4ELi33ELi32ELi16EiPK19rocblas_complex_numIdES3_PS1_EviT6_lT7_lT5_lS6_lS7_lS5_lT8_i,"axG",@progbits,_ZL26rocblas_hemvn_kernel_upperILb1ELi64ELi4ELi33ELi32ELi16EiPK19rocblas_complex_numIdES3_PS1_EviT6_lT7_lT5_lS6_lS7_lS5_lT8_i,comdat
	.globl	_ZL26rocblas_hemvn_kernel_upperILb1ELi64ELi4ELi33ELi32ELi16EiPK19rocblas_complex_numIdES3_PS1_EviT6_lT7_lT5_lS6_lS7_lS5_lT8_i ; -- Begin function _ZL26rocblas_hemvn_kernel_upperILb1ELi64ELi4ELi33ELi32ELi16EiPK19rocblas_complex_numIdES3_PS1_EviT6_lT7_lT5_lS6_lS7_lS5_lT8_i
	.p2align	8
	.type	_ZL26rocblas_hemvn_kernel_upperILb1ELi64ELi4ELi33ELi32ELi16EiPK19rocblas_complex_numIdES3_PS1_EviT6_lT7_lT5_lS6_lS7_lS5_lT8_i,@function
_ZL26rocblas_hemvn_kernel_upperILb1ELi64ELi4ELi33ELi32ELi16EiPK19rocblas_complex_numIdES3_PS1_EviT6_lT7_lT5_lS6_lS7_lS5_lT8_i: ; @_ZL26rocblas_hemvn_kernel_upperILb1ELi64ELi4ELi33ELi32ELi16EiPK19rocblas_complex_numIdES3_PS1_EviT6_lT7_lT5_lS6_lS7_lS5_lT8_i
; %bb.0:
	s_load_dwordx2 s[2:3], s[4:5], 0x84
	s_add_u32 s0, s4, 0x78
	s_addc_u32 s1, s5, 0
	s_waitcnt lgkmcnt(0)
	s_lshr_b32 s8, s2, 16
	s_and_b32 s2, s2, 0xffff
	s_and_b32 s3, s3, 0xffff
	s_mul_i32 s2, s8, s2
	s_mul_i32 s2, s2, s3
	s_cmpk_lg_i32 s2, 0x100
	s_cbranch_scc1 .LBB18_202
; %bb.1:
	s_load_dwordx8 s[16:23], s[4:5], 0x8
	s_waitcnt lgkmcnt(0)
	s_mul_i32 s3, s19, s7
	s_mul_hi_u32 s8, s18, s7
	s_mul_i32 s2, s18, s7
	s_add_i32 s3, s8, s3
	s_lshl_b64 s[2:3], s[2:3], 4
	s_add_u32 s2, s16, s2
	s_addc_u32 s3, s17, s3
	s_load_dwordx4 s[8:11], s[2:3], 0x0
	s_load_dwordx8 s[12:19], s[4:5], 0x50
	s_waitcnt lgkmcnt(0)
	v_cmp_neq_f64_e64 s[2:3], s[8:9], 0
	v_cmp_neq_f64_e64 s[8:9], s[10:11], 0
	s_or_b64 s[2:3], s[2:3], s[8:9]
	s_mov_b64 s[8:9], -1
	s_and_b64 vcc, exec, s[2:3]
	s_cbranch_vccnz .LBB18_3
; %bb.2:
	s_mul_i32 s8, s17, s7
	s_mul_hi_u32 s9, s16, s7
	s_add_i32 s9, s9, s8
	s_mul_i32 s8, s16, s7
	s_lshl_b64 s[8:9], s[8:9], 4
	s_add_u32 s14, s14, s8
	s_addc_u32 s15, s15, s9
	s_load_dwordx4 s[8:11], s[14:15], 0x0
	s_waitcnt lgkmcnt(0)
	v_cmp_neq_f64_e64 s[8:9], s[8:9], 1.0
	v_cmp_neq_f64_e64 s[10:11], s[10:11], 0
	s_or_b64 s[8:9], s[8:9], s[10:11]
.LBB18_3:
	s_andn2_b64 vcc, exec, s[8:9]
	s_cbranch_vccnz .LBB18_202
; %bb.4:
	s_andn2_b64 vcc, exec, s[2:3]
	s_cbranch_vccnz .LBB18_202
; %bb.5:
	s_load_dword s33, s[0:1], 0x0
	s_load_dword s40, s[4:5], 0x0
	s_load_dwordx4 s[8:11], s[4:5], 0x30
	s_load_dwordx2 s[2:3], s[4:5], 0x40
	s_load_dword s39, s[4:5], 0x48
	s_mul_i32 s0, s13, s7
	s_mul_hi_u32 s1, s12, s7
	s_add_i32 s1, s1, s0
	s_mul_i32 s0, s12, s7
	s_lshl_b64 s[0:1], s[0:1], 4
	s_waitcnt lgkmcnt(0)
	s_add_u32 s10, s10, s0
	s_addc_u32 s11, s11, s1
	s_lshl_b64 s[0:1], s[2:3], 4
	s_add_u32 s0, s10, s0
	s_addc_u32 s1, s11, s1
	s_lshl_b32 s24, s6, 6
	v_add_u32_e32 v167, s24, v0
	v_mul_lo_u32 v2, s39, v167
	s_ashr_i32 s41, s40, 31
	s_lshr_b32 s3, s41, 26
	s_add_i32 s3, s40, s3
	v_ashrrev_i32_e32 v3, 31, v2
	s_andn2_b32 s3, s3, 63
	v_lshlrev_b64 v[2:3], 4, v[2:3]
	s_add_i32 s2, s33, -1
	s_sub_i32 s38, s40, s3
	s_cmp_eq_u32 s6, s2
	v_mov_b32_e32 v4, s1
	v_add_co_u32_e32 v38, vcc, s0, v2
	s_cselect_b32 s16, s38, 0
	v_addc_co_u32_e32 v39, vcc, v4, v3, vcc
	v_cmp_eq_u32_e64 s[0:1], 0, v1
	s_and_saveexec_b64 s[2:3], s[0:1]
	s_cbranch_execz .LBB18_10
; %bb.6:
	s_cmp_lg_u32 s16, 0
	s_cselect_b64 s[10:11], -1, 0
	v_cmp_le_i32_e32 vcc, s16, v0
	v_mov_b32_e32 v2, 0x4700
	s_and_b64 s[10:11], s[10:11], vcc
	v_lshl_add_u32 v2, v0, 4, v2
	s_and_saveexec_b64 s[12:13], s[10:11]
	s_xor_b64 s[10:11], exec, s[12:13]
; %bb.7:
	v_mov_b32_e32 v3, 0
	v_mov_b32_e32 v4, v3
	v_mov_b32_e32 v5, v3
	v_mov_b32_e32 v6, v3
	ds_write_b128 v2, v[3:6]
                                        ; implicit-def: $vgpr2
; %bb.8:
	s_andn2_saveexec_b64 s[10:11], s[10:11]
	s_cbranch_execz .LBB18_10
; %bb.9:
	global_load_dwordx4 v[3:6], v[38:39], off
	s_waitcnt vmcnt(0)
	ds_write2_b64 v2, v[3:4], v[5:6] offset1:1
.LBB18_10:
	s_or_b64 exec, exec, s[2:3]
	s_mul_i32 s2, s9, s7
	s_mul_hi_u32 s3, s8, s7
	s_add_i32 s3, s3, s2
	s_mul_i32 s2, s8, s7
	s_lshl_b64 s[2:3], s[2:3], 4
	s_add_u32 s8, s20, s2
	s_addc_u32 s9, s21, s3
	s_lshl_b64 s[2:3], s[22:23], 4
	s_load_dword s22, s[4:5], 0x28
	v_lshl_add_u32 v44, v1, 6, v0
	v_and_b32_e32 v10, 31, v0
	v_lshrrev_b32_e32 v13, 5, v44
	s_add_u32 s4, s8, s2
	s_addc_u32 s5, s9, s3
	s_waitcnt lgkmcnt(0)
	v_mad_u64_u32 v[2:3], s[2:3], s22, v13, v[10:11]
	s_ashr_i32 s25, s24, 31
	s_lshl_b64 s[2:3], s[24:25], 4
	v_ashrrev_i32_e32 v3, 31, v2
	v_lshlrev_b64 v[40:41], 4, v[2:3]
	s_add_u32 s2, s4, s2
	s_addc_u32 s3, s5, s3
	v_add_co_u32_e32 v3, vcc, s2, v40
	s_mul_i32 s2, s22, s24
	v_mov_b32_e32 v2, s3
	s_ashr_i32 s3, s2, 31
	s_lshl_b64 s[2:3], s[2:3], 4
	v_addc_co_u32_e32 v4, vcc, v2, v41, vcc
	s_cmp_eq_u32 s16, 0
	v_mov_b32_e32 v5, s3
	v_add_co_u32_e32 v2, vcc, s2, v3
	s_cselect_b64 s[20:21], -1, 0
	s_cmp_lg_u32 s16, 0
	v_addc_co_u32_e32 v3, vcc, v4, v5, vcc
	s_cselect_b64 s[28:29], -1, 0
	s_and_b64 vcc, exec, s[28:29]
	v_cmp_gt_i32_e64 s[2:3], s16, v10
	v_lshlrev_b32_e32 v14, 4, v10
	s_cbranch_vccz .LBB18_28
; %bb.11:
	v_sub_co_u32_e32 v4, vcc, v2, v14
	s_ashr_i32 s17, s16, 31
	v_subbrev_co_u32_e32 v5, vcc, 0, v3, vcc
	s_lshl_b64 s[4:5], s[16:17], 4
	v_mov_b32_e32 v6, s5
	v_add_co_u32_e32 v4, vcc, s4, v4
	v_addc_co_u32_e32 v5, vcc, v5, v6, vcc
	v_add_co_u32_e32 v4, vcc, -16, v4
	v_addc_co_u32_e32 v5, vcc, -1, v5, vcc
	s_movk_i32 s8, 0x210
	v_cndmask_b32_e64 v5, v5, v3, s[2:3]
	v_cndmask_b32_e64 v4, v4, v2, s[2:3]
	v_cmp_le_i32_e32 vcc, s16, v13
	v_mad_u32_u24 v7, v13, s8, v14
	s_and_saveexec_b64 s[8:9], vcc
	s_xor_b64 s[8:9], exec, s[8:9]
; %bb.12:
	v_mov_b32_e32 v15, 0
	v_mov_b32_e32 v16, v15
	;; [unrolled: 1-line block ×4, first 2 shown]
	ds_write_b128 v7, v[15:18]
                                        ; implicit-def: $vgpr7
; %bb.13:
	s_or_saveexec_b64 s[8:9], s[8:9]
	v_mul_u32_u24_e32 v6, 0x210, v13
	s_xor_b64 exec, exec, s[8:9]
	s_cbranch_execz .LBB18_15
; %bb.14:
	global_load_dwordx4 v[15:18], v[4:5], off
	s_waitcnt vmcnt(0)
	ds_write2_b64 v7, v[15:16], v[17:18] offset1:1
.LBB18_15:
	s_or_b64 exec, exec, s[8:9]
	v_add_u32_e32 v7, 8, v13
	v_cmp_le_i32_e32 vcc, s16, v7
	v_add_u32_e32 v7, v6, v14
	s_and_saveexec_b64 s[8:9], vcc
	s_xor_b64 s[8:9], exec, s[8:9]
; %bb.16:
	v_mov_b32_e32 v15, 0
	v_mov_b32_e32 v16, v15
	;; [unrolled: 1-line block ×4, first 2 shown]
	ds_write_b128 v7, v[15:18] offset:4224
; %bb.17:
	s_andn2_saveexec_b64 s[8:9], s[8:9]
	s_cbranch_execz .LBB18_19
; %bb.18:
	s_lshl_b32 s10, s22, 3
	s_ashr_i32 s11, s10, 31
	s_lshl_b64 s[10:11], s[10:11], 4
	v_mov_b32_e32 v9, s11
	v_add_co_u32_e32 v8, vcc, s10, v4
	v_addc_co_u32_e32 v9, vcc, v5, v9, vcc
	global_load_dwordx4 v[15:18], v[8:9], off
	s_movk_i32 s10, 0x1080
	v_add3_u32 v8, v6, v14, s10
	s_waitcnt vmcnt(0)
	ds_write2_b64 v8, v[15:16], v[17:18] offset1:1
.LBB18_19:
	s_or_b64 exec, exec, s[8:9]
	v_add_u32_e32 v8, 16, v13
	v_cmp_le_i32_e32 vcc, s16, v8
	s_and_saveexec_b64 s[8:9], vcc
	s_xor_b64 s[8:9], exec, s[8:9]
; %bb.20:
	v_mov_b32_e32 v15, 0
	v_mov_b32_e32 v16, v15
	;; [unrolled: 1-line block ×4, first 2 shown]
	ds_write_b128 v7, v[15:18] offset:8448
; %bb.21:
	s_andn2_saveexec_b64 s[8:9], s[8:9]
	s_cbranch_execz .LBB18_23
; %bb.22:
	s_lshl_b32 s10, s22, 4
	s_ashr_i32 s11, s10, 31
	s_lshl_b64 s[10:11], s[10:11], 4
	v_mov_b32_e32 v9, s11
	v_add_co_u32_e32 v8, vcc, s10, v4
	v_addc_co_u32_e32 v9, vcc, v5, v9, vcc
	global_load_dwordx4 v[15:18], v[8:9], off
	s_movk_i32 s10, 0x2100
	v_add3_u32 v8, v6, v14, s10
	s_waitcnt vmcnt(0)
	ds_write2_b64 v8, v[15:16], v[17:18] offset1:1
.LBB18_23:
	s_or_b64 exec, exec, s[8:9]
	v_add_u32_e32 v8, 24, v13
	v_cmp_le_i32_e32 vcc, s16, v8
	s_and_saveexec_b64 s[8:9], vcc
	s_xor_b64 s[8:9], exec, s[8:9]
; %bb.24:
	v_mov_b32_e32 v15, 0
	v_mov_b32_e32 v16, v15
	;; [unrolled: 1-line block ×4, first 2 shown]
	ds_write_b128 v7, v[15:18] offset:12672
                                        ; implicit-def: $vgpr6
; %bb.25:
	s_andn2_saveexec_b64 s[8:9], s[8:9]
	s_cbranch_execz .LBB18_27
; %bb.26:
	s_mul_i32 s10, s22, 24
	s_ashr_i32 s11, s10, 31
	s_lshl_b64 s[10:11], s[10:11], 4
	v_mov_b32_e32 v8, s11
	v_add_co_u32_e32 v7, vcc, s10, v4
	v_addc_co_u32_e32 v8, vcc, v5, v8, vcc
	global_load_dwordx4 v[15:18], v[7:8], off
	s_movk_i32 s10, 0x3180
	v_add3_u32 v6, v6, v14, s10
	s_waitcnt vmcnt(0)
	ds_write2_b64 v6, v[15:16], v[17:18] offset1:1
.LBB18_27:
	s_or_b64 exec, exec, s[8:9]
	v_add_co_u32_e32 v4, vcc, v4, v14
	v_addc_co_u32_e32 v5, vcc, 0, v5, vcc
	v_mov_b32_e32 v6, s5
	v_subrev_co_u32_e32 v4, vcc, s4, v4
	v_subb_co_u32_e32 v5, vcc, v5, v6, vcc
	v_add_co_u32_e32 v4, vcc, 16, v4
	v_addc_co_u32_e32 v5, vcc, 0, v5, vcc
	v_cndmask_b32_e64 v7, v5, v3, s[2:3]
	v_cndmask_b32_e64 v6, v4, v2, s[2:3]
	s_branch .LBB18_30
.LBB18_28:
                                        ; implicit-def: $vgpr6_vgpr7
	s_cbranch_execz .LBB18_30
; %bb.29:
	s_lshl_b32 s2, s22, 3
	s_ashr_i32 s3, s2, 31
	s_lshl_b64 s[2:3], s[2:3], 4
	v_mov_b32_e32 v4, s3
	v_add_co_u32_e32 v8, vcc, s2, v2
	s_ashr_i32 s23, s22, 31
	v_addc_co_u32_e32 v9, vcc, v3, v4, vcc
	s_lshl_b64 s[2:3], s[22:23], 7
	global_load_dwordx4 v[4:7], v[2:3], off
	global_load_dwordx4 v[15:18], v[8:9], off
	v_mov_b32_e32 v12, s3
	v_add_co_u32_e32 v8, vcc, s2, v8
	v_addc_co_u32_e32 v9, vcc, v9, v12, vcc
	v_add_co_u32_e32 v11, vcc, s2, v8
	v_addc_co_u32_e32 v12, vcc, v9, v12, vcc
	global_load_dwordx4 v[19:22], v[8:9], off
	global_load_dwordx4 v[23:26], v[11:12], off
	v_mul_u32_u24_e32 v8, 0x210, v13
	v_lshl_add_u32 v8, v10, 4, v8
	v_add_u32_e32 v9, 0x1080, v8
	v_add_u32_e32 v11, 0x2100, v8
	v_add_u32_e32 v12, 0x3180, v8
	s_waitcnt vmcnt(3)
	ds_write2_b64 v8, v[4:5], v[6:7] offset1:1
	s_waitcnt vmcnt(2)
	ds_write2_b64 v9, v[15:16], v[17:18] offset1:1
	;; [unrolled: 2-line block ×4, first 2 shown]
	v_mov_b32_e32 v7, v3
	v_mov_b32_e32 v6, v2
.LBB18_30:
	v_lshlrev_b32_e32 v17, 2, v13
	v_mul_u32_u24_e32 v15, 0x210, v10
	v_cmp_le_u32_e64 s[4:5], v17, v10
	s_mov_b64 s[2:3], 0
	s_waitcnt lgkmcnt(0)
	s_barrier
                                        ; implicit-def: $vgpr2
	s_and_saveexec_b64 s[8:9], s[4:5]
	s_xor_b64 s[8:9], exec, s[8:9]
	s_cbranch_execz .LBB18_34
; %bb.31:
	v_cmp_eq_u32_e32 vcc, v17, v10
                                        ; implicit-def: $vgpr2
	s_and_saveexec_b64 s[10:11], vcc
	s_xor_b64 s[10:11], exec, s[10:11]
; %bb.32:
	s_mov_b64 s[2:3], exec
	v_add_u32_e32 v2, v14, v15
; %bb.33:
	s_or_b64 exec, exec, s[10:11]
	s_and_b64 s[2:3], s[2:3], exec
.LBB18_34:
	s_or_saveexec_b64 s[8:9], s[8:9]
	v_lshl_or_b32 v3, v10, 9, v14
	v_mov_b32_e32 v4, 0
	v_mov_b32_e32 v5, 0
	v_lshl_add_u32 v8, v17, 4, v3
	s_xor_b64 exec, exec, s[8:9]
	s_cbranch_execz .LBB18_36
; %bb.35:
	s_movk_i32 s10, 0x840
	v_mad_u32_u24 v2, v13, s10, v14
	ds_read_b128 v[2:5], v2
	s_or_b64 s[2:3], s[2:3], exec
	s_waitcnt lgkmcnt(0)
	v_xor_b32_e32 v5, 0x80000000, v5
	ds_write_b64 v8, v[2:3]
	v_mov_b32_e32 v2, v8
.LBB18_36:
	s_or_b64 exec, exec, s[8:9]
	s_and_saveexec_b64 s[8:9], s[2:3]
; %bb.37:
	ds_write_b64 v2, v[4:5] offset:8
; %bb.38:
	s_or_b64 exec, exec, s[8:9]
	v_or_b32_e32 v18, 1, v17
	v_cmp_ge_u32_e64 s[14:15], v17, v10
	s_mov_b64 s[2:3], 0
                                        ; implicit-def: $vgpr4_vgpr5
                                        ; implicit-def: $vgpr9
	s_and_saveexec_b64 s[8:9], s[14:15]
	s_xor_b64 s[8:9], exec, s[8:9]
	s_cbranch_execnz .LBB18_78
; %bb.39:
	s_andn2_saveexec_b64 s[8:9], s[8:9]
	s_cbranch_execnz .LBB18_79
.LBB18_40:
	s_or_b64 exec, exec, s[8:9]
	s_and_saveexec_b64 s[8:9], s[2:3]
.LBB18_41:
	ds_write_b64 v9, v[4:5] offset:8
.LBB18_42:
	s_or_b64 exec, exec, s[8:9]
	v_or_b32_e32 v19, 2, v17
	v_cmp_le_u32_e64 s[8:9], v19, v10
	s_mov_b64 s[2:3], 0
                                        ; implicit-def: $vgpr9
	s_and_saveexec_b64 s[10:11], s[8:9]
	s_xor_b64 s[10:11], exec, s[10:11]
	s_cbranch_execz .LBB18_46
; %bb.43:
	v_cmp_eq_u32_e32 vcc, v19, v10
                                        ; implicit-def: $vgpr9
	s_and_saveexec_b64 s[12:13], vcc
; %bb.44:
	s_mov_b64 s[2:3], exec
	v_add_u32_e32 v9, v14, v15
; %bb.45:
	s_or_b64 exec, exec, s[12:13]
	s_and_b64 s[2:3], s[2:3], exec
.LBB18_46:
	s_or_saveexec_b64 s[10:11], s[10:11]
	v_mov_b32_e32 v4, 0
	v_mov_b32_e32 v5, 0
	s_xor_b64 exec, exec, s[10:11]
	s_cbranch_execz .LBB18_48
; %bb.47:
	s_movk_i32 s12, 0x210
	v_mad_u32_u24 v2, v19, s12, v14
	ds_read_b128 v[2:5], v2
	v_add_u32_e32 v9, 32, v8
	s_or_b64 s[2:3], s[2:3], exec
	s_waitcnt lgkmcnt(0)
	v_xor_b32_e32 v5, 0x80000000, v5
	ds_write_b64 v8, v[2:3] offset:32
.LBB18_48:
	s_or_b64 exec, exec, s[10:11]
	s_and_saveexec_b64 s[10:11], s[2:3]
; %bb.49:
	ds_write_b64 v9, v[4:5] offset:8
; %bb.50:
	s_or_b64 exec, exec, s[10:11]
	v_or_b32_e32 v20, 3, v17
	v_cmp_le_u32_e64 s[10:11], v20, v10
	s_mov_b64 s[2:3], 0
                                        ; implicit-def: $vgpr9
	s_and_saveexec_b64 s[12:13], s[10:11]
	s_xor_b64 s[12:13], exec, s[12:13]
	s_cbranch_execz .LBB18_54
; %bb.51:
	v_cmp_eq_u32_e32 vcc, v20, v10
                                        ; implicit-def: $vgpr9
	s_and_saveexec_b64 s[26:27], vcc
; %bb.52:
	s_mov_b64 s[2:3], exec
	v_add_u32_e32 v9, v14, v15
; %bb.53:
	s_or_b64 exec, exec, s[26:27]
	s_and_b64 s[2:3], s[2:3], exec
                                        ; implicit-def: $vgpr8
.LBB18_54:
	s_or_saveexec_b64 s[12:13], s[12:13]
	v_mov_b32_e32 v4, 0
	v_mov_b32_e32 v5, 0
	s_xor_b64 exec, exec, s[12:13]
	s_cbranch_execz .LBB18_56
; %bb.55:
	s_movk_i32 s17, 0x210
	v_mad_u32_u24 v2, v20, s17, v14
	ds_read_b128 v[2:5], v2
	v_add_u32_e32 v9, 48, v8
	s_or_b64 s[2:3], s[2:3], exec
	s_waitcnt lgkmcnt(0)
	v_xor_b32_e32 v5, 0x80000000, v5
	ds_write_b64 v8, v[2:3] offset:48
.LBB18_56:
	s_or_b64 exec, exec, s[12:13]
	s_and_saveexec_b64 s[12:13], s[2:3]
; %bb.57:
	ds_write_b64 v9, v[4:5] offset:8
; %bb.58:
	s_or_b64 exec, exec, s[12:13]
	s_movk_i32 s2, 0x840
	v_lshlrev_b32_e32 v21, 4, v17
	s_waitcnt lgkmcnt(0)
	s_barrier
	v_mad_u32_u24 v8, v13, s2, v14
	ds_read_b128 v[2:5], v21 offset:18176
	ds_read_b128 v[22:25], v8
	ds_read_b128 v[26:29], v21 offset:18192
	s_movk_i32 s2, 0x210
	v_mad_u32_u24 v16, v18, s2, v14
	ds_read_b128 v[30:33], v16
	ds_read_b128 v[45:48], v16 offset:528
	s_waitcnt lgkmcnt(3)
	v_mul_f64 v[8:9], v[4:5], v[24:25]
	v_mul_f64 v[11:12], v[2:3], v[24:25]
	ds_read_b128 v[34:37], v21 offset:18208
	s_waitcnt lgkmcnt(2)
	v_mul_f64 v[42:43], v[28:29], v[32:33]
	v_mul_f64 v[32:33], v[26:27], v[32:33]
	v_cmp_gt_u32_e64 s[2:3], 32, v44
	v_fma_f64 v[8:9], v[2:3], v[22:23], -v[8:9]
	v_fma_f64 v[11:12], v[4:5], v[22:23], v[11:12]
	ds_read_b128 v[2:5], v21 offset:18224
	ds_read_b128 v[22:25], v16 offset:1056
	v_fma_f64 v[26:27], v[26:27], v[30:31], -v[42:43]
	s_waitcnt lgkmcnt(2)
	v_mul_f64 v[42:43], v[36:37], v[47:48]
	v_fma_f64 v[28:29], v[28:29], v[30:31], v[32:33]
	v_mul_f64 v[30:31], v[34:35], v[47:48]
	s_waitcnt lgkmcnt(0)
	v_mul_f64 v[32:33], v[4:5], v[24:25]
	v_add_f64 v[8:9], v[8:9], 0
	v_add_f64 v[11:12], v[11:12], 0
	v_mul_f64 v[24:25], v[2:3], v[24:25]
	v_fma_f64 v[34:35], v[34:35], v[45:46], -v[42:43]
	s_barrier
	v_add_f64 v[8:9], v[8:9], v[26:27]
	v_fma_f64 v[26:27], v[36:37], v[45:46], v[30:31]
	v_add_f64 v[11:12], v[11:12], v[28:29]
	v_fma_f64 v[28:29], v[2:3], v[22:23], -v[32:33]
	v_fma_f64 v[4:5], v[4:5], v[22:23], v[24:25]
	v_mov_b32_e32 v2, 0
	v_mov_b32_e32 v3, 0
	v_add_f64 v[8:9], v[8:9], v[34:35]
	v_add_f64 v[11:12], v[11:12], v[26:27]
	;; [unrolled: 1-line block ×3, first 2 shown]
	v_mul_u32_u24_e32 v8, 33, v10
	v_add_f64 v[24:25], v[11:12], v[4:5]
	v_mov_b32_e32 v4, 0
	v_lshlrev_b32_e32 v45, 4, v8
	v_mov_b32_e32 v5, 0
	v_lshl_add_u32 v46, v13, 4, v45
	ds_write_b128 v46, v[22:25]
	s_waitcnt lgkmcnt(0)
	s_barrier
	s_and_saveexec_b64 s[12:13], s[2:3]
	s_cbranch_execz .LBB18_60
; %bb.59:
	ds_read_b128 v[2:5], v45
	ds_read_b128 v[22:25], v45 offset:16
	s_waitcnt lgkmcnt(0)
	v_add_f64 v[8:9], v[22:23], v[2:3]
	v_add_f64 v[11:12], v[24:25], v[4:5]
	ds_read_b128 v[2:5], v45 offset:32
	ds_read_b128 v[22:25], v45 offset:48
	s_waitcnt lgkmcnt(1)
	v_add_f64 v[2:3], v[8:9], v[2:3]
	v_add_f64 v[4:5], v[11:12], v[4:5]
	s_waitcnt lgkmcnt(0)
	v_add_f64 v[8:9], v[2:3], v[22:23]
	v_add_f64 v[11:12], v[4:5], v[24:25]
	ds_read_b128 v[2:5], v45 offset:64
	ds_read_b128 v[22:25], v45 offset:80
	s_waitcnt lgkmcnt(1)
	v_add_f64 v[2:3], v[8:9], v[2:3]
	v_add_f64 v[4:5], v[11:12], v[4:5]
	;; [unrolled: 8-line block ×3, first 2 shown]
	s_waitcnt lgkmcnt(0)
	v_add_f64 v[2:3], v[2:3], v[22:23]
	v_add_f64 v[4:5], v[4:5], v[24:25]
.LBB18_60:
	s_or_b64 exec, exec, s[12:13]
	s_lshl_b32 s30, s22, 5
	s_ashr_i32 s31, s30, 31
	s_lshl_b64 s[26:27], s[30:31], 4
	v_mov_b32_e32 v8, s27
	v_add_co_u32_e32 v16, vcc, s26, v6
	v_addc_co_u32_e32 v22, vcc, v7, v8, vcc
	v_add_co_u32_e32 v6, vcc, 0x200, v16
	v_addc_co_u32_e32 v7, vcc, 0, v22, vcc
	s_and_b64 vcc, exec, s[28:29]
	s_barrier
	s_cbranch_vccz .LBB18_82
; %bb.61:
	v_sub_co_u32_e32 v9, vcc, v16, v14
	s_ashr_i32 s17, s16, 31
	v_subbrev_co_u32_e32 v11, vcc, 0, v22, vcc
	s_lshl_b64 s[34:35], s[16:17], 4
	v_mov_b32_e32 v12, s35
	v_add_co_u32_e32 v9, vcc, s34, v9
	v_addc_co_u32_e32 v11, vcc, v11, v12, vcc
	v_or_b32_e32 v8, 32, v10
	v_add_co_u32_e32 v12, vcc, -16, v9
	v_addc_co_u32_e32 v9, vcc, -1, v11, vcc
	v_cmp_gt_i32_e64 s[12:13], s16, v8
	s_sub_i32 s17, s16, 32
	s_movk_i32 s23, 0x210
	v_cndmask_b32_e64 v9, v9, v7, s[12:13]
	v_cndmask_b32_e64 v8, v12, v6, s[12:13]
	v_cmp_le_i32_e32 vcc, s17, v13
	v_mad_u32_u24 v12, v13, s23, v14
	s_and_saveexec_b64 s[36:37], vcc
	s_xor_b64 s[36:37], exec, s[36:37]
; %bb.62:
	v_mov_b32_e32 v23, 0
	v_mov_b32_e32 v24, v23
	;; [unrolled: 1-line block ×4, first 2 shown]
	ds_write_b128 v12, v[23:26]
                                        ; implicit-def: $vgpr12
; %bb.63:
	s_or_saveexec_b64 s[36:37], s[36:37]
	v_mul_u32_u24_e32 v11, 0x210, v13
	s_xor_b64 exec, exec, s[36:37]
	s_cbranch_execz .LBB18_65
; %bb.64:
	global_load_dwordx4 v[23:26], v[8:9], off
	s_waitcnt vmcnt(0)
	ds_write2_b64 v12, v[23:24], v[25:26] offset1:1
.LBB18_65:
	s_or_b64 exec, exec, s[36:37]
	v_add_u32_e32 v12, 8, v13
	v_cmp_le_i32_e32 vcc, s17, v12
	v_add_u32_e32 v12, v11, v14
	s_and_saveexec_b64 s[36:37], vcc
	s_xor_b64 s[36:37], exec, s[36:37]
; %bb.66:
	v_mov_b32_e32 v23, 0
	v_mov_b32_e32 v24, v23
	;; [unrolled: 1-line block ×4, first 2 shown]
	ds_write_b128 v12, v[23:26] offset:4224
; %bb.67:
	s_andn2_saveexec_b64 s[36:37], s[36:37]
	s_cbranch_execz .LBB18_69
; %bb.68:
	s_lshl_b32 s42, s22, 3
	s_ashr_i32 s43, s42, 31
	s_lshl_b64 s[42:43], s[42:43], 4
	v_mov_b32_e32 v24, s43
	v_add_co_u32_e32 v23, vcc, s42, v8
	v_addc_co_u32_e32 v24, vcc, v9, v24, vcc
	global_load_dwordx4 v[23:26], v[23:24], off
	s_movk_i32 s23, 0x1080
	v_add3_u32 v27, v11, v14, s23
	s_waitcnt vmcnt(0)
	ds_write2_b64 v27, v[23:24], v[25:26] offset1:1
.LBB18_69:
	s_or_b64 exec, exec, s[36:37]
	v_add_u32_e32 v23, 16, v13
	v_cmp_le_i32_e32 vcc, s17, v23
	s_and_saveexec_b64 s[36:37], vcc
	s_xor_b64 s[36:37], exec, s[36:37]
; %bb.70:
	v_mov_b32_e32 v23, 0
	v_mov_b32_e32 v24, v23
	;; [unrolled: 1-line block ×4, first 2 shown]
	ds_write_b128 v12, v[23:26] offset:8448
; %bb.71:
	s_andn2_saveexec_b64 s[36:37], s[36:37]
	s_cbranch_execz .LBB18_73
; %bb.72:
	s_lshl_b32 s42, s22, 4
	s_ashr_i32 s43, s42, 31
	s_lshl_b64 s[42:43], s[42:43], 4
	v_mov_b32_e32 v24, s43
	v_add_co_u32_e32 v23, vcc, s42, v8
	v_addc_co_u32_e32 v24, vcc, v9, v24, vcc
	global_load_dwordx4 v[23:26], v[23:24], off
	s_movk_i32 s23, 0x2100
	v_add3_u32 v27, v11, v14, s23
	s_waitcnt vmcnt(0)
	ds_write2_b64 v27, v[23:24], v[25:26] offset1:1
.LBB18_73:
	s_or_b64 exec, exec, s[36:37]
	v_add_u32_e32 v23, 24, v13
	v_cmp_le_i32_e32 vcc, s17, v23
	s_and_saveexec_b64 s[36:37], vcc
	s_xor_b64 s[36:37], exec, s[36:37]
; %bb.74:
	v_mov_b32_e32 v23, 0
	v_mov_b32_e32 v24, v23
	;; [unrolled: 1-line block ×4, first 2 shown]
	ds_write_b128 v12, v[23:26] offset:12672
                                        ; implicit-def: $vgpr11
; %bb.75:
	s_andn2_saveexec_b64 s[36:37], s[36:37]
	s_cbranch_execz .LBB18_77
; %bb.76:
	s_mul_i32 s42, s22, 24
	s_ashr_i32 s43, s42, 31
	s_lshl_b64 s[42:43], s[42:43], 4
	v_mov_b32_e32 v12, s43
	v_add_co_u32_e32 v23, vcc, s42, v8
	v_addc_co_u32_e32 v24, vcc, v9, v12, vcc
	global_load_dwordx4 v[23:26], v[23:24], off
	s_movk_i32 s17, 0x3180
	v_add3_u32 v11, v11, v14, s17
	s_waitcnt vmcnt(0)
	ds_write2_b64 v11, v[23:24], v[25:26] offset1:1
.LBB18_77:
	s_or_b64 exec, exec, s[36:37]
	v_add_co_u32_e32 v8, vcc, v8, v14
	v_addc_co_u32_e32 v9, vcc, 0, v9, vcc
	v_mov_b32_e32 v11, s35
	v_subrev_co_u32_e32 v8, vcc, s34, v8
	v_subb_co_u32_e32 v9, vcc, v9, v11, vcc
	v_add_co_u32_e32 v8, vcc, 0x210, v8
	v_addc_co_u32_e32 v9, vcc, 0, v9, vcc
	v_cndmask_b32_e64 v12, v9, v7, s[12:13]
	v_cndmask_b32_e64 v11, v8, v6, s[12:13]
	s_branch .LBB18_84
.LBB18_78:
	s_movk_i32 s10, 0x210
	v_mad_u32_u24 v2, v18, s10, v14
	ds_read_b128 v[2:5], v2
	s_mov_b64 s[2:3], exec
	v_add_u32_e32 v9, 16, v8
	s_waitcnt lgkmcnt(0)
	v_xor_b32_e32 v5, 0x80000000, v5
	ds_write_b64 v8, v[2:3] offset:16
	s_andn2_saveexec_b64 s[8:9], s[8:9]
	s_cbranch_execz .LBB18_40
.LBB18_79:
	v_cmp_eq_u32_e32 vcc, v18, v10
	s_mov_b64 s[10:11], s[2:3]
                                        ; implicit-def: $vgpr9
	s_and_saveexec_b64 s[12:13], vcc
; %bb.80:
	v_add_u32_e32 v9, v14, v15
	s_or_b64 s[10:11], s[2:3], exec
; %bb.81:
	s_or_b64 exec, exec, s[12:13]
	v_mov_b32_e32 v4, 0
	s_andn2_b64 s[2:3], s[2:3], exec
	s_and_b64 s[10:11], s[10:11], exec
	v_mov_b32_e32 v5, 0
	s_or_b64 s[2:3], s[2:3], s[10:11]
	s_or_b64 exec, exec, s[8:9]
	s_and_saveexec_b64 s[8:9], s[2:3]
	s_cbranch_execnz .LBB18_41
	s_branch .LBB18_42
.LBB18_82:
                                        ; implicit-def: $vgpr11_vgpr12
	s_cbranch_execz .LBB18_84
; %bb.83:
	s_lshl_b32 s12, s22, 3
	s_ashr_i32 s13, s12, 31
	s_lshl_b64 s[12:13], s[12:13], 4
	v_mov_b32_e32 v9, s13
	v_add_co_u32_e32 v8, vcc, s12, v16
	s_ashr_i32 s23, s22, 31
	v_addc_co_u32_e32 v9, vcc, v22, v9, vcc
	s_lshl_b64 s[12:13], s[22:23], 7
	global_load_dwordx4 v[22:25], v[6:7], off
	global_load_dwordx4 v[26:29], v[8:9], off offset:512
	v_mov_b32_e32 v12, s13
	v_add_co_u32_e32 v8, vcc, s12, v8
	v_addc_co_u32_e32 v9, vcc, v9, v12, vcc
	v_add_co_u32_e32 v11, vcc, s12, v8
	v_addc_co_u32_e32 v12, vcc, v9, v12, vcc
	global_load_dwordx4 v[30:33], v[8:9], off offset:512
	global_load_dwordx4 v[34:37], v[11:12], off offset:512
	s_movk_i32 s12, 0x210
	v_mad_u32_u24 v8, v13, s12, v14
	v_add_u32_e32 v11, 0x2100, v8
	v_add_u32_e32 v12, 0x3180, v8
	;; [unrolled: 1-line block ×3, first 2 shown]
	s_waitcnt vmcnt(3)
	ds_write2_b64 v8, v[22:23], v[24:25] offset1:1
	s_waitcnt vmcnt(2)
	ds_write2_b64 v9, v[26:27], v[28:29] offset1:1
	;; [unrolled: 2-line block ×4, first 2 shown]
	v_mov_b32_e32 v12, v7
	v_mov_b32_e32 v11, v6
.LBB18_84:
	v_mul_u32_u24_e32 v7, 0x840, v13
	s_mov_b64 s[12:13], 0
	s_waitcnt lgkmcnt(0)
	s_barrier
                                        ; implicit-def: $vgpr6
	s_and_saveexec_b64 s[34:35], s[4:5]
	s_xor_b64 s[4:5], exec, s[34:35]
	s_cbranch_execz .LBB18_88
; %bb.85:
	v_cmp_eq_u32_e32 vcc, v17, v10
                                        ; implicit-def: $vgpr6
	s_and_saveexec_b64 s[34:35], vcc
	s_xor_b64 s[34:35], exec, s[34:35]
; %bb.86:
	s_mov_b64 s[12:13], exec
	v_add_u32_e32 v6, v14, v15
; %bb.87:
	s_or_b64 exec, exec, s[34:35]
	s_and_b64 s[12:13], s[12:13], exec
.LBB18_88:
	s_or_saveexec_b64 s[4:5], s[4:5]
	v_mov_b32_e32 v8, 0
	v_mov_b32_e32 v9, 0
	v_add_u32_e32 v16, v14, v7
	v_lshl_add_u32 v22, v17, 4, v45
	s_xor_b64 exec, exec, s[4:5]
	s_cbranch_execz .LBB18_90
; %bb.89:
	ds_read_b128 v[6:9], v16
	s_or_b64 s[12:13], s[12:13], exec
	s_waitcnt lgkmcnt(0)
	v_xor_b32_e32 v9, 0x80000000, v9
	ds_write_b64 v22, v[6:7]
	v_mov_b32_e32 v6, v22
.LBB18_90:
	s_or_b64 exec, exec, s[4:5]
	v_mul_u32_u24_e32 v7, 0x210, v18
	s_and_saveexec_b64 s[4:5], s[12:13]
; %bb.91:
	ds_write_b64 v6, v[8:9] offset:8
; %bb.92:
	s_or_b64 exec, exec, s[4:5]
	s_mov_b64 s[4:5], 0
	v_add_u32_e32 v17, v14, v7
                                        ; implicit-def: $vgpr8_vgpr9
                                        ; implicit-def: $vgpr23
	s_and_saveexec_b64 s[12:13], s[14:15]
	s_xor_b64 s[12:13], exec, s[12:13]
	s_cbranch_execnz .LBB18_132
; %bb.93:
	s_andn2_saveexec_b64 s[12:13], s[12:13]
	s_cbranch_execnz .LBB18_133
.LBB18_94:
	s_or_b64 exec, exec, s[12:13]
	s_and_saveexec_b64 s[12:13], s[4:5]
.LBB18_95:
	ds_write_b64 v23, v[8:9] offset:8
.LBB18_96:
	s_or_b64 exec, exec, s[12:13]
	s_mov_b64 s[4:5], 0
                                        ; implicit-def: $vgpr18
	s_and_saveexec_b64 s[12:13], s[8:9]
	s_xor_b64 s[8:9], exec, s[12:13]
	s_cbranch_execz .LBB18_100
; %bb.97:
	v_cmp_eq_u32_e32 vcc, v19, v10
                                        ; implicit-def: $vgpr18
	s_and_saveexec_b64 s[12:13], vcc
; %bb.98:
	s_mov_b64 s[4:5], exec
	v_add_u32_e32 v18, v14, v15
; %bb.99:
	s_or_b64 exec, exec, s[12:13]
	s_and_b64 s[4:5], s[4:5], exec
.LBB18_100:
	s_or_saveexec_b64 s[8:9], s[8:9]
	v_mov_b32_e32 v8, 0
	v_mov_b32_e32 v9, 0
	s_xor_b64 exec, exec, s[8:9]
	s_cbranch_execz .LBB18_102
; %bb.101:
	ds_read_b128 v[6:9], v17 offset:528
	v_add_u32_e32 v18, 32, v22
	s_or_b64 s[4:5], s[4:5], exec
	s_waitcnt lgkmcnt(0)
	v_xor_b32_e32 v9, 0x80000000, v9
	ds_write_b64 v22, v[6:7] offset:32
.LBB18_102:
	s_or_b64 exec, exec, s[8:9]
	s_and_saveexec_b64 s[8:9], s[4:5]
; %bb.103:
	ds_write_b64 v18, v[8:9] offset:8
; %bb.104:
	s_or_b64 exec, exec, s[8:9]
	s_mov_b64 s[4:5], 0
                                        ; implicit-def: $vgpr18
	s_and_saveexec_b64 s[8:9], s[10:11]
	s_xor_b64 s[8:9], exec, s[8:9]
	s_cbranch_execz .LBB18_108
; %bb.105:
	v_cmp_eq_u32_e32 vcc, v20, v10
                                        ; implicit-def: $vgpr18
	s_and_saveexec_b64 s[10:11], vcc
; %bb.106:
	s_mov_b64 s[4:5], exec
	v_add_u32_e32 v18, v14, v15
; %bb.107:
	s_or_b64 exec, exec, s[10:11]
	s_and_b64 s[4:5], s[4:5], exec
                                        ; implicit-def: $vgpr22
.LBB18_108:
	s_or_saveexec_b64 s[8:9], s[8:9]
	v_mov_b32_e32 v8, 0
	v_mov_b32_e32 v9, 0
	s_xor_b64 exec, exec, s[8:9]
	s_cbranch_execz .LBB18_110
; %bb.109:
	ds_read_b128 v[6:9], v17 offset:1056
	v_add_u32_e32 v18, 48, v22
	s_or_b64 s[4:5], s[4:5], exec
	s_waitcnt lgkmcnt(0)
	v_xor_b32_e32 v9, 0x80000000, v9
	ds_write_b64 v22, v[6:7] offset:48
.LBB18_110:
	s_or_b64 exec, exec, s[8:9]
	v_add_u32_e32 v15, 0x4700, v21
	s_and_saveexec_b64 s[8:9], s[4:5]
; %bb.111:
	ds_write_b64 v18, v[8:9] offset:8
; %bb.112:
	s_or_b64 exec, exec, s[8:9]
	s_waitcnt lgkmcnt(0)
	s_barrier
	ds_read_b128 v[6:9], v16
	ds_read_b128 v[18:21], v15 offset:512
	ds_read_b128 v[22:25], v15 offset:528
	;; [unrolled: 1-line block ×3, first 2 shown]
	ds_read_b128 v[30:33], v17
	ds_read_b128 v[34:37], v15 offset:544
	ds_read_b128 v[47:50], v17 offset:528
	v_cmp_eq_u32_e64 s[4:5], 1, v13
	s_waitcnt lgkmcnt(5)
	v_mul_f64 v[42:43], v[20:21], v[8:9]
	v_mul_f64 v[8:9], v[18:19], v[8:9]
	s_waitcnt lgkmcnt(2)
	v_mul_f64 v[51:52], v[24:25], v[32:33]
	v_mul_f64 v[32:33], v[22:23], v[32:33]
	v_fma_f64 v[18:19], v[18:19], v[6:7], -v[42:43]
	v_fma_f64 v[20:21], v[20:21], v[6:7], v[8:9]
	s_waitcnt lgkmcnt(0)
	v_mul_f64 v[42:43], v[36:37], v[49:50]
	v_mul_f64 v[49:50], v[34:35], v[49:50]
	v_fma_f64 v[22:23], v[22:23], v[30:31], -v[51:52]
	v_fma_f64 v[24:25], v[24:25], v[30:31], v[32:33]
	ds_read_b128 v[6:9], v15 offset:560
	s_waitcnt lgkmcnt(0)
	v_add_f64 v[18:19], v[18:19], 0
	v_add_f64 v[20:21], v[20:21], 0
	v_fma_f64 v[32:33], v[34:35], v[47:48], -v[42:43]
	v_mul_f64 v[30:31], v[8:9], v[28:29]
	v_mul_f64 v[28:29], v[6:7], v[28:29]
	v_fma_f64 v[34:35], v[36:37], v[47:48], v[49:50]
	s_barrier
	v_add_f64 v[18:19], v[18:19], v[22:23]
	v_add_f64 v[20:21], v[20:21], v[24:25]
	v_fma_f64 v[6:7], v[6:7], v[26:27], -v[30:31]
	v_fma_f64 v[8:9], v[8:9], v[26:27], v[28:29]
	v_add_f64 v[18:19], v[18:19], v[32:33]
	v_add_f64 v[20:21], v[20:21], v[34:35]
	;; [unrolled: 1-line block ×4, first 2 shown]
	ds_write_b128 v46, v[6:9]
	s_waitcnt lgkmcnt(0)
	s_barrier
	s_and_saveexec_b64 s[8:9], s[4:5]
	s_cbranch_execz .LBB18_114
; %bb.113:
	ds_read_b128 v[2:5], v45
	ds_read_b128 v[6:9], v45 offset:16
	s_waitcnt lgkmcnt(0)
	v_add_f64 v[18:19], v[6:7], v[2:3]
	v_add_f64 v[20:21], v[8:9], v[4:5]
	ds_read_b128 v[2:5], v45 offset:32
	ds_read_b128 v[6:9], v45 offset:48
	s_waitcnt lgkmcnt(1)
	v_add_f64 v[2:3], v[18:19], v[2:3]
	v_add_f64 v[4:5], v[20:21], v[4:5]
	s_waitcnt lgkmcnt(0)
	v_add_f64 v[18:19], v[2:3], v[6:7]
	v_add_f64 v[20:21], v[4:5], v[8:9]
	ds_read_b128 v[2:5], v45 offset:64
	ds_read_b128 v[6:9], v45 offset:80
	s_waitcnt lgkmcnt(1)
	v_add_f64 v[2:3], v[18:19], v[2:3]
	v_add_f64 v[4:5], v[20:21], v[4:5]
	;; [unrolled: 8-line block ×3, first 2 shown]
	s_waitcnt lgkmcnt(0)
	v_add_f64 v[2:3], v[2:3], v[6:7]
	v_add_f64 v[4:5], v[4:5], v[8:9]
.LBB18_114:
	s_or_b64 exec, exec, s[8:9]
	v_add_co_u32_e32 v6, vcc, 0xfffffe00, v11
	v_addc_co_u32_e32 v7, vcc, -1, v12, vcc
	s_and_b64 vcc, exec, s[28:29]
	s_barrier
	s_cbranch_vccz .LBB18_136
; %bb.115:
	v_sub_co_u32_e32 v8, vcc, v11, v14
	s_ashr_i32 s17, s16, 31
	v_subbrev_co_u32_e32 v9, vcc, 0, v12, vcc
	s_lshl_b64 s[10:11], s[16:17], 4
	v_mov_b32_e32 v18, s11
	v_add_co_u32_e32 v8, vcc, s10, v8
	v_addc_co_u32_e32 v9, vcc, v9, v18, vcc
	v_add_co_u32_e32 v8, vcc, 0xfffffdf0, v8
	v_addc_co_u32_e32 v9, vcc, -1, v9, vcc
	v_cmp_gt_i32_e32 vcc, s16, v10
	s_sub_i32 s14, s16, 32
	s_movk_i32 s12, 0x210
	v_cndmask_b32_e32 v9, v9, v7, vcc
	v_cndmask_b32_e32 v8, v8, v6, vcc
	v_cmp_le_i32_e64 s[8:9], s14, v13
	v_mad_u32_u24 v10, v13, s12, v14
	s_and_saveexec_b64 s[12:13], s[8:9]
	s_xor_b64 s[8:9], exec, s[12:13]
; %bb.116:
	v_mov_b32_e32 v18, 0
	v_mov_b32_e32 v19, v18
	;; [unrolled: 1-line block ×4, first 2 shown]
	ds_write_b128 v10, v[18:21]
                                        ; implicit-def: $vgpr10
; %bb.117:
	s_or_saveexec_b64 s[8:9], s[8:9]
	v_mul_u32_u24_e32 v20, 0x210, v13
	s_xor_b64 exec, exec, s[8:9]
	s_cbranch_execz .LBB18_119
; %bb.118:
	global_load_dwordx4 v[21:24], v[8:9], off
	s_waitcnt vmcnt(0)
	ds_write2_b64 v10, v[21:22], v[23:24] offset1:1
.LBB18_119:
	s_or_b64 exec, exec, s[8:9]
	v_add_u32_e32 v10, 8, v13
	v_cmp_le_i32_e64 s[8:9], s14, v10
	v_add_u32_e32 v21, v20, v14
	s_and_saveexec_b64 s[12:13], s[8:9]
	s_xor_b64 s[8:9], exec, s[12:13]
; %bb.120:
	v_mov_b32_e32 v22, 0
	v_mov_b32_e32 v23, v22
	;; [unrolled: 1-line block ×4, first 2 shown]
	ds_write_b128 v21, v[22:25] offset:4224
; %bb.121:
	s_andn2_saveexec_b64 s[12:13], s[8:9]
	s_cbranch_execz .LBB18_123
; %bb.122:
	s_lshl_b32 s8, s22, 3
	s_ashr_i32 s9, s8, 31
	s_lshl_b64 s[8:9], s[8:9], 4
	v_mov_b32_e32 v19, s9
	v_add_co_u32_e64 v18, s[8:9], s8, v8
	v_addc_co_u32_e64 v19, s[8:9], v9, v19, s[8:9]
	global_load_dwordx4 v[22:25], v[18:19], off
	s_movk_i32 s8, 0x1080
	v_add3_u32 v18, v20, v14, s8
	s_waitcnt vmcnt(0)
	ds_write2_b64 v18, v[22:23], v[24:25] offset1:1
.LBB18_123:
	s_or_b64 exec, exec, s[12:13]
	v_add_u32_e32 v19, 16, v13
	v_cmp_le_i32_e64 s[8:9], s14, v19
	s_and_saveexec_b64 s[12:13], s[8:9]
	s_xor_b64 s[8:9], exec, s[12:13]
; %bb.124:
	v_mov_b32_e32 v22, 0
	v_mov_b32_e32 v23, v22
	;; [unrolled: 1-line block ×4, first 2 shown]
	ds_write_b128 v21, v[22:25] offset:8448
; %bb.125:
	s_andn2_saveexec_b64 s[12:13], s[8:9]
	s_cbranch_execz .LBB18_127
; %bb.126:
	s_lshl_b32 s8, s22, 4
	s_ashr_i32 s9, s8, 31
	s_lshl_b64 s[8:9], s[8:9], 4
	v_mov_b32_e32 v18, s9
	v_add_co_u32_e64 v22, s[8:9], s8, v8
	v_addc_co_u32_e64 v23, s[8:9], v9, v18, s[8:9]
	global_load_dwordx4 v[22:25], v[22:23], off
	s_movk_i32 s8, 0x2100
	v_add3_u32 v18, v20, v14, s8
	s_waitcnt vmcnt(0)
	ds_write2_b64 v18, v[22:23], v[24:25] offset1:1
.LBB18_127:
	s_or_b64 exec, exec, s[12:13]
	v_add_u32_e32 v18, 24, v13
	v_cmp_le_i32_e64 s[8:9], s14, v18
	s_and_saveexec_b64 s[12:13], s[8:9]
	s_xor_b64 s[8:9], exec, s[12:13]
; %bb.128:
	v_mov_b32_e32 v22, 0
	v_mov_b32_e32 v23, v22
	;; [unrolled: 1-line block ×4, first 2 shown]
	ds_write_b128 v21, v[22:25] offset:12672
                                        ; implicit-def: $vgpr20
; %bb.129:
	s_andn2_saveexec_b64 s[12:13], s[8:9]
	s_cbranch_execz .LBB18_131
; %bb.130:
	s_mul_i32 s8, s22, 24
	s_ashr_i32 s9, s8, 31
	s_lshl_b64 s[8:9], s[8:9], 4
	v_mov_b32_e32 v22, s9
	v_add_co_u32_e64 v21, s[8:9], s8, v8
	v_addc_co_u32_e64 v22, s[8:9], v9, v22, s[8:9]
	global_load_dwordx4 v[21:24], v[21:22], off
	s_movk_i32 s8, 0x3180
	v_add3_u32 v20, v20, v14, s8
	s_waitcnt vmcnt(0)
	ds_write2_b64 v20, v[21:22], v[23:24] offset1:1
.LBB18_131:
	s_or_b64 exec, exec, s[12:13]
	v_add_co_u32_e64 v8, s[8:9], v8, v14
	v_addc_co_u32_e64 v9, s[8:9], 0, v9, s[8:9]
	v_mov_b32_e32 v20, s11
	v_subrev_co_u32_e64 v8, s[8:9], s10, v8
	v_subb_co_u32_e64 v9, s[8:9], v9, v20, s[8:9]
	v_add_co_u32_e64 v8, s[8:9], 16, v8
	v_addc_co_u32_e64 v9, s[8:9], 0, v9, s[8:9]
	v_cndmask_b32_e32 v43, v9, v7, vcc
	v_cndmask_b32_e32 v42, v8, v6, vcc
	s_branch .LBB18_138
.LBB18_132:
	ds_read_b128 v[6:9], v17
	s_mov_b64 s[4:5], exec
	v_add_u32_e32 v23, 16, v22
                                        ; implicit-def: $vgpr18
	s_waitcnt lgkmcnt(0)
	v_xor_b32_e32 v9, 0x80000000, v9
	ds_write_b64 v22, v[6:7] offset:16
	s_andn2_saveexec_b64 s[12:13], s[12:13]
	s_cbranch_execz .LBB18_94
.LBB18_133:
	v_cmp_eq_u32_e32 vcc, v18, v10
	s_mov_b64 s[14:15], s[4:5]
                                        ; implicit-def: $vgpr23
	s_and_saveexec_b64 s[34:35], vcc
; %bb.134:
	v_add_u32_e32 v23, v14, v15
	s_or_b64 s[14:15], s[4:5], exec
; %bb.135:
	s_or_b64 exec, exec, s[34:35]
	v_mov_b32_e32 v8, 0
	s_andn2_b64 s[4:5], s[4:5], exec
	s_and_b64 s[14:15], s[14:15], exec
	v_mov_b32_e32 v9, 0
	s_or_b64 s[4:5], s[4:5], s[14:15]
	s_or_b64 exec, exec, s[12:13]
	s_and_saveexec_b64 s[12:13], s[4:5]
	s_cbranch_execnz .LBB18_95
	s_branch .LBB18_96
.LBB18_136:
                                        ; implicit-def: $vgpr42_vgpr43
                                        ; implicit-def: $vgpr10
                                        ; implicit-def: $vgpr19
                                        ; implicit-def: $vgpr18
	s_cbranch_execz .LBB18_138
; %bb.137:
	s_lshl_b32 s8, s22, 3
	s_ashr_i32 s9, s8, 31
	s_lshl_b64 s[8:9], s[8:9], 4
	v_mov_b32_e32 v9, s9
	v_add_co_u32_e32 v8, vcc, s8, v11
	s_ashr_i32 s23, s22, 31
	v_addc_co_u32_e32 v9, vcc, v12, v9, vcc
	s_lshl_b64 s[8:9], s[22:23], 7
	global_load_dwordx4 v[20:23], v[6:7], off
	global_load_dwordx4 v[24:27], v[8:9], off offset:-512
	v_mov_b32_e32 v11, s9
	v_add_co_u32_e32 v8, vcc, s8, v8
	v_addc_co_u32_e32 v9, vcc, v9, v11, vcc
	v_add_co_u32_e32 v10, vcc, s8, v8
	v_addc_co_u32_e32 v11, vcc, v9, v11, vcc
	global_load_dwordx4 v[28:31], v[8:9], off offset:-512
	global_load_dwordx4 v[32:35], v[10:11], off offset:-512
	s_movk_i32 s8, 0x210
	v_mov_b32_e32 v43, v7
	v_add_u32_e32 v10, 8, v13
	v_add_u32_e32 v19, 16, v13
	;; [unrolled: 1-line block ×3, first 2 shown]
	v_mad_u32_u24 v8, v13, s8, v14
	v_mov_b32_e32 v42, v6
	v_add_u32_e32 v9, 0x1080, v8
	v_add_u32_e32 v11, 0x2100, v8
	;; [unrolled: 1-line block ×3, first 2 shown]
	s_waitcnt vmcnt(3)
	ds_write2_b64 v8, v[20:21], v[22:23] offset1:1
	s_waitcnt vmcnt(2)
	ds_write2_b64 v9, v[24:25], v[26:27] offset1:1
	;; [unrolled: 2-line block ×4, first 2 shown]
.LBB18_138:
	v_lshlrev_b32_e32 v11, 4, v13
	v_lshlrev_b32_e32 v10, 4, v10
	v_add_u32_e32 v6, v45, v11
	v_add_u32_e32 v20, v45, v10
	s_waitcnt lgkmcnt(0)
	s_barrier
	ds_read_b128 v[6:9], v6
	ds_read_b128 v[11:14], v11 offset:18176
	ds_read_b128 v[20:23], v20
	ds_read_b128 v[24:27], v10 offset:18176
	v_lshlrev_b32_e32 v10, 4, v19
	v_add_u32_e32 v19, v45, v10
	ds_read_b128 v[28:31], v19
	ds_read_b128 v[32:35], v10 offset:18176
	s_waitcnt lgkmcnt(4)
	v_mul_f64 v[36:37], v[8:9], v[13:14]
	v_mul_f64 v[8:9], v[8:9], v[11:12]
	s_waitcnt lgkmcnt(2)
	v_mul_f64 v[47:48], v[22:23], v[26:27]
	v_mul_f64 v[22:23], v[22:23], v[24:25]
	v_fma_f64 v[10:11], v[6:7], v[11:12], v[36:37]
	s_waitcnt lgkmcnt(0)
	v_mul_f64 v[36:37], v[30:31], v[34:35]
	v_fma_f64 v[24:25], v[20:21], v[24:25], v[47:48]
	v_fma_f64 v[47:48], v[6:7], v[13:14], -v[8:9]
	v_mul_f64 v[30:31], v[30:31], v[32:33]
	v_add_f64 v[49:50], v[10:11], 0
	v_lshlrev_b32_e32 v10, 4, v18
	v_fma_f64 v[18:19], v[20:21], v[26:27], -v[22:23]
	v_add_f64 v[20:21], v[47:48], 0
	v_add_u32_e32 v6, v45, v10
	ds_read_b128 v[6:9], v6
	ds_read_b128 v[10:13], v10 offset:18176
	v_add_f64 v[22:23], v[49:50], v[24:25]
	v_fma_f64 v[24:25], v[28:29], v[32:33], v[36:37]
	s_waitcnt lgkmcnt(0)
	v_mul_f64 v[26:27], v[8:9], v[12:13]
	v_mul_f64 v[8:9], v[8:9], v[10:11]
	v_fma_f64 v[28:29], v[28:29], v[34:35], -v[30:31]
	v_add_f64 v[18:19], v[20:21], v[18:19]
	v_add_f64 v[34:35], v[22:23], v[24:25]
	v_fma_f64 v[20:21], v[6:7], v[10:11], v[26:27]
	v_fma_f64 v[26:27], v[6:7], v[12:13], -v[8:9]
	ds_read_b128 v[30:33], v15 offset:512
	ds_read_b128 v[22:25], v15 offset:528
	;; [unrolled: 1-line block ×4, first 2 shown]
	v_add_f64 v[18:19], v[18:19], v[28:29]
	v_add_f64 v[47:48], v[34:35], v[20:21]
	;; [unrolled: 1-line block ×3, first 2 shown]
	ds_read_b128 v[26:29], v17
	ds_read_b128 v[18:21], v17 offset:528
	ds_read_b128 v[34:37], v16
	ds_read_b128 v[14:17], v17 offset:1056
	s_waitcnt lgkmcnt(0)
	s_barrier
	ds_write_b128 v46, v[47:50]
	s_waitcnt lgkmcnt(0)
	s_barrier
	s_and_saveexec_b64 s[8:9], s[4:5]
	s_cbranch_execz .LBB18_140
; %bb.139:
	ds_read_b128 v[47:50], v45
	ds_read_b128 v[51:54], v45 offset:16
	s_waitcnt lgkmcnt(1)
	v_add_f64 v[2:3], v[2:3], v[47:48]
	v_add_f64 v[4:5], v[4:5], v[49:50]
	s_waitcnt lgkmcnt(0)
	v_add_f64 v[51:52], v[2:3], v[51:52]
	v_add_f64 v[53:54], v[4:5], v[53:54]
	ds_read_b128 v[2:5], v45 offset:32
	ds_read_b128 v[47:50], v45 offset:48
	s_waitcnt lgkmcnt(1)
	v_add_f64 v[2:3], v[51:52], v[2:3]
	v_add_f64 v[4:5], v[53:54], v[4:5]
	s_waitcnt lgkmcnt(0)
	v_add_f64 v[51:52], v[2:3], v[47:48]
	v_add_f64 v[53:54], v[4:5], v[49:50]
	ds_read_b128 v[2:5], v45 offset:64
	;; [unrolled: 8-line block ×3, first 2 shown]
	ds_read_b128 v[47:50], v45 offset:112
	s_waitcnt lgkmcnt(1)
	v_add_f64 v[2:3], v[51:52], v[2:3]
	v_add_f64 v[4:5], v[53:54], v[4:5]
	s_waitcnt lgkmcnt(0)
	v_add_f64 v[2:3], v[2:3], v[47:48]
	v_add_f64 v[4:5], v[4:5], v[49:50]
.LBB18_140:
	s_or_b64 exec, exec, s[8:9]
	v_mul_f64 v[47:48], v[32:33], v[36:37]
	v_mul_f64 v[36:37], v[30:31], v[36:37]
	;; [unrolled: 1-line block ×4, first 2 shown]
	s_barrier
	v_fma_f64 v[30:31], v[30:31], v[34:35], -v[47:48]
	v_fma_f64 v[32:33], v[32:33], v[34:35], v[36:37]
	v_mul_f64 v[34:35], v[12:13], v[20:21]
	v_mul_f64 v[20:21], v[10:11], v[20:21]
	v_fma_f64 v[22:23], v[22:23], v[26:27], -v[49:50]
	v_fma_f64 v[24:25], v[24:25], v[26:27], v[28:29]
	v_add_f64 v[26:27], v[30:31], 0
	v_add_f64 v[28:29], v[32:33], 0
	v_mul_f64 v[30:31], v[8:9], v[16:17]
	v_mul_f64 v[16:17], v[6:7], v[16:17]
	v_fma_f64 v[10:11], v[10:11], v[18:19], -v[34:35]
	v_fma_f64 v[12:13], v[12:13], v[18:19], v[20:21]
	v_add_f64 v[18:19], v[26:27], v[22:23]
	v_add_f64 v[20:21], v[28:29], v[24:25]
	v_fma_f64 v[6:7], v[6:7], v[14:15], -v[30:31]
	v_fma_f64 v[8:9], v[8:9], v[14:15], v[16:17]
	v_add_f64 v[10:11], v[18:19], v[10:11]
	v_add_f64 v[12:13], v[20:21], v[12:13]
	;; [unrolled: 1-line block ×4, first 2 shown]
	ds_write_b128 v46, v[6:9]
	s_waitcnt lgkmcnt(0)
	s_barrier
	s_and_saveexec_b64 s[4:5], s[2:3]
	s_cbranch_execz .LBB18_142
; %bb.141:
	ds_read_b128 v[6:9], v45
	ds_read_b128 v[10:13], v45 offset:16
	s_waitcnt lgkmcnt(1)
	v_add_f64 v[2:3], v[2:3], v[6:7]
	v_add_f64 v[4:5], v[4:5], v[8:9]
	s_waitcnt lgkmcnt(0)
	v_add_f64 v[10:11], v[2:3], v[10:11]
	v_add_f64 v[12:13], v[4:5], v[12:13]
	ds_read_b128 v[2:5], v45 offset:32
	ds_read_b128 v[6:9], v45 offset:48
	s_waitcnt lgkmcnt(1)
	v_add_f64 v[2:3], v[10:11], v[2:3]
	v_add_f64 v[4:5], v[12:13], v[4:5]
	s_waitcnt lgkmcnt(0)
	v_add_f64 v[10:11], v[2:3], v[6:7]
	v_add_f64 v[12:13], v[4:5], v[8:9]
	ds_read_b128 v[2:5], v45 offset:64
	;; [unrolled: 8-line block ×3, first 2 shown]
	ds_read_b128 v[6:9], v45 offset:112
	s_waitcnt lgkmcnt(1)
	v_add_f64 v[2:3], v[10:11], v[2:3]
	v_add_f64 v[4:5], v[12:13], v[4:5]
	s_waitcnt lgkmcnt(0)
	v_add_f64 v[2:3], v[2:3], v[6:7]
	v_add_f64 v[4:5], v[4:5], v[8:9]
.LBB18_142:
	s_or_b64 exec, exec, s[4:5]
	s_mul_hi_u32 s2, s40, s7
	s_mul_i32 s41, s41, s7
	s_add_i32 s2, s2, s41
	s_mul_i32 s4, s40, s7
	s_mul_i32 s2, s2, s33
	s_mul_hi_u32 s3, s4, s33
	s_add_i32 s3, s3, s2
	s_mul_i32 s2, s4, s33
	s_lshl_b64 s[2:3], s[2:3], 4
	s_add_u32 s4, s18, s2
	s_addc_u32 s5, s19, s3
	s_mul_hi_i32 s3, s40, s6
	s_mul_i32 s2, s40, s6
	s_lshl_b64 s[2:3], s[2:3], 4
	s_add_u32 s7, s4, s2
	s_addc_u32 s17, s5, s3
	s_add_i32 s8, s6, 1
	s_cmp_ge_u32 s8, s33
	v_lshlrev_b32_e32 v170, 4, v0
	s_barrier
	s_cbranch_scc1 .LBB18_200
; %bb.143:
	s_mul_i32 s2, s39, s24
	s_ashr_i32 s3, s2, 31
	v_lshlrev_b32_e32 v171, 2, v1
	s_lshl_b64 s[2:3], s[2:3], 4
	v_mov_b32_e32 v8, s3
	v_mad_u64_u32 v[6:7], s[4:5], s22, v171, v[0:1]
	v_subrev_co_u32_e32 v172, vcc, s2, v38
	v_subb_co_u32_e32 v173, vcc, v39, v8, vcc
	v_lshrrev_b32_e32 v8, 4, v44
	v_mov_b32_e32 v10, 0x4300
	v_lshl_add_u32 v175, v1, 6, v10
	v_lshlrev_b32_e32 v10, 6, v8
	v_mul_i32_i24_e32 v12, 0xffffffd0, v8
	v_and_b32_e32 v8, 48, v0
	v_and_b32_e32 v9, 15, v0
	s_movk_i32 s4, 0x430
	v_lshlrev_b32_e32 v8, 4, v8
	v_ashrrev_i32_e32 v7, 31, v6
	v_mad_u32_u24 v179, v9, s4, v8
	v_or_b32_e32 v8, 0xf0, v170
	v_mad_u32_u24 v178, v9, s4, v10
	v_mad_u32_u24 v180, v9, s4, v8
	v_sub_co_u32_e32 v196, vcc, 0, v40
	v_lshlrev_b64 v[8:9], 4, v[6:7]
	v_subb_co_u32_e32 v197, vcc, 0, v41, vcc
	v_mov_b32_e32 v10, s27
	v_add_co_u32_e32 v11, vcc, s26, v8
	v_addc_co_u32_e32 v10, vcc, v10, v9, vcc
	v_add_co_u32_e32 v11, vcc, v42, v11
	v_addc_co_u32_e32 v10, vcc, v43, v10, vcc
	;; [unrolled: 2-line block ×3, first 2 shown]
	v_mov_b32_e32 v10, s31
	v_add_co_u32_e32 v6, vcc, s30, v6
	v_addc_co_u32_e32 v7, vcc, v10, v7, vcc
	v_lshlrev_b64 v[6:7], 4, v[6:7]
	s_lshl_b32 s14, s22, 4
	s_lshl_b32 s25, s39, 6
	s_mul_i32 s39, s39, s8
	v_mad_i64_i32 v[10:11], s[8:9], s14, 48, v[6:7]
	s_mul_i32 s28, s22, 3
	s_ashr_i32 s29, s28, 31
	s_lshl_b64 s[8:9], s[28:29], 4
	s_ashr_i32 s15, s14, 31
	s_ashr_i32 s23, s22, 31
	s_lshl_b32 s18, s22, 1
	v_mov_b32_e32 v13, s9
	v_add_co_u32_e32 v14, vcc, s8, v10
	s_add_i32 s24, s33, -2
	s_ashr_i32 s19, s18, 31
	s_lshl_b64 s[4:5], s[22:23], 4
	s_lshl_b32 s10, s39, 6
	s_lshl_b64 s[12:13], s[14:15], 6
	s_mul_i32 s11, s22, 0x300
	v_addc_co_u32_e32 v13, vcc, v11, v13, vcc
	s_lshl_b64 s[22:23], s[22:23], 5
	v_add_co_u32_e32 v200, vcc, v42, v14
	s_add_u32 s28, s22, s26
	v_addc_co_u32_e32 v201, vcc, v43, v13, vcc
	s_addc_u32 s29, s23, s27
	v_mov_b32_e32 v13, s29
	v_add_co_u32_e32 v14, vcc, s28, v8
	v_addc_co_u32_e32 v13, vcc, v13, v9, vcc
	s_mul_hi_i32 s34, s14, 48
	v_add_co_u32_e32 v202, vcc, v42, v14
	s_add_u32 s11, s11, s22
	v_addc_co_u32_e32 v203, vcc, v43, v13, vcc
	s_addc_u32 s22, s34, s23
	v_mov_b32_e32 v13, s22
	v_add_co_u32_e32 v6, vcc, s11, v6
	v_addc_co_u32_e32 v7, vcc, v13, v7, vcc
	v_add_co_u32_e32 v6, vcc, v42, v6
	v_addc_co_u32_e32 v7, vcc, v43, v7, vcc
	v_add_co_u32_e32 v204, vcc, 8, v6
	s_add_u32 s11, s4, s26
	v_addc_co_u32_e32 v205, vcc, 0, v7, vcc
	s_addc_u32 s30, s5, s27
	v_mov_b32_e32 v6, s30
	v_add_co_u32_e32 v7, vcc, s11, v8
	v_addc_co_u32_e32 v6, vcc, v6, v9, vcc
	v_add_co_u32_e32 v7, vcc, v42, v7
	v_addc_co_u32_e32 v6, vcc, v43, v6, vcc
	;; [unrolled: 2-line block ×3, first 2 shown]
	s_lshl_b64 s[18:19], s[18:19], 4
	v_mov_b32_e32 v6, s19
	v_add_co_u32_e32 v7, vcc, s18, v10
	v_addc_co_u32_e32 v6, vcc, v11, v6, vcc
	v_add_co_u32_e32 v208, vcc, v42, v7
	s_add_u32 s22, s26, s18
	v_addc_co_u32_e32 v209, vcc, v43, v6, vcc
	s_addc_u32 s23, s27, s19
	v_mov_b32_e32 v6, s23
	v_add_co_u32_e32 v7, vcc, s22, v8
	v_addc_co_u32_e32 v6, vcc, v6, v9, vcc
	v_add_co_u32_e32 v7, vcc, v42, v7
	v_addc_co_u32_e32 v6, vcc, v43, v6, vcc
	;; [unrolled: 2-line block ×3, first 2 shown]
	v_mov_b32_e32 v6, s5
	v_add_co_u32_e32 v7, vcc, s4, v10
	v_addc_co_u32_e32 v6, vcc, v11, v6, vcc
	v_add_co_u32_e32 v212, vcc, v42, v7
	s_add_u32 s22, s26, s8
	v_addc_co_u32_e32 v213, vcc, v43, v6, vcc
	s_addc_u32 s23, s27, s9
	v_mov_b32_e32 v6, s23
	v_add_co_u32_e32 v7, vcc, s22, v8
	v_addc_co_u32_e32 v6, vcc, v6, v9, vcc
	v_add_co_u32_e32 v7, vcc, v42, v7
	v_addc_co_u32_e32 v6, vcc, v43, v6, vcc
	;; [unrolled: 2-line block ×3, first 2 shown]
	s_lshl_b64 s[22:23], s[14:15], 4
	v_add_co_u32_e32 v216, vcc, v42, v10
	s_add_u32 s31, s26, s22
	v_addc_co_u32_e32 v217, vcc, v43, v11, vcc
	s_addc_u32 s34, s27, s23
	v_mov_b32_e32 v6, s34
	v_add_co_u32_e32 v7, vcc, s31, v8
	v_addc_co_u32_e32 v6, vcc, v6, v9, vcc
	s_lshl_b64 s[14:15], s[14:15], 5
	v_add_co_u32_e32 v7, vcc, v42, v7
	s_add_u32 s26, s14, s26
	v_addc_co_u32_e32 v6, vcc, v43, v6, vcc
	s_addc_u32 s27, s15, s27
	v_add_co_u32_e32 v218, vcc, 8, v7
	s_add_u32 s35, s26, s8
	v_addc_co_u32_e32 v219, vcc, 0, v6, vcc
	s_addc_u32 s36, s27, s9
	v_mov_b32_e32 v6, s36
	v_add_co_u32_e32 v7, vcc, s35, v8
	v_addc_co_u32_e32 v6, vcc, v6, v9, vcc
	v_add_co_u32_e32 v220, vcc, v42, v7
	s_add_u32 s11, s11, s22
	v_addc_co_u32_e32 v221, vcc, v43, v6, vcc
	s_addc_u32 s30, s30, s23
	v_mov_b32_e32 v6, s30
	v_add_co_u32_e32 v7, vcc, s11, v8
	v_addc_co_u32_e32 v6, vcc, v6, v9, vcc
	v_add_co_u32_e32 v7, vcc, v42, v7
	v_addc_co_u32_e32 v6, vcc, v43, v6, vcc
	v_add_co_u32_e32 v222, vcc, 8, v7
	s_add_u32 s11, s28, s14
	v_addc_co_u32_e32 v223, vcc, 0, v6, vcc
	s_addc_u32 s14, s29, s15
	v_mov_b32_e32 v6, s14
	v_add_co_u32_e32 v7, vcc, s11, v8
	v_addc_co_u32_e32 v6, vcc, v6, v9, vcc
	;; [unrolled: 9-line block ×4, first 2 shown]
	v_add_co_u32_e32 v228, vcc, v42, v7
	s_add_u32 s11, s28, s22
	v_addc_co_u32_e32 v229, vcc, v43, v6, vcc
	s_addc_u32 s14, s29, s23
	v_mov_b32_e32 v6, s14
	v_add_co_u32_e32 v7, vcc, s11, v8
	v_addc_co_u32_e32 v6, vcc, v6, v9, vcc
	v_add_co_u32_e32 v230, vcc, v42, v7
	s_add_u32 s4, s26, s4
	v_addc_co_u32_e32 v231, vcc, v43, v6, vcc
	s_addc_u32 s5, s27, s5
	v_mov_b32_e32 v6, s5
	v_add_co_u32_e32 v7, vcc, s4, v8
	v_addc_co_u32_e32 v6, vcc, v6, v9, vcc
	;; [unrolled: 7-line block ×3, first 2 shown]
	v_add_co_u32_e32 v7, vcc, v42, v7
	v_addc_co_u32_e32 v6, vcc, v43, v6, vcc
	v_add_co_u32_e32 v234, vcc, 8, v7
	v_addc_co_u32_e32 v235, vcc, 0, v6, vcc
	v_mov_b32_e32 v6, s27
	v_add_co_u32_e32 v7, vcc, s26, v8
	v_addc_co_u32_e32 v6, vcc, v6, v9, vcc
	v_add_co_u32_e32 v7, vcc, v42, v7
	v_addc_co_u32_e32 v6, vcc, v43, v6, vcc
	s_movk_i32 s2, 0x10c0
	v_add_co_u32_e32 v236, vcc, 8, v7
	v_add_u32_e32 v174, 0x4300, v170
	v_add_u32_e32 v176, 0x4700, v170
	v_mad_u32_u24 v177, v1, s2, v170
	v_cmp_gt_u32_e64 s[2:3], 64, v44
	v_or_b32_e32 v181, 1, v171
	v_or_b32_e32 v182, 2, v171
	;; [unrolled: 1-line block ×3, first 2 shown]
	v_add_u32_e32 v184, 16, v171
	v_add_u32_e32 v185, 17, v171
	;; [unrolled: 1-line block ×13, first 2 shown]
	v_addc_co_u32_e32 v237, vcc, 0, v6, vcc
	v_add_u32_e32 v238, v178, v12
	v_mov_b32_e32 v6, 0
	s_cmp_eq_u32 s24, s6
	s_cselect_b32 s22, s38, 0
	s_and_saveexec_b64 s[4:5], s[0:1]
	s_cbranch_execz .LBB18_148
.LBB18_144:
	s_cmp_lg_u32 s22, 0
	s_cselect_b64 s[8:9], -1, 0
	v_cmp_le_i32_e32 vcc, s22, v0
	s_and_b64 s[8:9], s[8:9], vcc
	s_and_saveexec_b64 s[14:15], s[8:9]
	s_xor_b64 s[8:9], exec, s[14:15]
; %bb.145:
	v_mov_b32_e32 v7, v6
	v_mov_b32_e32 v8, v6
	;; [unrolled: 1-line block ×3, first 2 shown]
	ds_write_b128 v174, v[6:9]
; %bb.146:
	s_andn2_saveexec_b64 s[8:9], s[8:9]
	s_cbranch_execz .LBB18_148
; %bb.147:
	s_ashr_i32 s11, s10, 31
	s_lshl_b64 s[8:9], s[10:11], 4
	v_mov_b32_e32 v8, s9
	v_add_co_u32_e32 v7, vcc, s8, v172
	v_addc_co_u32_e32 v8, vcc, v173, v8, vcc
	global_load_dwordx4 v[7:10], v[7:8], off
	s_waitcnt vmcnt(0)
	ds_write2_b64 v174, v[7:8], v[9:10] offset1:1
.LBB18_148:                             ; =>This Inner Loop Header: Depth=1
	s_or_b64 exec, exec, s[4:5]
	s_cmp_eq_u32 s22, 0
	v_add_co_u32_e32 v19, vcc, v198, v196
	s_cselect_b64 s[14:15], -1, 0
	s_cmp_lg_u32 s22, 0
	v_addc_co_u32_e32 v20, vcc, v199, v197, vcc
	s_cselect_b64 s[8:9], -1, 0
	s_and_b64 vcc, exec, s[8:9]
	s_waitcnt lgkmcnt(0)
	s_barrier
	s_cbranch_vccz .LBB18_156
; %bb.149:                              ;   in Loop: Header=BB18_148 Depth=1
	v_mov_b32_e32 v11, 0
	v_mov_b32_e32 v7, 0
	;; [unrolled: 1-line block ×6, first 2 shown]
	v_cmp_gt_i32_e32 vcc, s22, v171
	s_and_saveexec_b64 s[4:5], vcc
	s_cbranch_execz .LBB18_151
; %bb.150:                              ;   in Loop: Header=BB18_148 Depth=1
	global_load_dwordx4 v[7:10], v[19:20], off offset:-8
.LBB18_151:                             ;   in Loop: Header=BB18_148 Depth=1
	s_or_b64 exec, exec, s[4:5]
	v_mov_b32_e32 v13, 0
	v_mov_b32_e32 v14, 0
	v_cmp_gt_i32_e32 vcc, s22, v181
	s_and_saveexec_b64 s[4:5], vcc
	s_cbranch_execz .LBB18_153
; %bb.152:                              ;   in Loop: Header=BB18_148 Depth=1
	v_add_co_u32_e32 v11, vcc, v206, v196
	v_addc_co_u32_e32 v12, vcc, v207, v197, vcc
	global_load_dwordx4 v[11:14], v[11:12], off offset:-8
.LBB18_153:                             ;   in Loop: Header=BB18_148 Depth=1
	s_or_b64 exec, exec, s[4:5]
	v_mov_b32_e32 v15, 0
	v_mov_b32_e32 v17, 0
	;; [unrolled: 1-line block ×4, first 2 shown]
	v_cmp_gt_i32_e32 vcc, s22, v182
	s_and_saveexec_b64 s[4:5], vcc
	s_cbranch_execz .LBB18_155
; %bb.154:                              ;   in Loop: Header=BB18_148 Depth=1
	v_add_co_u32_e32 v15, vcc, v210, v196
	v_addc_co_u32_e32 v16, vcc, v211, v197, vcc
	global_load_dwordx4 v[15:18], v[15:16], off offset:-8
.LBB18_155:                             ;   in Loop: Header=BB18_148 Depth=1
	s_or_b64 exec, exec, s[4:5]
	v_cmp_gt_i32_e64 s[4:5], s22, v183
	s_branch .LBB18_158
.LBB18_156:                             ;   in Loop: Header=BB18_148 Depth=1
	s_mov_b64 s[4:5], 0
                                        ; implicit-def: $vgpr17_vgpr18
                                        ; implicit-def: $vgpr13_vgpr14
                                        ; implicit-def: $vgpr9_vgpr10
	s_cbranch_execz .LBB18_158
; %bb.157:                              ;   in Loop: Header=BB18_148 Depth=1
	s_waitcnt vmcnt(0)
	v_add_co_u32_e32 v11, vcc, v206, v196
	v_addc_co_u32_e32 v12, vcc, v207, v197, vcc
	v_add_co_u32_e32 v15, vcc, v202, v196
	v_addc_co_u32_e32 v16, vcc, v203, v197, vcc
	global_load_dwordx4 v[7:10], v[19:20], off offset:-8
	s_or_b64 s[4:5], s[4:5], exec
	global_load_dwordx4 v[11:14], v[11:12], off offset:-8
	s_nop 0
	global_load_dwordx4 v[15:18], v[15:16], off
.LBB18_158:                             ;   in Loop: Header=BB18_148 Depth=1
	v_mov_b32_e32 v19, 0
	v_mov_b32_e32 v21, 0
	;; [unrolled: 1-line block ×4, first 2 shown]
	s_and_saveexec_b64 s[18:19], s[4:5]
	s_cbranch_execz .LBB18_160
; %bb.159:                              ;   in Loop: Header=BB18_148 Depth=1
	v_add_co_u32_e32 v19, vcc, v214, v196
	v_addc_co_u32_e32 v20, vcc, v215, v197, vcc
	global_load_dwordx4 v[19:22], v[19:20], off offset:-8
.LBB18_160:                             ;   in Loop: Header=BB18_148 Depth=1
	s_or_b64 exec, exec, s[18:19]
	ds_read_b128 v[23:26], v176
	s_andn2_b64 vcc, exec, s[8:9]
	s_waitcnt vmcnt(0) lgkmcnt(0)
	v_mul_f64 v[27:28], v[9:10], v[25:26]
	v_mul_f64 v[29:30], v[9:10], v[23:24]
	;; [unrolled: 1-line block ×8, first 2 shown]
	v_fma_f64 v[27:28], v[7:8], v[23:24], v[27:28]
	v_fma_f64 v[29:30], v[7:8], v[25:26], -v[29:30]
	v_fma_f64 v[31:32], v[11:12], v[23:24], v[31:32]
	v_fma_f64 v[33:34], v[11:12], v[25:26], -v[33:34]
	;; [unrolled: 2-line block ×4, first 2 shown]
	ds_read_b128 v[47:50], v175
	ds_read_b128 v[43:46], v175 offset:16
	ds_read_b128 v[35:38], v175 offset:32
	;; [unrolled: 1-line block ×3, first 2 shown]
	ds_write_b128 v177, v[27:30]
	ds_write_b128 v177, v[31:34] offset:1072
	ds_write_b128 v177, v[39:42] offset:2144
	;; [unrolled: 1-line block ×3, first 2 shown]
	s_waitcnt lgkmcnt(0)
	s_barrier
	ds_read_b128 v[131:134], v178
	ds_read_b128 v[127:130], v178 offset:16
	ds_read_b128 v[123:126], v178 offset:32
	;; [unrolled: 1-line block ×3, first 2 shown]
	v_cndmask_b32_e64 v27, 0, 1, s[8:9]
	v_add_co_u32_e64 v51, s[8:9], v218, v196
	v_cmp_ne_u32_e64 s[4:5], 1, v27
	v_addc_co_u32_e64 v52, s[8:9], v219, v197, s[8:9]
	s_waitcnt lgkmcnt(0)
	s_barrier
	s_cbranch_vccnz .LBB18_168
; %bb.161:                              ;   in Loop: Header=BB18_148 Depth=1
	v_mov_b32_e32 v27, 0
	v_mov_b32_e32 v31, 0
	;; [unrolled: 1-line block ×6, first 2 shown]
	v_cmp_gt_i32_e32 vcc, s22, v184
	s_and_saveexec_b64 s[8:9], vcc
	s_cbranch_execz .LBB18_163
; %bb.162:                              ;   in Loop: Header=BB18_148 Depth=1
	global_load_dwordx4 v[31:34], v[51:52], off offset:-8
.LBB18_163:                             ;   in Loop: Header=BB18_148 Depth=1
	s_or_b64 exec, exec, s[8:9]
	v_mov_b32_e32 v29, 0
	v_mov_b32_e32 v30, 0
	v_cmp_gt_i32_e32 vcc, s22, v185
	s_and_saveexec_b64 s[8:9], vcc
	s_cbranch_execz .LBB18_165
; %bb.164:                              ;   in Loop: Header=BB18_148 Depth=1
	v_add_co_u32_e32 v27, vcc, v222, v196
	v_addc_co_u32_e32 v28, vcc, v223, v197, vcc
	global_load_dwordx4 v[27:30], v[27:28], off offset:-8
.LBB18_165:                             ;   in Loop: Header=BB18_148 Depth=1
	s_or_b64 exec, exec, s[8:9]
	v_mov_b32_e32 v39, 0
	v_mov_b32_e32 v41, 0
	;; [unrolled: 1-line block ×4, first 2 shown]
	v_cmp_gt_i32_e32 vcc, s22, v186
	s_and_saveexec_b64 s[8:9], vcc
	s_cbranch_execz .LBB18_167
; %bb.166:                              ;   in Loop: Header=BB18_148 Depth=1
	v_add_co_u32_e32 v39, vcc, v226, v196
	v_addc_co_u32_e32 v40, vcc, v227, v197, vcc
	global_load_dwordx4 v[39:42], v[39:40], off offset:-8
.LBB18_167:                             ;   in Loop: Header=BB18_148 Depth=1
	s_or_b64 exec, exec, s[8:9]
	v_cmp_gt_i32_e64 s[8:9], s22, v187
	s_branch .LBB18_170
.LBB18_168:                             ;   in Loop: Header=BB18_148 Depth=1
	s_mov_b64 s[8:9], 0
                                        ; implicit-def: $vgpr41_vgpr42
                                        ; implicit-def: $vgpr29_vgpr30
                                        ; implicit-def: $vgpr33_vgpr34
	s_cbranch_execz .LBB18_170
; %bb.169:                              ;   in Loop: Header=BB18_148 Depth=1
	s_waitcnt vmcnt(0)
	v_add_co_u32_e32 v27, vcc, v222, v196
	v_addc_co_u32_e32 v28, vcc, v223, v197, vcc
	v_add_co_u32_e32 v39, vcc, v230, v196
	v_addc_co_u32_e32 v40, vcc, v231, v197, vcc
	global_load_dwordx4 v[31:34], v[51:52], off offset:-8
	s_or_b64 s[8:9], s[8:9], exec
	global_load_dwordx4 v[27:30], v[27:28], off offset:-8
	s_nop 0
	global_load_dwordx4 v[39:42], v[39:40], off
.LBB18_170:                             ;   in Loop: Header=BB18_148 Depth=1
	v_mov_b32_e32 v51, 0
	v_mov_b32_e32 v53, 0
	;; [unrolled: 1-line block ×4, first 2 shown]
	s_and_saveexec_b64 s[18:19], s[8:9]
	s_cbranch_execz .LBB18_172
; %bb.171:                              ;   in Loop: Header=BB18_148 Depth=1
	v_add_co_u32_e32 v51, vcc, v234, v196
	v_addc_co_u32_e32 v52, vcc, v235, v197, vcc
	global_load_dwordx4 v[51:54], v[51:52], off offset:-8
.LBB18_172:                             ;   in Loop: Header=BB18_148 Depth=1
	s_or_b64 exec, exec, s[18:19]
	ds_read_b128 v[55:58], v176
	s_and_b64 vcc, exec, s[4:5]
	s_waitcnt vmcnt(0) lgkmcnt(0)
	v_mul_f64 v[59:60], v[33:34], v[57:58]
	v_mul_f64 v[61:62], v[33:34], v[55:56]
	;; [unrolled: 1-line block ×8, first 2 shown]
	v_fma_f64 v[63:64], v[31:32], v[55:56], v[59:60]
	v_fma_f64 v[65:66], v[31:32], v[57:58], -v[61:62]
	v_fma_f64 v[67:68], v[27:28], v[55:56], v[67:68]
	v_fma_f64 v[69:70], v[27:28], v[57:58], -v[69:70]
	;; [unrolled: 2-line block ×4, first 2 shown]
	ds_read_b128 v[75:78], v175 offset:256
	ds_read_b128 v[71:74], v175 offset:272
	;; [unrolled: 1-line block ×4, first 2 shown]
	ds_write_b128 v177, v[63:66]
	ds_write_b128 v177, v[67:70] offset:1072
	ds_write_b128 v177, v[79:82] offset:2144
	;; [unrolled: 1-line block ×3, first 2 shown]
	s_waitcnt lgkmcnt(0)
	s_barrier
	ds_read_b128 v[147:150], v178
	ds_read_b128 v[143:146], v178 offset:16
	ds_read_b128 v[139:142], v178 offset:32
	ds_read_b128 v[135:138], v178 offset:48
	v_add_co_u32_e64 v83, s[8:9], v236, v196
	v_addc_co_u32_e64 v84, s[8:9], v237, v197, s[8:9]
	s_waitcnt lgkmcnt(0)
	s_barrier
	s_cbranch_vccnz .LBB18_180
; %bb.173:                              ;   in Loop: Header=BB18_148 Depth=1
	v_mov_b32_e32 v67, 0
	v_mov_b32_e32 v63, 0
	;; [unrolled: 1-line block ×6, first 2 shown]
	v_cmp_gt_i32_e32 vcc, s22, v188
	s_and_saveexec_b64 s[8:9], vcc
	s_cbranch_execz .LBB18_175
; %bb.174:                              ;   in Loop: Header=BB18_148 Depth=1
	global_load_dwordx4 v[63:66], v[83:84], off offset:-8
.LBB18_175:                             ;   in Loop: Header=BB18_148 Depth=1
	s_or_b64 exec, exec, s[8:9]
	v_mov_b32_e32 v69, 0
	v_mov_b32_e32 v70, 0
	v_cmp_gt_i32_e32 vcc, s22, v189
	s_and_saveexec_b64 s[8:9], vcc
	s_cbranch_execz .LBB18_177
; %bb.176:                              ;   in Loop: Header=BB18_148 Depth=1
	v_add_co_u32_e32 v67, vcc, v232, v196
	v_addc_co_u32_e32 v68, vcc, v233, v197, vcc
	global_load_dwordx4 v[67:70], v[67:68], off
.LBB18_177:                             ;   in Loop: Header=BB18_148 Depth=1
	s_or_b64 exec, exec, s[8:9]
	v_mov_b32_e32 v79, 0
	v_mov_b32_e32 v81, 0
	;; [unrolled: 1-line block ×4, first 2 shown]
	v_cmp_gt_i32_e32 vcc, s22, v190
	s_and_saveexec_b64 s[8:9], vcc
	s_cbranch_execz .LBB18_179
; %bb.178:                              ;   in Loop: Header=BB18_148 Depth=1
	v_add_co_u32_e32 v79, vcc, v228, v196
	v_addc_co_u32_e32 v80, vcc, v229, v197, vcc
	global_load_dwordx4 v[79:82], v[79:80], off
.LBB18_179:                             ;   in Loop: Header=BB18_148 Depth=1
	s_or_b64 exec, exec, s[8:9]
	v_cmp_gt_i32_e64 s[8:9], s22, v191
	s_branch .LBB18_182
.LBB18_180:                             ;   in Loop: Header=BB18_148 Depth=1
	s_mov_b64 s[8:9], 0
                                        ; implicit-def: $vgpr81_vgpr82
                                        ; implicit-def: $vgpr69_vgpr70
                                        ; implicit-def: $vgpr65_vgpr66
	s_cbranch_execz .LBB18_182
; %bb.181:                              ;   in Loop: Header=BB18_148 Depth=1
	s_waitcnt vmcnt(0)
	v_add_co_u32_e32 v67, vcc, v232, v196
	v_addc_co_u32_e32 v68, vcc, v233, v197, vcc
	v_add_co_u32_e32 v79, vcc, v224, v196
	v_addc_co_u32_e32 v80, vcc, v225, v197, vcc
	global_load_dwordx4 v[63:66], v[83:84], off offset:-8
	s_or_b64 s[8:9], s[8:9], exec
	global_load_dwordx4 v[67:70], v[67:68], off
	s_nop 0
	global_load_dwordx4 v[79:82], v[79:80], off offset:-8
.LBB18_182:                             ;   in Loop: Header=BB18_148 Depth=1
	v_mov_b32_e32 v83, 0
	v_mov_b32_e32 v85, 0
	;; [unrolled: 1-line block ×4, first 2 shown]
	s_and_saveexec_b64 s[18:19], s[8:9]
	s_cbranch_execz .LBB18_184
; %bb.183:                              ;   in Loop: Header=BB18_148 Depth=1
	v_add_co_u32_e32 v83, vcc, v220, v196
	v_addc_co_u32_e32 v84, vcc, v221, v197, vcc
	global_load_dwordx4 v[83:86], v[83:84], off
.LBB18_184:                             ;   in Loop: Header=BB18_148 Depth=1
	s_or_b64 exec, exec, s[18:19]
	ds_read_b128 v[87:90], v176
	s_and_b64 vcc, exec, s[4:5]
	s_waitcnt vmcnt(0) lgkmcnt(0)
	v_mul_f64 v[91:92], v[65:66], v[89:90]
	v_mul_f64 v[93:94], v[65:66], v[87:88]
	;; [unrolled: 1-line block ×8, first 2 shown]
	v_fma_f64 v[103:104], v[63:64], v[87:88], v[91:92]
	v_fma_f64 v[105:106], v[63:64], v[89:90], -v[93:94]
	v_fma_f64 v[107:108], v[67:68], v[87:88], v[95:96]
	v_fma_f64 v[109:110], v[67:68], v[89:90], -v[97:98]
	;; [unrolled: 2-line block ×4, first 2 shown]
	ds_read_b128 v[99:102], v175 offset:512
	ds_read_b128 v[95:98], v175 offset:528
	;; [unrolled: 1-line block ×4, first 2 shown]
	ds_write_b128 v177, v[103:106]
	ds_write_b128 v177, v[107:110] offset:1072
	ds_write_b128 v177, v[111:114] offset:2144
	ds_write_b128 v177, v[115:118] offset:3216
	s_waitcnt lgkmcnt(0)
	s_barrier
	ds_read_b128 v[163:166], v178
	ds_read_b128 v[159:162], v178 offset:16
	ds_read_b128 v[155:158], v178 offset:32
	ds_read_b128 v[151:154], v178 offset:48
	v_add_co_u32_e64 v115, s[4:5], v216, v196
	v_addc_co_u32_e64 v116, s[4:5], v217, v197, s[4:5]
	s_waitcnt lgkmcnt(0)
	s_barrier
	s_cbranch_vccnz .LBB18_192
; %bb.185:                              ;   in Loop: Header=BB18_148 Depth=1
	v_mov_b32_e32 v107, 0
	v_mov_b32_e32 v103, 0
	;; [unrolled: 1-line block ×6, first 2 shown]
	v_cmp_gt_i32_e32 vcc, s22, v192
	s_and_saveexec_b64 s[4:5], vcc
	s_cbranch_execz .LBB18_187
; %bb.186:                              ;   in Loop: Header=BB18_148 Depth=1
	global_load_dwordx4 v[103:106], v[115:116], off
.LBB18_187:                             ;   in Loop: Header=BB18_148 Depth=1
	s_or_b64 exec, exec, s[4:5]
	v_mov_b32_e32 v109, 0
	v_mov_b32_e32 v110, 0
	v_cmp_gt_i32_e32 vcc, s22, v193
	s_and_saveexec_b64 s[4:5], vcc
	s_cbranch_execz .LBB18_189
; %bb.188:                              ;   in Loop: Header=BB18_148 Depth=1
	v_add_co_u32_e32 v107, vcc, v212, v196
	v_addc_co_u32_e32 v108, vcc, v213, v197, vcc
	global_load_dwordx4 v[107:110], v[107:108], off
.LBB18_189:                             ;   in Loop: Header=BB18_148 Depth=1
	s_or_b64 exec, exec, s[4:5]
	v_mov_b32_e32 v111, 0
	v_mov_b32_e32 v113, 0
	;; [unrolled: 1-line block ×4, first 2 shown]
	v_cmp_gt_i32_e32 vcc, s22, v194
	s_and_saveexec_b64 s[4:5], vcc
	s_cbranch_execz .LBB18_191
; %bb.190:                              ;   in Loop: Header=BB18_148 Depth=1
	v_add_co_u32_e32 v111, vcc, v208, v196
	v_addc_co_u32_e32 v112, vcc, v209, v197, vcc
	global_load_dwordx4 v[111:114], v[111:112], off
.LBB18_191:                             ;   in Loop: Header=BB18_148 Depth=1
	s_or_b64 exec, exec, s[4:5]
	v_cmp_gt_i32_e64 s[4:5], s22, v195
	s_branch .LBB18_194
.LBB18_192:                             ;   in Loop: Header=BB18_148 Depth=1
	s_mov_b64 s[4:5], 0
                                        ; implicit-def: $vgpr113_vgpr114
                                        ; implicit-def: $vgpr109_vgpr110
                                        ; implicit-def: $vgpr105_vgpr106
	s_cbranch_execz .LBB18_194
; %bb.193:                              ;   in Loop: Header=BB18_148 Depth=1
	s_waitcnt vmcnt(0)
	v_add_co_u32_e32 v107, vcc, v212, v196
	v_addc_co_u32_e32 v108, vcc, v213, v197, vcc
	v_add_co_u32_e32 v111, vcc, v204, v196
	v_addc_co_u32_e32 v112, vcc, v205, v197, vcc
	global_load_dwordx4 v[103:106], v[115:116], off
	s_or_b64 s[4:5], s[4:5], exec
	global_load_dwordx4 v[107:110], v[107:108], off
	s_nop 0
	global_load_dwordx4 v[111:114], v[111:112], off offset:-8
.LBB18_194:                             ;   in Loop: Header=BB18_148 Depth=1
	v_mov_b32_e32 v115, 0
	v_mov_b32_e32 v117, 0
	;; [unrolled: 1-line block ×4, first 2 shown]
	s_and_saveexec_b64 s[8:9], s[4:5]
	s_cbranch_execz .LBB18_196
; %bb.195:                              ;   in Loop: Header=BB18_148 Depth=1
	v_add_co_u32_e32 v115, vcc, v200, v196
	v_addc_co_u32_e32 v116, vcc, v201, v197, vcc
	global_load_dwordx4 v[115:118], v[115:116], off
.LBB18_196:                             ;   in Loop: Header=BB18_148 Depth=1
	s_or_b64 exec, exec, s[8:9]
	v_add_f64 v[147:148], v[147:148], 0
	v_add_f64 v[149:150], v[149:150], 0
	;; [unrolled: 1-line block ×6, first 2 shown]
	v_cmp_gt_i32_e32 vcc, s22, v0
	s_or_b64 s[4:5], s[14:15], vcc
	v_add_f64 v[143:144], v[147:148], v[143:144]
	v_add_f64 v[145:146], v[149:150], v[145:146]
	;; [unrolled: 1-line block ×6, first 2 shown]
	s_and_b64 s[8:9], s[2:3], s[4:5]
	v_add_f64 v[139:140], v[143:144], v[139:140]
	v_add_f64 v[141:142], v[145:146], v[141:142]
	;; [unrolled: 1-line block ×10, first 2 shown]
	ds_read_b128 v[143:146], v176
	ds_read_b128 v[131:134], v175 offset:768
	ds_read_b128 v[127:130], v175 offset:784
	;; [unrolled: 1-line block ×4, first 2 shown]
	s_waitcnt vmcnt(0) lgkmcnt(4)
	v_mul_f64 v[147:148], v[105:106], v[145:146]
	v_mul_f64 v[149:150], v[105:106], v[143:144]
	v_add_f64 v[151:152], v[155:156], v[151:152]
	v_add_f64 v[153:154], v[157:158], v[153:154]
	v_fma_f64 v[147:148], v[103:104], v[143:144], v[147:148]
	v_fma_f64 v[149:150], v[103:104], v[145:146], -v[149:150]
	ds_write_b128 v177, v[147:150]
	v_mul_f64 v[147:148], v[109:110], v[145:146]
	v_mul_f64 v[149:150], v[109:110], v[143:144]
	v_fma_f64 v[147:148], v[107:108], v[143:144], v[147:148]
	v_fma_f64 v[149:150], v[107:108], v[145:146], -v[149:150]
	ds_write_b128 v177, v[147:150] offset:1072
	v_mul_f64 v[147:148], v[113:114], v[145:146]
	v_mul_f64 v[149:150], v[113:114], v[143:144]
	v_fma_f64 v[147:148], v[111:112], v[143:144], v[147:148]
	v_fma_f64 v[149:150], v[111:112], v[145:146], -v[149:150]
	ds_write_b128 v177, v[147:150] offset:2144
	v_mul_f64 v[147:148], v[117:118], v[145:146]
	v_fma_f64 v[147:148], v[115:116], v[143:144], v[147:148]
	v_mul_f64 v[143:144], v[117:118], v[143:144]
	v_fma_f64 v[149:150], v[115:116], v[145:146], -v[143:144]
	ds_write_b128 v177, v[147:150] offset:3216
	s_waitcnt lgkmcnt(0)
	s_barrier
	ds_read_b128 v[143:146], v178
	ds_read_b128 v[147:150], v178 offset:16
	ds_read_b128 v[155:158], v178 offset:32
	;; [unrolled: 1-line block ×3, first 2 shown]
	s_waitcnt lgkmcnt(0)
	v_add_f64 v[143:144], v[143:144], 0
	v_add_f64 v[145:146], v[145:146], 0
	s_barrier
	v_add_f64 v[143:144], v[143:144], v[147:148]
	v_add_f64 v[145:146], v[145:146], v[149:150]
	;; [unrolled: 1-line block ×6, first 2 shown]
	ds_write_b128 v238, v[139:142]
	ds_write_b128 v238, v[135:138] offset:256
	ds_write_b128 v238, v[151:154] offset:512
	;; [unrolled: 1-line block ×3, first 2 shown]
	s_waitcnt lgkmcnt(0)
	s_barrier
	s_and_saveexec_b64 s[4:5], s[8:9]
	s_cbranch_execz .LBB18_198
; %bb.197:                              ;   in Loop: Header=BB18_148 Depth=1
	ds_read_b128 v[135:138], v179
	ds_read_b128 v[139:142], v179 offset:16
	v_ashrrev_i32_e32 v169, 31, v168
	s_waitcnt lgkmcnt(0)
	v_add_f64 v[143:144], v[139:140], v[135:136]
	v_add_f64 v[145:146], v[141:142], v[137:138]
	ds_read_b128 v[135:138], v179 offset:32
	ds_read_b128 v[139:142], v179 offset:48
	s_waitcnt lgkmcnt(1)
	v_add_f64 v[135:136], v[143:144], v[135:136]
	v_add_f64 v[137:138], v[145:146], v[137:138]
	s_waitcnt lgkmcnt(0)
	v_add_f64 v[143:144], v[135:136], v[139:140]
	v_add_f64 v[145:146], v[137:138], v[141:142]
	ds_read_b128 v[135:138], v179 offset:64
	ds_read_b128 v[139:142], v179 offset:80
	s_waitcnt lgkmcnt(1)
	v_add_f64 v[135:136], v[143:144], v[135:136]
	v_add_f64 v[137:138], v[145:146], v[137:138]
	;; [unrolled: 8-line block ×6, first 2 shown]
	s_waitcnt lgkmcnt(0)
	v_add_f64 v[143:144], v[135:136], v[139:140]
	v_add_f64 v[145:146], v[137:138], v[141:142]
	ds_read_b128 v[135:138], v179 offset:224
	ds_read_b128 v[139:142], v180
	s_waitcnt lgkmcnt(1)
	v_add_f64 v[135:136], v[143:144], v[135:136]
	v_add_f64 v[137:138], v[145:146], v[137:138]
	s_waitcnt lgkmcnt(0)
	v_add_f64 v[135:136], v[135:136], v[139:140]
	v_add_f64 v[137:138], v[137:138], v[141:142]
	v_lshlrev_b64 v[139:140], 4, v[168:169]
	v_mov_b32_e32 v141, s17
	v_add_co_u32_e32 v139, vcc, s7, v139
	v_addc_co_u32_e32 v140, vcc, v141, v140, vcc
	global_store_dwordx4 v[139:140], v[135:138], off
.LBB18_198:                             ;   in Loop: Header=BB18_148 Depth=1
	s_or_b64 exec, exec, s[4:5]
	v_mul_f64 v[135:136], v[9:10], v[49:50]
	v_mul_f64 v[49:50], v[7:8], v[49:50]
	;; [unrolled: 1-line block ×4, first 2 shown]
	v_add_co_u32_e32 v198, vcc, s12, v198
	s_add_i32 s4, s6, 1
	s_add_i32 s10, s10, s25
	v_fma_f64 v[7:8], v[7:8], v[47:48], -v[135:136]
	v_fma_f64 v[9:10], v[9:10], v[47:48], v[49:50]
	v_mul_f64 v[47:48], v[17:18], v[37:38]
	v_mul_f64 v[37:38], v[15:16], v[37:38]
	v_fma_f64 v[11:12], v[11:12], v[43:44], -v[137:138]
	v_fma_f64 v[13:14], v[13:14], v[43:44], v[45:46]
	v_mul_f64 v[49:50], v[21:22], v[25:26]
	v_mul_f64 v[25:26], v[19:20], v[25:26]
	v_add_f64 v[2:3], v[2:3], v[7:8]
	v_add_f64 v[4:5], v[4:5], v[9:10]
	v_fma_f64 v[15:16], v[15:16], v[35:36], -v[47:48]
	v_fma_f64 v[17:18], v[17:18], v[35:36], v[37:38]
	v_mul_f64 v[7:8], v[33:34], v[77:78]
	v_mul_f64 v[9:10], v[31:32], v[77:78]
	v_fma_f64 v[19:20], v[19:20], v[23:24], -v[49:50]
	v_fma_f64 v[21:22], v[21:22], v[23:24], v[25:26]
	v_add_f64 v[2:3], v[2:3], v[11:12]
	v_add_f64 v[4:5], v[4:5], v[13:14]
	v_mul_f64 v[43:44], v[29:30], v[73:74]
	v_mul_f64 v[45:46], v[27:28], v[73:74]
	v_fma_f64 v[7:8], v[31:32], v[75:76], -v[7:8]
	v_fma_f64 v[9:10], v[33:34], v[75:76], v[9:10]
	v_mul_f64 v[11:12], v[41:42], v[61:62]
	v_mul_f64 v[13:14], v[39:40], v[61:62]
	v_add_f64 v[2:3], v[2:3], v[15:16]
	v_add_f64 v[4:5], v[4:5], v[17:18]
	v_fma_f64 v[27:28], v[27:28], v[71:72], -v[43:44]
	v_fma_f64 v[29:30], v[29:30], v[71:72], v[45:46]
	v_mul_f64 v[35:36], v[53:54], v[57:58]
	v_mul_f64 v[37:38], v[51:52], v[57:58]
	v_fma_f64 v[11:12], v[39:40], v[59:60], -v[11:12]
	v_fma_f64 v[13:14], v[41:42], v[59:60], v[13:14]
	v_add_f64 v[2:3], v[2:3], v[19:20]
	v_add_f64 v[4:5], v[4:5], v[21:22]
	v_mul_f64 v[15:16], v[65:66], v[101:102]
	v_mul_f64 v[17:18], v[63:64], v[101:102]
	v_fma_f64 v[35:36], v[51:52], v[55:56], -v[35:36]
	v_fma_f64 v[37:38], v[53:54], v[55:56], v[37:38]
	v_mul_f64 v[23:24], v[69:70], v[97:98]
	v_mul_f64 v[25:26], v[67:68], v[97:98]
	v_add_f64 v[2:3], v[2:3], v[7:8]
	v_add_f64 v[4:5], v[4:5], v[9:10]
	v_mul_f64 v[19:20], v[81:82], v[93:94]
	v_mul_f64 v[21:22], v[79:80], v[93:94]
	;; [unrolled: 1-line block ×6, first 2 shown]
	v_add_f64 v[2:3], v[2:3], v[27:28]
	v_add_f64 v[4:5], v[4:5], v[29:30]
	v_mul_f64 v[43:44], v[109:110], v[129:130]
	v_mul_f64 v[45:46], v[107:108], v[129:130]
	v_mul_f64 v[27:28], v[113:114], v[125:126]
	v_mul_f64 v[29:30], v[111:112], v[125:126]
	v_fma_f64 v[7:8], v[103:104], v[131:132], -v[7:8]
	v_fma_f64 v[9:10], v[105:106], v[131:132], v[9:10]
	v_add_f64 v[2:3], v[2:3], v[11:12]
	v_add_f64 v[4:5], v[4:5], v[13:14]
	v_fma_f64 v[11:12], v[63:64], v[99:100], -v[15:16]
	v_fma_f64 v[13:14], v[65:66], v[99:100], v[17:18]
	v_fma_f64 v[15:16], v[67:68], v[95:96], -v[23:24]
	v_fma_f64 v[17:18], v[69:70], v[95:96], v[25:26]
	v_mul_f64 v[39:40], v[117:118], v[121:122]
	v_mul_f64 v[41:42], v[115:116], v[121:122]
	v_add_f64 v[2:3], v[2:3], v[35:36]
	v_add_f64 v[4:5], v[4:5], v[37:38]
	v_mov_b32_e32 v35, s13
	v_addc_co_u32_e32 v199, vcc, v199, v35, vcc
	v_add_co_u32_e32 v200, vcc, s12, v200
	v_addc_co_u32_e32 v201, vcc, v201, v35, vcc
	v_add_f64 v[2:3], v[2:3], v[11:12]
	v_add_f64 v[4:5], v[4:5], v[13:14]
	v_fma_f64 v[11:12], v[79:80], v[91:92], -v[19:20]
	v_fma_f64 v[13:14], v[81:82], v[91:92], v[21:22]
	v_add_co_u32_e32 v202, vcc, s12, v202
	v_addc_co_u32_e32 v203, vcc, v203, v35, vcc
	v_add_f64 v[2:3], v[2:3], v[15:16]
	v_add_f64 v[4:5], v[4:5], v[17:18]
	v_fma_f64 v[15:16], v[83:84], v[87:88], -v[31:32]
	v_fma_f64 v[17:18], v[85:86], v[87:88], v[33:34]
	;; [unrolled: 6-line block ×3, first 2 shown]
	v_add_co_u32_e32 v206, vcc, s12, v206
	v_addc_co_u32_e32 v207, vcc, v207, v35, vcc
	v_add_f64 v[2:3], v[2:3], v[15:16]
	v_add_f64 v[4:5], v[4:5], v[17:18]
	v_add_co_u32_e32 v208, vcc, s12, v208
	v_addc_co_u32_e32 v209, vcc, v209, v35, vcc
	v_add_co_u32_e32 v210, vcc, s12, v210
	v_add_f64 v[2:3], v[2:3], v[7:8]
	v_add_f64 v[4:5], v[4:5], v[9:10]
	v_addc_co_u32_e32 v211, vcc, v211, v35, vcc
	v_add_co_u32_e32 v212, vcc, s12, v212
	v_addc_co_u32_e32 v213, vcc, v213, v35, vcc
	v_fma_f64 v[7:8], v[111:112], v[123:124], -v[27:28]
	v_fma_f64 v[9:10], v[113:114], v[123:124], v[29:30]
	v_add_f64 v[2:3], v[2:3], v[11:12]
	v_add_f64 v[4:5], v[4:5], v[13:14]
	v_add_co_u32_e32 v214, vcc, s12, v214
	v_addc_co_u32_e32 v215, vcc, v215, v35, vcc
	v_add_co_u32_e32 v216, vcc, s12, v216
	v_addc_co_u32_e32 v217, vcc, v217, v35, vcc
	v_add_co_u32_e32 v218, vcc, s12, v218
	v_addc_co_u32_e32 v219, vcc, v219, v35, vcc
	v_add_co_u32_e32 v220, vcc, s12, v220
	v_addc_co_u32_e32 v221, vcc, v221, v35, vcc
	v_fma_f64 v[11:12], v[115:116], v[119:120], -v[39:40]
	v_fma_f64 v[13:14], v[117:118], v[119:120], v[41:42]
	v_add_f64 v[2:3], v[2:3], v[7:8]
	v_add_f64 v[4:5], v[4:5], v[9:10]
	v_add_co_u32_e32 v222, vcc, s12, v222
	v_addc_co_u32_e32 v223, vcc, v223, v35, vcc
	v_add_co_u32_e32 v224, vcc, s12, v224
	v_addc_co_u32_e32 v225, vcc, v225, v35, vcc
	;; [unrolled: 2-line block ×4, first 2 shown]
	v_add_f64 v[2:3], v[2:3], v[11:12]
	v_add_f64 v[4:5], v[4:5], v[13:14]
	v_add_co_u32_e32 v230, vcc, s12, v230
	v_addc_co_u32_e32 v231, vcc, v231, v35, vcc
	v_add_co_u32_e32 v232, vcc, s12, v232
	v_addc_co_u32_e32 v233, vcc, v233, v35, vcc
	;; [unrolled: 2-line block ×3, first 2 shown]
	s_add_i32 s5, s6, 2
	v_add_co_u32_e32 v236, vcc, s12, v236
	v_add_u32_e32 v168, 64, v168
	s_cmp_ge_u32 s5, s33
	v_addc_co_u32_e32 v237, vcc, v237, v35, vcc
	s_waitcnt vmcnt(0)
	s_barrier
	s_cbranch_scc1 .LBB18_200
; %bb.199:                              ;   in Loop: Header=BB18_148 Depth=1
	s_mov_b32 s6, s4
	s_cmp_eq_u32 s24, s6
	s_cselect_b32 s22, s38, 0
	s_and_saveexec_b64 s[4:5], s[0:1]
	s_cbranch_execnz .LBB18_144
	s_branch .LBB18_148
.LBB18_200:
	s_movk_i32 s2, 0x430
	v_cmp_gt_i32_e32 vcc, s16, v0
	v_mad_u32_u24 v1, v1, s2, v170
	s_or_b64 s[2:3], s[20:21], vcc
	s_and_b64 s[0:1], s[0:1], s[2:3]
	ds_write_b128 v1, v[2:5]
	s_waitcnt lgkmcnt(0)
	s_barrier
	s_and_saveexec_b64 s[2:3], s[0:1]
	s_cbranch_execz .LBB18_202
; %bb.201:
	ds_read_b128 v[0:3], v170 offset:1072
	ds_read_b128 v[4:7], v170
	v_ashrrev_i32_e32 v168, 31, v167
	s_waitcnt lgkmcnt(0)
	v_add_f64 v[8:9], v[0:1], v[4:5]
	v_add_f64 v[10:11], v[2:3], v[6:7]
	ds_read_b128 v[0:3], v170 offset:2144
	ds_read_b128 v[4:7], v170 offset:3216
	s_waitcnt lgkmcnt(1)
	v_add_f64 v[0:1], v[8:9], v[0:1]
	v_add_f64 v[2:3], v[10:11], v[2:3]
	s_waitcnt lgkmcnt(0)
	v_add_f64 v[0:1], v[0:1], v[4:5]
	v_add_f64 v[2:3], v[2:3], v[6:7]
	v_lshlrev_b64 v[4:5], 4, v[167:168]
	v_mov_b32_e32 v6, s17
	v_add_co_u32_e32 v4, vcc, s7, v4
	v_addc_co_u32_e32 v5, vcc, v6, v5, vcc
	global_store_dwordx4 v[4:5], v[0:3], off
.LBB18_202:
	s_endpgm
	.section	.rodata,"a",@progbits
	.p2align	6, 0x0
	.amdhsa_kernel _ZL26rocblas_hemvn_kernel_upperILb1ELi64ELi4ELi33ELi32ELi16EiPK19rocblas_complex_numIdES3_PS1_EviT6_lT7_lT5_lS6_lS7_lS5_lT8_i
		.amdhsa_group_segment_fixed_size 19200
		.amdhsa_private_segment_fixed_size 0
		.amdhsa_kernarg_size 376
		.amdhsa_user_sgpr_count 6
		.amdhsa_user_sgpr_private_segment_buffer 1
		.amdhsa_user_sgpr_dispatch_ptr 0
		.amdhsa_user_sgpr_queue_ptr 0
		.amdhsa_user_sgpr_kernarg_segment_ptr 1
		.amdhsa_user_sgpr_dispatch_id 0
		.amdhsa_user_sgpr_flat_scratch_init 0
		.amdhsa_user_sgpr_private_segment_size 0
		.amdhsa_uses_dynamic_stack 0
		.amdhsa_system_sgpr_private_segment_wavefront_offset 0
		.amdhsa_system_sgpr_workgroup_id_x 1
		.amdhsa_system_sgpr_workgroup_id_y 0
		.amdhsa_system_sgpr_workgroup_id_z 1
		.amdhsa_system_sgpr_workgroup_info 0
		.amdhsa_system_vgpr_workitem_id 1
		.amdhsa_next_free_vgpr 239
		.amdhsa_next_free_sgpr 98
		.amdhsa_reserve_vcc 1
		.amdhsa_reserve_flat_scratch 0
		.amdhsa_float_round_mode_32 0
		.amdhsa_float_round_mode_16_64 0
		.amdhsa_float_denorm_mode_32 3
		.amdhsa_float_denorm_mode_16_64 3
		.amdhsa_dx10_clamp 1
		.amdhsa_ieee_mode 1
		.amdhsa_fp16_overflow 0
		.amdhsa_exception_fp_ieee_invalid_op 0
		.amdhsa_exception_fp_denorm_src 0
		.amdhsa_exception_fp_ieee_div_zero 0
		.amdhsa_exception_fp_ieee_overflow 0
		.amdhsa_exception_fp_ieee_underflow 0
		.amdhsa_exception_fp_ieee_inexact 0
		.amdhsa_exception_int_div_zero 0
	.end_amdhsa_kernel
	.section	.text._ZL26rocblas_hemvn_kernel_upperILb1ELi64ELi4ELi33ELi32ELi16EiPK19rocblas_complex_numIdES3_PS1_EviT6_lT7_lT5_lS6_lS7_lS5_lT8_i,"axG",@progbits,_ZL26rocblas_hemvn_kernel_upperILb1ELi64ELi4ELi33ELi32ELi16EiPK19rocblas_complex_numIdES3_PS1_EviT6_lT7_lT5_lS6_lS7_lS5_lT8_i,comdat
.Lfunc_end18:
	.size	_ZL26rocblas_hemvn_kernel_upperILb1ELi64ELi4ELi33ELi32ELi16EiPK19rocblas_complex_numIdES3_PS1_EviT6_lT7_lT5_lS6_lS7_lS5_lT8_i, .Lfunc_end18-_ZL26rocblas_hemvn_kernel_upperILb1ELi64ELi4ELi33ELi32ELi16EiPK19rocblas_complex_numIdES3_PS1_EviT6_lT7_lT5_lS6_lS7_lS5_lT8_i
                                        ; -- End function
	.set _ZL26rocblas_hemvn_kernel_upperILb1ELi64ELi4ELi33ELi32ELi16EiPK19rocblas_complex_numIdES3_PS1_EviT6_lT7_lT5_lS6_lS7_lS5_lT8_i.num_vgpr, 239
	.set _ZL26rocblas_hemvn_kernel_upperILb1ELi64ELi4ELi33ELi32ELi16EiPK19rocblas_complex_numIdES3_PS1_EviT6_lT7_lT5_lS6_lS7_lS5_lT8_i.num_agpr, 0
	.set _ZL26rocblas_hemvn_kernel_upperILb1ELi64ELi4ELi33ELi32ELi16EiPK19rocblas_complex_numIdES3_PS1_EviT6_lT7_lT5_lS6_lS7_lS5_lT8_i.numbered_sgpr, 44
	.set _ZL26rocblas_hemvn_kernel_upperILb1ELi64ELi4ELi33ELi32ELi16EiPK19rocblas_complex_numIdES3_PS1_EviT6_lT7_lT5_lS6_lS7_lS5_lT8_i.num_named_barrier, 0
	.set _ZL26rocblas_hemvn_kernel_upperILb1ELi64ELi4ELi33ELi32ELi16EiPK19rocblas_complex_numIdES3_PS1_EviT6_lT7_lT5_lS6_lS7_lS5_lT8_i.private_seg_size, 0
	.set _ZL26rocblas_hemvn_kernel_upperILb1ELi64ELi4ELi33ELi32ELi16EiPK19rocblas_complex_numIdES3_PS1_EviT6_lT7_lT5_lS6_lS7_lS5_lT8_i.uses_vcc, 1
	.set _ZL26rocblas_hemvn_kernel_upperILb1ELi64ELi4ELi33ELi32ELi16EiPK19rocblas_complex_numIdES3_PS1_EviT6_lT7_lT5_lS6_lS7_lS5_lT8_i.uses_flat_scratch, 0
	.set _ZL26rocblas_hemvn_kernel_upperILb1ELi64ELi4ELi33ELi32ELi16EiPK19rocblas_complex_numIdES3_PS1_EviT6_lT7_lT5_lS6_lS7_lS5_lT8_i.has_dyn_sized_stack, 0
	.set _ZL26rocblas_hemvn_kernel_upperILb1ELi64ELi4ELi33ELi32ELi16EiPK19rocblas_complex_numIdES3_PS1_EviT6_lT7_lT5_lS6_lS7_lS5_lT8_i.has_recursion, 0
	.set _ZL26rocblas_hemvn_kernel_upperILb1ELi64ELi4ELi33ELi32ELi16EiPK19rocblas_complex_numIdES3_PS1_EviT6_lT7_lT5_lS6_lS7_lS5_lT8_i.has_indirect_call, 0
	.section	.AMDGPU.csdata,"",@progbits
; Kernel info:
; codeLenInByte = 11544
; TotalNumSgprs: 48
; NumVgprs: 239
; ScratchSize: 0
; MemoryBound: 1
; FloatMode: 240
; IeeeMode: 1
; LDSByteSize: 19200 bytes/workgroup (compile time only)
; SGPRBlocks: 12
; VGPRBlocks: 59
; NumSGPRsForWavesPerEU: 102
; NumVGPRsForWavesPerEU: 239
; Occupancy: 1
; WaveLimiterHint : 1
; COMPUTE_PGM_RSRC2:SCRATCH_EN: 0
; COMPUTE_PGM_RSRC2:USER_SGPR: 6
; COMPUTE_PGM_RSRC2:TRAP_HANDLER: 0
; COMPUTE_PGM_RSRC2:TGID_X_EN: 1
; COMPUTE_PGM_RSRC2:TGID_Y_EN: 0
; COMPUTE_PGM_RSRC2:TGID_Z_EN: 1
; COMPUTE_PGM_RSRC2:TIDIG_COMP_CNT: 1
	.section	.text._ZL36rocblas_hemvn_kernel_upper_block_sumILi64EiPK19rocblas_complex_numIdEPS1_S1_EviT1_lS5_lT2_lT0_lPT3_i,"axG",@progbits,_ZL36rocblas_hemvn_kernel_upper_block_sumILi64EiPK19rocblas_complex_numIdEPS1_S1_EviT1_lS5_lT2_lT0_lPT3_i,comdat
	.globl	_ZL36rocblas_hemvn_kernel_upper_block_sumILi64EiPK19rocblas_complex_numIdEPS1_S1_EviT1_lS5_lT2_lT0_lPT3_i ; -- Begin function _ZL36rocblas_hemvn_kernel_upper_block_sumILi64EiPK19rocblas_complex_numIdEPS1_S1_EviT1_lS5_lT2_lT0_lPT3_i
	.p2align	8
	.type	_ZL36rocblas_hemvn_kernel_upper_block_sumILi64EiPK19rocblas_complex_numIdEPS1_S1_EviT1_lS5_lT2_lT0_lPT3_i,@function
_ZL36rocblas_hemvn_kernel_upper_block_sumILi64EiPK19rocblas_complex_numIdEPS1_S1_EviT1_lS5_lT2_lT0_lPT3_i: ; @_ZL36rocblas_hemvn_kernel_upper_block_sumILi64EiPK19rocblas_complex_numIdEPS1_S1_EviT1_lS5_lT2_lT0_lPT3_i
; %bb.0:
	s_load_dwordx8 s[12:19], s[4:5], 0x8
	s_waitcnt lgkmcnt(0)
	s_mul_i32 s0, s15, s7
	s_mul_hi_u32 s1, s14, s7
	s_add_i32 s1, s1, s0
	s_mul_i32 s0, s14, s7
	s_lshl_b64 s[0:1], s[0:1], 4
	s_add_u32 s0, s12, s0
	s_addc_u32 s1, s13, s1
	s_load_dwordx4 s[12:15], s[0:1], 0x0
	s_mul_i32 s9, s19, s7
	s_mul_hi_u32 s10, s18, s7
	s_mul_i32 s8, s18, s7
	s_add_i32 s9, s10, s9
	s_waitcnt lgkmcnt(0)
	v_cmp_neq_f64_e64 s[0:1], s[12:13], 0
	v_cmp_neq_f64_e64 s[2:3], s[14:15], 0
	s_lshl_b64 s[8:9], s[8:9], 4
	s_add_u32 s16, s16, s8
	s_addc_u32 s17, s17, s9
	s_load_dwordx4 s[8:11], s[16:17], 0x0
	s_or_b64 s[16:17], s[0:1], s[2:3]
	s_mov_b64 s[0:1], -1
	s_and_b64 vcc, exec, s[16:17]
	s_cbranch_vccnz .LBB19_2
; %bb.1:
	s_waitcnt lgkmcnt(0)
	v_cmp_neq_f64_e64 s[0:1], s[8:9], 1.0
	v_cmp_neq_f64_e64 s[2:3], s[10:11], 0
	s_or_b64 s[0:1], s[0:1], s[2:3]
.LBB19_2:
	s_andn2_b64 vcc, exec, s[0:1]
	s_cbranch_vccnz .LBB19_22
; %bb.3:
	s_load_dwordx4 s[0:3], s[4:5], 0x40
	s_load_dwordx4 s[20:23], s[4:5], 0x28
	s_load_dword s26, s[4:5], 0x38
	s_load_dword s18, s[4:5], 0x0
	s_xor_b64 s[16:17], s[16:17], -1
	v_lshl_or_b32 v4, s6, 6, v0
	s_waitcnt lgkmcnt(0)
	s_mul_i32 s1, s1, s7
	s_mul_hi_u32 s19, s0, s7
	s_add_i32 s1, s19, s1
	s_mul_i32 s0, s0, s7
	s_lshl_b64 s[0:1], s[0:1], 4
	s_add_u32 s19, s20, s0
	s_addc_u32 s20, s21, s1
	s_lshl_b64 s[0:1], s[22:23], 4
	s_add_u32 s24, s19, s0
	s_addc_u32 s25, s20, s1
	s_andn2_b64 vcc, exec, s[16:17]
	v_cmp_gt_i32_e64 s[0:1], s18, v4
	s_cbranch_vccnz .LBB19_8
; %bb.4:
	s_mov_b64 s[20:21], 0
	s_mov_b64 s[16:17], 0
                                        ; implicit-def: $vgpr2_vgpr3
                                        ; implicit-def: $vgpr5_vgpr6
	s_and_saveexec_b64 s[22:23], s[0:1]
	s_cbranch_execz .LBB19_9
; %bb.5:
	v_cmp_neq_f64_e64 s[0:1], s[8:9], 0
	v_cmp_neq_f64_e64 s[16:17], s[10:11], 0
	v_mul_lo_u32 v5, s26, v4
	v_mov_b32_e32 v2, 0
	v_mov_b32_e32 v0, 0
	;; [unrolled: 1-line block ×4, first 2 shown]
	v_ashrrev_i32_e32 v6, 31, v5
	s_or_b64 s[0:1], s[0:1], s[16:17]
	s_andn2_b64 vcc, exec, s[0:1]
	s_cbranch_vccnz .LBB19_7
; %bb.6:
	v_lshlrev_b64 v[0:1], 4, v[5:6]
	v_mov_b32_e32 v2, s25
	v_add_co_u32_e32 v0, vcc, s24, v0
	v_addc_co_u32_e32 v1, vcc, v2, v1, vcc
	global_load_dwordx4 v[7:10], v[0:1], off
	s_waitcnt vmcnt(0)
	v_mul_f64 v[0:1], s[10:11], v[9:10]
	v_mul_f64 v[2:3], s[8:9], v[9:10]
	v_fma_f64 v[0:1], s[8:9], v[7:8], -v[0:1]
	v_fma_f64 v[2:3], s[10:11], v[7:8], v[2:3]
.LBB19_7:
	s_mov_b64 s[16:17], exec
	s_or_b64 exec, exec, s[22:23]
	s_and_b64 vcc, exec, s[20:21]
	s_cbranch_vccnz .LBB19_10
	s_branch .LBB19_20
.LBB19_8:
	s_mov_b64 s[16:17], 0
                                        ; implicit-def: $vgpr2_vgpr3
                                        ; implicit-def: $vgpr5_vgpr6
	s_cbranch_execnz .LBB19_10
	s_branch .LBB19_20
.LBB19_9:
	s_or_b64 exec, exec, s[22:23]
	s_and_b64 vcc, exec, s[20:21]
	s_cbranch_vccz .LBB19_20
.LBB19_10:
	v_cmp_gt_i32_e32 vcc, s18, v4
                                        ; implicit-def: $vgpr2_vgpr3
                                        ; implicit-def: $vgpr5_vgpr6
	s_and_saveexec_b64 s[0:1], vcc
	s_cbranch_execz .LBB19_19
; %bb.11:
	v_mov_b32_e32 v0, 0
	v_mov_b32_e32 v2, 0
	;; [unrolled: 1-line block ×3, first 2 shown]
	s_cmp_lt_i32 s6, 0
	v_mov_b32_e32 v3, 0
	s_cbranch_scc1 .LBB19_14
; %bb.12:
	s_load_dword s5, s[4:5], 0x58
	s_ashr_i32 s19, s18, 31
	s_add_i32 s4, s6, 1
	s_mul_hi_u32 s6, s18, s7
	s_mul_i32 s20, s19, s7
	s_add_i32 s6, s6, s20
	s_mul_i32 s20, s18, s7
	s_waitcnt lgkmcnt(0)
	s_mul_i32 s6, s6, s5
	s_mul_hi_u32 s7, s20, s5
	s_add_i32 s7, s7, s6
	s_mul_i32 s6, s20, s5
	v_mov_b32_e32 v5, 0
	s_lshl_b64 s[6:7], s[6:7], 4
	v_lshlrev_b64 v[0:1], 4, v[4:5]
	s_add_u32 s2, s2, s6
	s_addc_u32 s3, s3, s7
	v_mov_b32_e32 v2, s3
	v_add_co_u32_e32 v0, vcc, s2, v0
	v_addc_co_u32_e32 v1, vcc, v2, v1, vcc
	v_add_co_u32_e32 v5, vcc, 8, v0
	v_addc_co_u32_e32 v6, vcc, 0, v1, vcc
	s_lshl_b64 s[2:3], s[18:19], 4
	v_mov_b32_e32 v0, 0
	v_mov_b32_e32 v2, 0
	;; [unrolled: 1-line block ×5, first 2 shown]
.LBB19_13:                              ; =>This Inner Loop Header: Depth=1
	global_load_dwordx4 v[8:11], v[5:6], off offset:-8
	s_add_i32 s4, s4, -1
	v_add_co_u32_e32 v5, vcc, s2, v5
	s_cmp_eq_u32 s4, 0
	v_addc_co_u32_e32 v6, vcc, v6, v7, vcc
	s_waitcnt vmcnt(0)
	v_add_f64 v[2:3], v[2:3], v[8:9]
	v_add_f64 v[0:1], v[0:1], v[10:11]
	s_cbranch_scc0 .LBB19_13
.LBB19_14:
	v_mul_f64 v[5:6], s[14:15], v[0:1]
	v_mul_f64 v[7:8], s[12:13], v[0:1]
	v_cmp_neq_f64_e64 s[4:5], s[8:9], 0
	v_cmp_neq_f64_e64 s[6:7], s[10:11], 0
	s_mov_b64 s[2:3], 0
	v_fma_f64 v[0:1], s[12:13], v[2:3], -v[5:6]
	v_fma_f64 v[2:3], s[14:15], v[2:3], v[7:8]
	v_mul_lo_u32 v5, s26, v4
	s_or_b64 s[4:5], s[4:5], s[6:7]
	s_andn2_b64 vcc, exec, s[4:5]
	v_ashrrev_i32_e32 v6, 31, v5
	s_cbranch_vccnz .LBB19_16
; %bb.15:
	s_mov_b64 s[2:3], -1
.LBB19_16:
	s_andn2_b64 vcc, exec, s[2:3]
	s_cbranch_vccnz .LBB19_18
; %bb.17:
	v_lshlrev_b64 v[7:8], 4, v[5:6]
	v_mov_b32_e32 v4, s25
	v_add_co_u32_e32 v7, vcc, s24, v7
	v_addc_co_u32_e32 v8, vcc, v4, v8, vcc
	global_load_dwordx4 v[7:10], v[7:8], off
	s_waitcnt vmcnt(0)
	v_mul_f64 v[11:12], s[10:11], v[9:10]
	v_mul_f64 v[9:10], s[8:9], v[9:10]
	v_fma_f64 v[11:12], s[8:9], v[7:8], -v[11:12]
	v_fma_f64 v[7:8], s[10:11], v[7:8], v[9:10]
	v_add_f64 v[0:1], v[0:1], v[11:12]
	v_add_f64 v[2:3], v[2:3], v[7:8]
.LBB19_18:
	s_or_b64 s[16:17], s[16:17], exec
.LBB19_19:
	s_or_b64 exec, exec, s[0:1]
.LBB19_20:
	s_and_saveexec_b64 s[0:1], s[16:17]
	s_cbranch_execz .LBB19_22
; %bb.21:
	v_lshlrev_b64 v[4:5], 4, v[5:6]
	v_mov_b32_e32 v6, s25
	v_add_co_u32_e32 v4, vcc, s24, v4
	v_addc_co_u32_e32 v5, vcc, v6, v5, vcc
	global_store_dwordx4 v[4:5], v[0:3], off
.LBB19_22:
	s_endpgm
	.section	.rodata,"a",@progbits
	.p2align	6, 0x0
	.amdhsa_kernel _ZL36rocblas_hemvn_kernel_upper_block_sumILi64EiPK19rocblas_complex_numIdEPS1_S1_EviT1_lS5_lT2_lT0_lPT3_i
		.amdhsa_group_segment_fixed_size 0
		.amdhsa_private_segment_fixed_size 0
		.amdhsa_kernarg_size 344
		.amdhsa_user_sgpr_count 6
		.amdhsa_user_sgpr_private_segment_buffer 1
		.amdhsa_user_sgpr_dispatch_ptr 0
		.amdhsa_user_sgpr_queue_ptr 0
		.amdhsa_user_sgpr_kernarg_segment_ptr 1
		.amdhsa_user_sgpr_dispatch_id 0
		.amdhsa_user_sgpr_flat_scratch_init 0
		.amdhsa_user_sgpr_private_segment_size 0
		.amdhsa_uses_dynamic_stack 0
		.amdhsa_system_sgpr_private_segment_wavefront_offset 0
		.amdhsa_system_sgpr_workgroup_id_x 1
		.amdhsa_system_sgpr_workgroup_id_y 0
		.amdhsa_system_sgpr_workgroup_id_z 1
		.amdhsa_system_sgpr_workgroup_info 0
		.amdhsa_system_vgpr_workitem_id 0
		.amdhsa_next_free_vgpr 13
		.amdhsa_next_free_sgpr 27
		.amdhsa_reserve_vcc 1
		.amdhsa_reserve_flat_scratch 0
		.amdhsa_float_round_mode_32 0
		.amdhsa_float_round_mode_16_64 0
		.amdhsa_float_denorm_mode_32 3
		.amdhsa_float_denorm_mode_16_64 3
		.amdhsa_dx10_clamp 1
		.amdhsa_ieee_mode 1
		.amdhsa_fp16_overflow 0
		.amdhsa_exception_fp_ieee_invalid_op 0
		.amdhsa_exception_fp_denorm_src 0
		.amdhsa_exception_fp_ieee_div_zero 0
		.amdhsa_exception_fp_ieee_overflow 0
		.amdhsa_exception_fp_ieee_underflow 0
		.amdhsa_exception_fp_ieee_inexact 0
		.amdhsa_exception_int_div_zero 0
	.end_amdhsa_kernel
	.section	.text._ZL36rocblas_hemvn_kernel_upper_block_sumILi64EiPK19rocblas_complex_numIdEPS1_S1_EviT1_lS5_lT2_lT0_lPT3_i,"axG",@progbits,_ZL36rocblas_hemvn_kernel_upper_block_sumILi64EiPK19rocblas_complex_numIdEPS1_S1_EviT1_lS5_lT2_lT0_lPT3_i,comdat
.Lfunc_end19:
	.size	_ZL36rocblas_hemvn_kernel_upper_block_sumILi64EiPK19rocblas_complex_numIdEPS1_S1_EviT1_lS5_lT2_lT0_lPT3_i, .Lfunc_end19-_ZL36rocblas_hemvn_kernel_upper_block_sumILi64EiPK19rocblas_complex_numIdEPS1_S1_EviT1_lS5_lT2_lT0_lPT3_i
                                        ; -- End function
	.set _ZL36rocblas_hemvn_kernel_upper_block_sumILi64EiPK19rocblas_complex_numIdEPS1_S1_EviT1_lS5_lT2_lT0_lPT3_i.num_vgpr, 13
	.set _ZL36rocblas_hemvn_kernel_upper_block_sumILi64EiPK19rocblas_complex_numIdEPS1_S1_EviT1_lS5_lT2_lT0_lPT3_i.num_agpr, 0
	.set _ZL36rocblas_hemvn_kernel_upper_block_sumILi64EiPK19rocblas_complex_numIdEPS1_S1_EviT1_lS5_lT2_lT0_lPT3_i.numbered_sgpr, 27
	.set _ZL36rocblas_hemvn_kernel_upper_block_sumILi64EiPK19rocblas_complex_numIdEPS1_S1_EviT1_lS5_lT2_lT0_lPT3_i.num_named_barrier, 0
	.set _ZL36rocblas_hemvn_kernel_upper_block_sumILi64EiPK19rocblas_complex_numIdEPS1_S1_EviT1_lS5_lT2_lT0_lPT3_i.private_seg_size, 0
	.set _ZL36rocblas_hemvn_kernel_upper_block_sumILi64EiPK19rocblas_complex_numIdEPS1_S1_EviT1_lS5_lT2_lT0_lPT3_i.uses_vcc, 1
	.set _ZL36rocblas_hemvn_kernel_upper_block_sumILi64EiPK19rocblas_complex_numIdEPS1_S1_EviT1_lS5_lT2_lT0_lPT3_i.uses_flat_scratch, 0
	.set _ZL36rocblas_hemvn_kernel_upper_block_sumILi64EiPK19rocblas_complex_numIdEPS1_S1_EviT1_lS5_lT2_lT0_lPT3_i.has_dyn_sized_stack, 0
	.set _ZL36rocblas_hemvn_kernel_upper_block_sumILi64EiPK19rocblas_complex_numIdEPS1_S1_EviT1_lS5_lT2_lT0_lPT3_i.has_recursion, 0
	.set _ZL36rocblas_hemvn_kernel_upper_block_sumILi64EiPK19rocblas_complex_numIdEPS1_S1_EviT1_lS5_lT2_lT0_lPT3_i.has_indirect_call, 0
	.section	.AMDGPU.csdata,"",@progbits
; Kernel info:
; codeLenInByte = 856
; TotalNumSgprs: 31
; NumVgprs: 13
; ScratchSize: 0
; MemoryBound: 0
; FloatMode: 240
; IeeeMode: 1
; LDSByteSize: 0 bytes/workgroup (compile time only)
; SGPRBlocks: 3
; VGPRBlocks: 3
; NumSGPRsForWavesPerEU: 31
; NumVGPRsForWavesPerEU: 13
; Occupancy: 10
; WaveLimiterHint : 0
; COMPUTE_PGM_RSRC2:SCRATCH_EN: 0
; COMPUTE_PGM_RSRC2:USER_SGPR: 6
; COMPUTE_PGM_RSRC2:TRAP_HANDLER: 0
; COMPUTE_PGM_RSRC2:TGID_X_EN: 1
; COMPUTE_PGM_RSRC2:TGID_Y_EN: 0
; COMPUTE_PGM_RSRC2:TGID_Z_EN: 1
; COMPUTE_PGM_RSRC2:TIDIG_COMP_CNT: 0
	.section	.text._ZL26rocblas_hemvn_kernel_upperILb1ELi64ELi4ELi33ELi32ELi16El19rocblas_complex_numIdEPKS1_PS1_EviT6_lT7_lT5_lS6_lS7_lS5_lT8_i,"axG",@progbits,_ZL26rocblas_hemvn_kernel_upperILb1ELi64ELi4ELi33ELi32ELi16El19rocblas_complex_numIdEPKS1_PS1_EviT6_lT7_lT5_lS6_lS7_lS5_lT8_i,comdat
	.globl	_ZL26rocblas_hemvn_kernel_upperILb1ELi64ELi4ELi33ELi32ELi16El19rocblas_complex_numIdEPKS1_PS1_EviT6_lT7_lT5_lS6_lS7_lS5_lT8_i ; -- Begin function _ZL26rocblas_hemvn_kernel_upperILb1ELi64ELi4ELi33ELi32ELi16El19rocblas_complex_numIdEPKS1_PS1_EviT6_lT7_lT5_lS6_lS7_lS5_lT8_i
	.p2align	8
	.type	_ZL26rocblas_hemvn_kernel_upperILb1ELi64ELi4ELi33ELi32ELi16El19rocblas_complex_numIdEPKS1_PS1_EviT6_lT7_lT5_lS6_lS7_lS5_lT8_i,@function
_ZL26rocblas_hemvn_kernel_upperILb1ELi64ELi4ELi33ELi32ELi16El19rocblas_complex_numIdEPKS1_PS1_EviT6_lT7_lT5_lS6_lS7_lS5_lT8_i: ; @_ZL26rocblas_hemvn_kernel_upperILb1ELi64ELi4ELi33ELi32ELi16El19rocblas_complex_numIdEPKS1_PS1_EviT6_lT7_lT5_lS6_lS7_lS5_lT8_i
; %bb.0:
	s_load_dwordx2 s[2:3], s[4:5], 0x94
	s_add_u32 s0, s4, 0x88
	s_addc_u32 s1, s5, 0
	s_waitcnt lgkmcnt(0)
	s_lshr_b32 s8, s2, 16
	s_and_b32 s2, s2, 0xffff
	s_and_b32 s3, s3, 0xffff
	s_mul_i32 s2, s8, s2
	s_mul_i32 s2, s2, s3
	s_cmpk_lg_i32 s2, 0x100
	s_cbranch_scc1 .LBB20_202
; %bb.1:
	s_load_dwordx4 s[8:11], s[4:5], 0x8
	s_waitcnt lgkmcnt(0)
	v_cmp_neq_f64_e64 s[2:3], s[8:9], 0
	v_cmp_neq_f64_e64 s[8:9], s[10:11], 0
	s_or_b64 s[2:3], s[2:3], s[8:9]
	s_mov_b64 s[8:9], -1
	s_and_b64 vcc, exec, s[2:3]
	s_cbranch_vccnz .LBB20_3
; %bb.2:
	s_load_dwordx4 s[8:11], s[4:5], 0x60
	s_waitcnt lgkmcnt(0)
	v_cmp_neq_f64_e64 s[8:9], s[8:9], 1.0
	v_cmp_neq_f64_e64 s[10:11], s[10:11], 0
	s_or_b64 s[8:9], s[8:9], s[10:11]
.LBB20_3:
	s_andn2_b64 vcc, exec, s[8:9]
	s_cbranch_vccnz .LBB20_202
; %bb.4:
	s_andn2_b64 vcc, exec, s[2:3]
	s_cbranch_vccnz .LBB20_202
; %bb.5:
	s_load_dwordx16 s[16:31], s[4:5], 0x20
	s_load_dword s33, s[0:1], 0x0
	s_load_dword s37, s[4:5], 0x0
	s_waitcnt lgkmcnt(0)
	s_mul_i32 s1, s31, s7
	s_mul_hi_u32 s2, s30, s7
	s_mul_i32 s0, s30, s7
	s_add_i32 s1, s2, s1
	s_lshl_b64 s[0:1], s[0:1], 4
	s_add_u32 s2, s24, s0
	s_addc_u32 s3, s25, s1
	s_lshl_b64 s[0:1], s[26:27], 4
	s_add_u32 s2, s2, s0
	s_addc_u32 s3, s3, s1
	s_lshl_b32 s26, s6, 6
	s_ashr_i32 s38, s37, 31
	s_lshr_b32 s0, s38, 26
	v_add_u32_e32 v175, s26, v0
	s_add_i32 s0, s37, s0
	v_ashrrev_i32_e32 v176, 31, v175
	s_and_b32 s9, s0, 0xffffffc0
	v_mul_lo_u32 v4, s28, v176
	v_mul_lo_u32 v5, s29, v175
	v_mad_u64_u32 v[2:3], s[0:1], s28, v175, 0
	s_add_i32 s8, s33, -1
	s_sub_i32 s36, s37, s9
	v_add3_u32 v3, v3, v4, v5
	v_lshlrev_b64 v[2:3], 4, v[2:3]
	s_cmp_eq_u32 s6, s8
	v_mov_b32_e32 v4, s3
	v_add_co_u32_e32 v40, vcc, s2, v2
	s_cselect_b32 s24, s36, 0
	v_addc_co_u32_e32 v41, vcc, v4, v3, vcc
	v_cmp_eq_u32_e64 s[0:1], 0, v1
	s_and_saveexec_b64 s[2:3], s[0:1]
	s_cbranch_execz .LBB20_10
; %bb.6:
	s_cmp_lg_u32 s24, 0
	s_cselect_b64 s[8:9], -1, 0
	v_cmp_le_i32_e32 vcc, s24, v0
	v_mov_b32_e32 v2, 0x4700
	s_and_b64 s[8:9], s[8:9], vcc
	v_lshl_add_u32 v2, v0, 4, v2
	s_and_saveexec_b64 s[10:11], s[8:9]
	s_xor_b64 s[8:9], exec, s[10:11]
; %bb.7:
	v_mov_b32_e32 v3, 0
	v_mov_b32_e32 v4, v3
	;; [unrolled: 1-line block ×4, first 2 shown]
	ds_write_b128 v2, v[3:6]
                                        ; implicit-def: $vgpr2
; %bb.8:
	s_andn2_saveexec_b64 s[8:9], s[8:9]
	s_cbranch_execz .LBB20_10
; %bb.9:
	global_load_dwordx4 v[3:6], v[40:41], off
	s_waitcnt vmcnt(0)
	ds_write2_b64 v2, v[3:4], v[5:6] offset1:1
.LBB20_10:
	s_or_b64 exec, exec, s[2:3]
	v_lshl_add_u32 v44, v1, 6, v0
	s_mul_i32 s2, s23, s7
	s_mul_hi_u32 s3, s22, s7
	v_and_b32_e32 v10, 31, v0
	v_lshrrev_b32_e32 v13, 5, v44
	s_add_i32 s3, s3, s2
	s_mul_i32 s2, s22, s7
	v_mov_b32_e32 v11, 0
	s_lshl_b64 s[2:3], s[2:3], 4
	v_mad_u64_u32 v[2:3], s[8:9], s20, v13, v[10:11]
	s_add_u32 s10, s16, s2
	s_addc_u32 s11, s17, s3
	s_lshl_b64 s[2:3], s[18:19], 4
	s_add_u32 s8, s10, s2
	s_addc_u32 s9, s11, s3
	v_mad_u64_u32 v[3:4], s[2:3], s21, v13, v[3:4]
	s_ashr_i32 s27, s26, 31
	s_lshl_b64 s[2:3], s[26:27], 4
	s_add_u32 s2, s8, s2
	v_lshlrev_b64 v[38:39], 4, v[2:3]
	s_addc_u32 s3, s9, s3
	v_mov_b32_e32 v2, s3
	v_add_co_u32_e32 v3, vcc, s2, v38
	s_mul_hi_u32 s2, s20, s26
	s_mul_i32 s3, s20, s27
	s_add_i32 s2, s2, s3
	s_mul_i32 s3, s21, s26
	s_add_i32 s3, s2, s3
	s_mul_i32 s2, s20, s26
	s_lshl_b64 s[2:3], s[2:3], 4
	v_addc_co_u32_e32 v4, vcc, v2, v39, vcc
	s_cmp_eq_u32 s24, 0
	v_mov_b32_e32 v5, s3
	v_add_co_u32_e32 v2, vcc, s2, v3
	s_cselect_b64 s[18:19], -1, 0
	s_cmp_lg_u32 s24, 0
	v_addc_co_u32_e32 v3, vcc, v4, v5, vcc
	s_cselect_b64 s[22:23], -1, 0
	s_and_b64 vcc, exec, s[22:23]
	v_cmp_gt_i32_e64 s[2:3], s24, v10
	v_lshlrev_b32_e32 v15, 4, v10
	v_lshlrev_b32_e32 v14, 4, v10
	s_cbranch_vccz .LBB20_28
; %bb.11:
	v_sub_co_u32_e32 v4, vcc, v2, v15
	s_ashr_i32 s25, s24, 31
	v_subbrev_co_u32_e32 v5, vcc, 0, v3, vcc
	s_lshl_b64 s[8:9], s[24:25], 4
	v_mov_b32_e32 v6, s9
	v_add_co_u32_e32 v4, vcc, s8, v4
	v_addc_co_u32_e32 v5, vcc, v5, v6, vcc
	v_add_co_u32_e32 v4, vcc, -16, v4
	v_addc_co_u32_e32 v5, vcc, -1, v5, vcc
	s_movk_i32 s10, 0x210
	v_cndmask_b32_e64 v5, v5, v3, s[2:3]
	v_cndmask_b32_e64 v4, v4, v2, s[2:3]
	v_cmp_le_i32_e32 vcc, s24, v13
	v_mad_u32_u24 v7, v13, s10, v14
	s_and_saveexec_b64 s[10:11], vcc
	s_xor_b64 s[10:11], exec, s[10:11]
; %bb.12:
	v_mov_b32_e32 v16, 0
	v_mov_b32_e32 v17, v16
	;; [unrolled: 1-line block ×4, first 2 shown]
	ds_write_b128 v7, v[16:19]
                                        ; implicit-def: $vgpr7
; %bb.13:
	s_or_saveexec_b64 s[10:11], s[10:11]
	v_mul_u32_u24_e32 v6, 0x210, v13
	s_xor_b64 exec, exec, s[10:11]
	s_cbranch_execz .LBB20_15
; %bb.14:
	global_load_dwordx4 v[16:19], v[4:5], off
	s_waitcnt vmcnt(0)
	ds_write2_b64 v7, v[16:17], v[18:19] offset1:1
.LBB20_15:
	s_or_b64 exec, exec, s[10:11]
	v_add_u32_e32 v7, 8, v13
	v_cmp_le_i32_e32 vcc, s24, v7
	v_add_u32_e32 v7, v6, v14
	s_and_saveexec_b64 s[10:11], vcc
	s_xor_b64 s[10:11], exec, s[10:11]
; %bb.16:
	v_mov_b32_e32 v16, 0
	v_mov_b32_e32 v17, v16
	;; [unrolled: 1-line block ×4, first 2 shown]
	ds_write_b128 v7, v[16:19] offset:4224
; %bb.17:
	s_andn2_saveexec_b64 s[10:11], s[10:11]
	s_cbranch_execz .LBB20_19
; %bb.18:
	s_lshl_b64 s[12:13], s[20:21], 7
	v_mov_b32_e32 v9, s13
	v_add_co_u32_e32 v8, vcc, s12, v4
	v_addc_co_u32_e32 v9, vcc, v5, v9, vcc
	global_load_dwordx4 v[16:19], v[8:9], off
	s_movk_i32 s12, 0x1080
	v_add3_u32 v8, v6, v14, s12
	s_waitcnt vmcnt(0)
	ds_write2_b64 v8, v[16:17], v[18:19] offset1:1
.LBB20_19:
	s_or_b64 exec, exec, s[10:11]
	v_add_u32_e32 v8, 16, v13
	v_cmp_le_i32_e32 vcc, s24, v8
	s_and_saveexec_b64 s[10:11], vcc
	s_xor_b64 s[10:11], exec, s[10:11]
; %bb.20:
	v_mov_b32_e32 v16, 0
	v_mov_b32_e32 v17, v16
	;; [unrolled: 1-line block ×4, first 2 shown]
	ds_write_b128 v7, v[16:19] offset:8448
; %bb.21:
	s_andn2_saveexec_b64 s[10:11], s[10:11]
	s_cbranch_execz .LBB20_23
; %bb.22:
	s_lshl_b64 s[12:13], s[20:21], 8
	v_mov_b32_e32 v9, s13
	v_add_co_u32_e32 v8, vcc, s12, v4
	v_addc_co_u32_e32 v9, vcc, v5, v9, vcc
	global_load_dwordx4 v[16:19], v[8:9], off
	s_movk_i32 s12, 0x2100
	v_add3_u32 v8, v6, v14, s12
	s_waitcnt vmcnt(0)
	ds_write2_b64 v8, v[16:17], v[18:19] offset1:1
.LBB20_23:
	s_or_b64 exec, exec, s[10:11]
	v_add_u32_e32 v8, 24, v13
	v_cmp_le_i32_e32 vcc, s24, v8
	s_and_saveexec_b64 s[10:11], vcc
	s_xor_b64 s[10:11], exec, s[10:11]
; %bb.24:
	v_mov_b32_e32 v16, 0
	v_mov_b32_e32 v17, v16
	;; [unrolled: 1-line block ×4, first 2 shown]
	ds_write_b128 v7, v[16:19] offset:12672
                                        ; implicit-def: $vgpr6
; %bb.25:
	s_andn2_saveexec_b64 s[10:11], s[10:11]
	s_cbranch_execz .LBB20_27
; %bb.26:
	v_mov_b32_e32 v7, 0x180
	v_mad_u64_u32 v[7:8], s[12:13], s20, v7, v[4:5]
	s_mul_i32 s12, s21, 0x180
	v_add_u32_e32 v8, s12, v8
	global_load_dwordx4 v[16:19], v[7:8], off
	s_movk_i32 s12, 0x3180
	v_add3_u32 v6, v6, v14, s12
	s_waitcnt vmcnt(0)
	ds_write2_b64 v6, v[16:17], v[18:19] offset1:1
.LBB20_27:
	s_or_b64 exec, exec, s[10:11]
	v_add_co_u32_e32 v4, vcc, v4, v15
	v_addc_co_u32_e32 v5, vcc, 0, v5, vcc
	v_mov_b32_e32 v6, s9
	v_subrev_co_u32_e32 v4, vcc, s8, v4
	v_subb_co_u32_e32 v5, vcc, v5, v6, vcc
	v_add_co_u32_e32 v4, vcc, 16, v4
	v_addc_co_u32_e32 v5, vcc, 0, v5, vcc
	v_cndmask_b32_e64 v7, v5, v3, s[2:3]
	v_cndmask_b32_e64 v6, v4, v2, s[2:3]
	s_branch .LBB20_30
.LBB20_28:
                                        ; implicit-def: $vgpr6_vgpr7
	s_cbranch_execz .LBB20_30
; %bb.29:
	s_lshl_b64 s[2:3], s[20:21], 7
	v_mov_b32_e32 v12, s3
	v_add_co_u32_e32 v8, vcc, s2, v2
	v_addc_co_u32_e32 v9, vcc, v3, v12, vcc
	global_load_dwordx4 v[4:7], v[2:3], off
	global_load_dwordx4 v[16:19], v[8:9], off
	v_add_co_u32_e32 v8, vcc, s2, v8
	v_addc_co_u32_e32 v9, vcc, v9, v12, vcc
	v_add_co_u32_e32 v11, vcc, s2, v8
	v_addc_co_u32_e32 v12, vcc, v9, v12, vcc
	global_load_dwordx4 v[20:23], v[8:9], off
	global_load_dwordx4 v[24:27], v[11:12], off
	v_mul_u32_u24_e32 v8, 0x210, v13
	v_lshl_add_u32 v8, v10, 4, v8
	v_add_u32_e32 v9, 0x1080, v8
	v_add_u32_e32 v11, 0x2100, v8
	;; [unrolled: 1-line block ×3, first 2 shown]
	s_waitcnt vmcnt(3)
	ds_write2_b64 v8, v[4:5], v[6:7] offset1:1
	s_waitcnt vmcnt(2)
	ds_write2_b64 v9, v[16:17], v[18:19] offset1:1
	s_waitcnt vmcnt(1)
	ds_write2_b64 v11, v[20:21], v[22:23] offset1:1
	s_waitcnt vmcnt(0)
	ds_write2_b64 v12, v[24:25], v[26:27] offset1:1
	v_mov_b32_e32 v7, v3
	v_mov_b32_e32 v6, v2
.LBB20_30:
	v_lshlrev_b32_e32 v18, 2, v13
	v_mul_u32_u24_e32 v16, 0x210, v10
	v_cmp_le_u32_e64 s[16:17], v18, v10
	s_mov_b64 s[2:3], 0
	s_waitcnt lgkmcnt(0)
	s_barrier
                                        ; implicit-def: $vgpr2
	s_and_saveexec_b64 s[8:9], s[16:17]
	s_xor_b64 s[8:9], exec, s[8:9]
	s_cbranch_execz .LBB20_34
; %bb.31:
	v_cmp_eq_u32_e32 vcc, v18, v10
                                        ; implicit-def: $vgpr2
	s_and_saveexec_b64 s[10:11], vcc
	s_xor_b64 s[10:11], exec, s[10:11]
; %bb.32:
	s_mov_b64 s[2:3], exec
	v_add_u32_e32 v2, v14, v16
; %bb.33:
	s_or_b64 exec, exec, s[10:11]
	s_and_b64 s[2:3], s[2:3], exec
.LBB20_34:
	s_or_saveexec_b64 s[8:9], s[8:9]
	v_lshl_or_b32 v3, v10, 9, v14
	v_mov_b32_e32 v4, 0
	v_mov_b32_e32 v5, 0
	v_lshl_add_u32 v8, v18, 4, v3
	s_xor_b64 exec, exec, s[8:9]
	s_cbranch_execz .LBB20_36
; %bb.35:
	s_movk_i32 s10, 0x840
	v_mad_u32_u24 v2, v13, s10, v14
	ds_read_b128 v[2:5], v2
	s_or_b64 s[2:3], s[2:3], exec
	s_waitcnt lgkmcnt(0)
	v_xor_b32_e32 v5, 0x80000000, v5
	ds_write_b64 v8, v[2:3]
	v_mov_b32_e32 v2, v8
.LBB20_36:
	s_or_b64 exec, exec, s[8:9]
	s_and_saveexec_b64 s[8:9], s[2:3]
; %bb.37:
	ds_write_b64 v2, v[4:5] offset:8
; %bb.38:
	s_or_b64 exec, exec, s[8:9]
	v_or_b32_e32 v19, 1, v18
	v_cmp_ge_u32_e64 s[8:9], v18, v10
	s_mov_b64 s[2:3], 0
                                        ; implicit-def: $vgpr4_vgpr5
                                        ; implicit-def: $vgpr9
	s_and_saveexec_b64 s[10:11], s[8:9]
	s_xor_b64 s[10:11], exec, s[10:11]
	s_cbranch_execnz .LBB20_78
; %bb.39:
	s_andn2_saveexec_b64 s[10:11], s[10:11]
	s_cbranch_execnz .LBB20_79
.LBB20_40:
	s_or_b64 exec, exec, s[10:11]
	s_and_saveexec_b64 s[10:11], s[2:3]
.LBB20_41:
	ds_write_b64 v9, v[4:5] offset:8
.LBB20_42:
	s_or_b64 exec, exec, s[10:11]
	v_or_b32_e32 v20, 2, v18
	v_cmp_le_u32_e64 s[10:11], v20, v10
	s_mov_b64 s[2:3], 0
                                        ; implicit-def: $vgpr9
	s_and_saveexec_b64 s[12:13], s[10:11]
	s_xor_b64 s[12:13], exec, s[12:13]
	s_cbranch_execz .LBB20_46
; %bb.43:
	v_cmp_eq_u32_e32 vcc, v20, v10
                                        ; implicit-def: $vgpr9
	s_and_saveexec_b64 s[14:15], vcc
; %bb.44:
	s_mov_b64 s[2:3], exec
	v_add_u32_e32 v9, v14, v16
; %bb.45:
	s_or_b64 exec, exec, s[14:15]
	s_and_b64 s[2:3], s[2:3], exec
.LBB20_46:
	s_or_saveexec_b64 s[12:13], s[12:13]
	v_mov_b32_e32 v4, 0
	v_mov_b32_e32 v5, 0
	s_xor_b64 exec, exec, s[12:13]
	s_cbranch_execz .LBB20_48
; %bb.47:
	s_movk_i32 s14, 0x210
	v_mad_u32_u24 v2, v20, s14, v14
	ds_read_b128 v[2:5], v2
	v_add_u32_e32 v9, 32, v8
	s_or_b64 s[2:3], s[2:3], exec
	s_waitcnt lgkmcnt(0)
	v_xor_b32_e32 v5, 0x80000000, v5
	ds_write_b64 v8, v[2:3] offset:32
.LBB20_48:
	s_or_b64 exec, exec, s[12:13]
	s_and_saveexec_b64 s[12:13], s[2:3]
; %bb.49:
	ds_write_b64 v9, v[4:5] offset:8
; %bb.50:
	s_or_b64 exec, exec, s[12:13]
	v_or_b32_e32 v21, 3, v18
	v_cmp_le_u32_e64 s[12:13], v21, v10
	s_mov_b64 s[2:3], 0
                                        ; implicit-def: $vgpr9
	s_and_saveexec_b64 s[14:15], s[12:13]
	s_xor_b64 s[14:15], exec, s[14:15]
	s_cbranch_execz .LBB20_54
; %bb.51:
	v_cmp_eq_u32_e32 vcc, v21, v10
                                        ; implicit-def: $vgpr9
	s_and_saveexec_b64 s[30:31], vcc
; %bb.52:
	s_mov_b64 s[2:3], exec
	v_add_u32_e32 v9, v14, v16
; %bb.53:
	s_or_b64 exec, exec, s[30:31]
	s_and_b64 s[2:3], s[2:3], exec
                                        ; implicit-def: $vgpr8
.LBB20_54:
	s_or_saveexec_b64 s[14:15], s[14:15]
	v_mov_b32_e32 v4, 0
	v_mov_b32_e32 v5, 0
	s_xor_b64 exec, exec, s[14:15]
	s_cbranch_execz .LBB20_56
; %bb.55:
	s_movk_i32 s25, 0x210
	v_mad_u32_u24 v2, v21, s25, v14
	ds_read_b128 v[2:5], v2
	v_add_u32_e32 v9, 48, v8
	s_or_b64 s[2:3], s[2:3], exec
	s_waitcnt lgkmcnt(0)
	v_xor_b32_e32 v5, 0x80000000, v5
	ds_write_b64 v8, v[2:3] offset:48
.LBB20_56:
	s_or_b64 exec, exec, s[14:15]
	s_and_saveexec_b64 s[14:15], s[2:3]
; %bb.57:
	ds_write_b64 v9, v[4:5] offset:8
; %bb.58:
	s_or_b64 exec, exec, s[14:15]
	s_movk_i32 s2, 0x840
	v_lshlrev_b32_e32 v22, 4, v18
	s_waitcnt lgkmcnt(0)
	s_barrier
	v_mad_u32_u24 v8, v13, s2, v14
	ds_read_b128 v[2:5], v22 offset:18176
	ds_read_b128 v[23:26], v8
	ds_read_b128 v[27:30], v22 offset:18192
	s_movk_i32 s25, 0x210
	v_mad_u32_u24 v17, v19, s25, v14
	ds_read_b128 v[31:34], v17
	ds_read_b128 v[45:48], v22 offset:18208
	s_waitcnt lgkmcnt(3)
	v_mul_f64 v[8:9], v[4:5], v[25:26]
	v_mul_f64 v[11:12], v[2:3], v[25:26]
	v_cmp_gt_u32_e64 s[2:3], 32, v44
	s_waitcnt lgkmcnt(1)
	v_mul_f64 v[42:43], v[29:30], v[33:34]
	v_mul_f64 v[49:50], v[27:28], v[33:34]
	ds_read_b128 v[33:36], v17 offset:528
	v_fma_f64 v[8:9], v[2:3], v[23:24], -v[8:9]
	v_fma_f64 v[11:12], v[4:5], v[23:24], v[11:12]
	ds_read_b128 v[2:5], v22 offset:18224
	ds_read_b128 v[23:26], v17 offset:1056
	v_fma_f64 v[27:28], v[27:28], v[31:32], -v[42:43]
	s_waitcnt lgkmcnt(2)
	v_mul_f64 v[42:43], v[47:48], v[35:36]
	v_fma_f64 v[29:30], v[29:30], v[31:32], v[49:50]
	v_mul_f64 v[31:32], v[45:46], v[35:36]
	s_waitcnt lgkmcnt(0)
	v_mul_f64 v[35:36], v[4:5], v[25:26]
	v_add_f64 v[8:9], v[8:9], 0
	v_add_f64 v[11:12], v[11:12], 0
	v_mul_f64 v[25:26], v[2:3], v[25:26]
	v_fma_f64 v[42:43], v[45:46], v[33:34], -v[42:43]
	s_barrier
	v_add_f64 v[8:9], v[8:9], v[27:28]
	v_fma_f64 v[27:28], v[47:48], v[33:34], v[31:32]
	v_add_f64 v[11:12], v[11:12], v[29:30]
	v_fma_f64 v[29:30], v[2:3], v[23:24], -v[35:36]
	v_fma_f64 v[4:5], v[4:5], v[23:24], v[25:26]
	v_mov_b32_e32 v2, 0
	v_mov_b32_e32 v3, 0
	v_add_f64 v[8:9], v[8:9], v[42:43]
	v_add_f64 v[11:12], v[11:12], v[27:28]
	v_add_f64 v[23:24], v[8:9], v[29:30]
	v_mul_u32_u24_e32 v8, 33, v10
	v_add_f64 v[25:26], v[11:12], v[4:5]
	v_mov_b32_e32 v4, 0
	v_lshlrev_b32_e32 v45, 4, v8
	v_mov_b32_e32 v5, 0
	v_lshl_add_u32 v46, v13, 4, v45
	ds_write_b128 v46, v[23:26]
	s_waitcnt lgkmcnt(0)
	s_barrier
	s_and_saveexec_b64 s[14:15], s[2:3]
	s_cbranch_execz .LBB20_60
; %bb.59:
	ds_read_b128 v[2:5], v45
	ds_read_b128 v[23:26], v45 offset:16
	s_waitcnt lgkmcnt(0)
	v_add_f64 v[8:9], v[23:24], v[2:3]
	v_add_f64 v[11:12], v[25:26], v[4:5]
	ds_read_b128 v[2:5], v45 offset:32
	ds_read_b128 v[23:26], v45 offset:48
	s_waitcnt lgkmcnt(1)
	v_add_f64 v[2:3], v[8:9], v[2:3]
	v_add_f64 v[4:5], v[11:12], v[4:5]
	s_waitcnt lgkmcnt(0)
	v_add_f64 v[8:9], v[2:3], v[23:24]
	v_add_f64 v[11:12], v[4:5], v[25:26]
	ds_read_b128 v[2:5], v45 offset:64
	ds_read_b128 v[23:26], v45 offset:80
	s_waitcnt lgkmcnt(1)
	v_add_f64 v[2:3], v[8:9], v[2:3]
	v_add_f64 v[4:5], v[11:12], v[4:5]
	s_waitcnt lgkmcnt(0)
	v_add_f64 v[8:9], v[2:3], v[23:24]
	v_add_f64 v[11:12], v[4:5], v[25:26]
	ds_read_b128 v[2:5], v45 offset:96
	ds_read_b128 v[23:26], v45 offset:112
	s_waitcnt lgkmcnt(1)
	v_add_f64 v[2:3], v[8:9], v[2:3]
	v_add_f64 v[4:5], v[11:12], v[4:5]
	s_waitcnt lgkmcnt(0)
	v_add_f64 v[2:3], v[2:3], v[23:24]
	v_add_f64 v[4:5], v[4:5], v[25:26]
.LBB20_60:
	s_or_b64 exec, exec, s[14:15]
	s_lshl_b64 s[14:15], s[20:21], 9
	v_mov_b32_e32 v8, s15
	v_add_co_u32_e32 v23, vcc, s14, v6
	v_addc_co_u32_e32 v24, vcc, v7, v8, vcc
	v_add_co_u32_e32 v6, vcc, 0x200, v23
	v_addc_co_u32_e32 v7, vcc, 0, v24, vcc
	v_mad_u32_u24 v17, v13, s25, v14
	s_and_b64 vcc, exec, s[22:23]
	s_barrier
	s_cbranch_vccz .LBB20_82
; %bb.61:
	v_sub_co_u32_e32 v9, vcc, v23, v15
	s_ashr_i32 s25, s24, 31
	v_subbrev_co_u32_e32 v11, vcc, 0, v24, vcc
	s_lshl_b64 s[30:31], s[24:25], 4
	v_mov_b32_e32 v12, s31
	v_add_co_u32_e32 v9, vcc, s30, v9
	v_addc_co_u32_e32 v11, vcc, v11, v12, vcc
	v_or_b32_e32 v8, 32, v10
	v_add_co_u32_e32 v12, vcc, -16, v9
	v_addc_co_u32_e32 v9, vcc, -1, v11, vcc
	v_cmp_gt_i32_e64 s[14:15], s24, v8
	s_sub_i32 s25, s24, 32
	v_cndmask_b32_e64 v9, v9, v7, s[14:15]
	v_cndmask_b32_e64 v8, v12, v6, s[14:15]
	v_cmp_le_i32_e32 vcc, s25, v13
	s_and_saveexec_b64 s[34:35], vcc
	s_xor_b64 s[34:35], exec, s[34:35]
; %bb.62:
	v_mov_b32_e32 v25, 0
	v_mov_b32_e32 v26, v25
	;; [unrolled: 1-line block ×4, first 2 shown]
	ds_write_b128 v17, v[25:28]
; %bb.63:
	s_andn2_saveexec_b64 s[34:35], s[34:35]
	s_cbranch_execz .LBB20_65
; %bb.64:
	global_load_dwordx4 v[25:28], v[8:9], off
	s_waitcnt vmcnt(0)
	ds_write2_b64 v17, v[25:26], v[27:28] offset1:1
.LBB20_65:
	s_or_b64 exec, exec, s[34:35]
	v_add_u32_e32 v11, 8, v13
	v_cmp_le_i32_e32 vcc, s25, v11
	s_and_saveexec_b64 s[34:35], vcc
	s_xor_b64 s[34:35], exec, s[34:35]
	s_cbranch_execz .LBB20_67
; %bb.66:
	s_movk_i32 s39, 0x210
	v_mov_b32_e32 v25, 0
	v_mad_u32_u24 v11, v11, s39, v14
	v_mov_b32_e32 v26, v25
	v_mov_b32_e32 v27, v25
	;; [unrolled: 1-line block ×3, first 2 shown]
	ds_write_b128 v11, v[25:28]
                                        ; implicit-def: $vgpr11
.LBB20_67:
	s_andn2_saveexec_b64 s[34:35], s[34:35]
	s_cbranch_execz .LBB20_69
; %bb.68:
	s_lshl_b64 s[40:41], s[20:21], 7
	v_mov_b32_e32 v12, s41
	v_add_co_u32_e32 v25, vcc, s40, v8
	v_addc_co_u32_e32 v26, vcc, v9, v12, vcc
	global_load_dwordx4 v[25:28], v[25:26], off
	s_movk_i32 s39, 0x210
	v_mad_u32_u24 v11, v11, s39, v14
	s_waitcnt vmcnt(0)
	ds_write2_b64 v11, v[25:26], v[27:28] offset1:1
.LBB20_69:
	s_or_b64 exec, exec, s[34:35]
	v_add_u32_e32 v11, 16, v13
	v_cmp_le_i32_e32 vcc, s25, v11
	s_and_saveexec_b64 s[34:35], vcc
	s_xor_b64 s[34:35], exec, s[34:35]
	s_cbranch_execz .LBB20_71
; %bb.70:
	s_movk_i32 s39, 0x210
	v_mov_b32_e32 v25, 0
	v_mad_u32_u24 v11, v11, s39, v14
	v_mov_b32_e32 v26, v25
	v_mov_b32_e32 v27, v25
	;; [unrolled: 1-line block ×3, first 2 shown]
	ds_write_b128 v11, v[25:28]
                                        ; implicit-def: $vgpr11
.LBB20_71:
	s_andn2_saveexec_b64 s[34:35], s[34:35]
	s_cbranch_execz .LBB20_73
; %bb.72:
	s_lshl_b64 s[40:41], s[20:21], 8
	v_mov_b32_e32 v12, s41
	v_add_co_u32_e32 v25, vcc, s40, v8
	v_addc_co_u32_e32 v26, vcc, v9, v12, vcc
	global_load_dwordx4 v[25:28], v[25:26], off
	s_movk_i32 s39, 0x210
	v_mad_u32_u24 v11, v11, s39, v14
	s_waitcnt vmcnt(0)
	ds_write2_b64 v11, v[25:26], v[27:28] offset1:1
.LBB20_73:
	s_or_b64 exec, exec, s[34:35]
	v_add_u32_e32 v11, 24, v13
	v_cmp_le_i32_e32 vcc, s25, v11
	s_and_saveexec_b64 s[34:35], vcc
	s_xor_b64 s[34:35], exec, s[34:35]
	s_cbranch_execz .LBB20_75
; %bb.74:
	s_movk_i32 s25, 0x210
	v_mov_b32_e32 v25, 0
	v_mad_u32_u24 v11, v11, s25, v14
	v_mov_b32_e32 v26, v25
	v_mov_b32_e32 v27, v25
	;; [unrolled: 1-line block ×3, first 2 shown]
	ds_write_b128 v11, v[25:28]
                                        ; implicit-def: $vgpr11
.LBB20_75:
	s_andn2_saveexec_b64 s[34:35], s[34:35]
	s_cbranch_execz .LBB20_77
; %bb.76:
	v_mov_b32_e32 v12, 0x180
	v_mad_u64_u32 v[25:26], s[40:41], s20, v12, v[8:9]
	s_mul_i32 s25, s21, 0x180
	v_add_u32_e32 v26, s25, v26
	global_load_dwordx4 v[25:28], v[25:26], off
	s_movk_i32 s25, 0x210
	v_mad_u32_u24 v11, v11, s25, v14
	s_waitcnt vmcnt(0)
	ds_write2_b64 v11, v[25:26], v[27:28] offset1:1
.LBB20_77:
	s_or_b64 exec, exec, s[34:35]
	v_add_co_u32_e32 v8, vcc, v8, v15
	v_addc_co_u32_e32 v9, vcc, 0, v9, vcc
	v_mov_b32_e32 v11, s31
	v_subrev_co_u32_e32 v8, vcc, s30, v8
	v_subb_co_u32_e32 v9, vcc, v9, v11, vcc
	v_add_co_u32_e32 v8, vcc, 0x210, v8
	v_addc_co_u32_e32 v9, vcc, 0, v9, vcc
	v_cndmask_b32_e64 v12, v9, v7, s[14:15]
	v_cndmask_b32_e64 v11, v8, v6, s[14:15]
	s_branch .LBB20_84
.LBB20_78:
	s_movk_i32 s12, 0x210
	v_mad_u32_u24 v2, v19, s12, v14
	ds_read_b128 v[2:5], v2
	s_mov_b64 s[2:3], exec
	v_add_u32_e32 v9, 16, v8
	s_waitcnt lgkmcnt(0)
	v_xor_b32_e32 v5, 0x80000000, v5
	ds_write_b64 v8, v[2:3] offset:16
	s_andn2_saveexec_b64 s[10:11], s[10:11]
	s_cbranch_execz .LBB20_40
.LBB20_79:
	v_cmp_eq_u32_e32 vcc, v19, v10
	s_mov_b64 s[12:13], s[2:3]
                                        ; implicit-def: $vgpr9
	s_and_saveexec_b64 s[14:15], vcc
; %bb.80:
	v_add_u32_e32 v9, v14, v16
	s_or_b64 s[12:13], s[2:3], exec
; %bb.81:
	s_or_b64 exec, exec, s[14:15]
	v_mov_b32_e32 v4, 0
	s_andn2_b64 s[2:3], s[2:3], exec
	s_and_b64 s[12:13], s[12:13], exec
	v_mov_b32_e32 v5, 0
	s_or_b64 s[2:3], s[2:3], s[12:13]
	s_or_b64 exec, exec, s[10:11]
	s_and_saveexec_b64 s[10:11], s[2:3]
	s_cbranch_execnz .LBB20_41
	s_branch .LBB20_42
.LBB20_82:
                                        ; implicit-def: $vgpr11_vgpr12
	s_cbranch_execz .LBB20_84
; %bb.83:
	s_lshl_b64 s[14:15], s[20:21], 7
	v_mov_b32_e32 v12, s15
	v_add_co_u32_e32 v8, vcc, s14, v23
	v_addc_co_u32_e32 v9, vcc, v24, v12, vcc
	global_load_dwordx4 v[23:26], v[6:7], off
	global_load_dwordx4 v[27:30], v[8:9], off offset:512
	v_add_co_u32_e32 v8, vcc, s14, v8
	v_addc_co_u32_e32 v9, vcc, v9, v12, vcc
	v_add_co_u32_e32 v11, vcc, s14, v8
	v_addc_co_u32_e32 v12, vcc, v9, v12, vcc
	global_load_dwordx4 v[31:34], v[8:9], off offset:512
	global_load_dwordx4 v[47:50], v[11:12], off offset:512
	v_add_u32_e32 v11, 0x3180, v17
	v_add_u32_e32 v8, 0x1080, v17
	;; [unrolled: 1-line block ×3, first 2 shown]
	s_waitcnt vmcnt(3)
	ds_write2_b64 v17, v[23:24], v[25:26] offset1:1
	s_waitcnt vmcnt(2)
	ds_write2_b64 v8, v[27:28], v[29:30] offset1:1
	;; [unrolled: 2-line block ×4, first 2 shown]
	v_mov_b32_e32 v12, v7
	v_mov_b32_e32 v11, v6
.LBB20_84:
	v_mul_u32_u24_e32 v7, 0x840, v13
	s_mov_b64 s[14:15], 0
	s_waitcnt lgkmcnt(0)
	s_barrier
                                        ; implicit-def: $vgpr6
	s_and_saveexec_b64 s[30:31], s[16:17]
	s_xor_b64 s[16:17], exec, s[30:31]
	s_cbranch_execz .LBB20_88
; %bb.85:
	v_cmp_eq_u32_e32 vcc, v18, v10
                                        ; implicit-def: $vgpr6
	s_and_saveexec_b64 s[30:31], vcc
	s_xor_b64 s[30:31], exec, s[30:31]
; %bb.86:
	s_mov_b64 s[14:15], exec
	v_add_u32_e32 v6, v14, v16
; %bb.87:
	s_or_b64 exec, exec, s[30:31]
	s_and_b64 s[14:15], s[14:15], exec
.LBB20_88:
	s_or_saveexec_b64 s[16:17], s[16:17]
	v_mov_b32_e32 v8, 0
	v_mov_b32_e32 v9, 0
	v_add_u32_e32 v34, v14, v7
	v_lshl_add_u32 v18, v18, 4, v45
	s_xor_b64 exec, exec, s[16:17]
	s_cbranch_execz .LBB20_90
; %bb.89:
	ds_read_b128 v[6:9], v34
	s_or_b64 s[14:15], s[14:15], exec
	s_waitcnt lgkmcnt(0)
	v_xor_b32_e32 v9, 0x80000000, v9
	ds_write_b64 v18, v[6:7]
	v_mov_b32_e32 v6, v18
.LBB20_90:
	s_or_b64 exec, exec, s[16:17]
	v_mul_u32_u24_e32 v7, 0x210, v19
	s_and_saveexec_b64 s[16:17], s[14:15]
; %bb.91:
	ds_write_b64 v6, v[8:9] offset:8
; %bb.92:
	s_or_b64 exec, exec, s[16:17]
	s_mov_b64 s[14:15], 0
	v_add_u32_e32 v47, v14, v7
                                        ; implicit-def: $vgpr8_vgpr9
                                        ; implicit-def: $vgpr23
	s_and_saveexec_b64 s[16:17], s[8:9]
	s_xor_b64 s[8:9], exec, s[16:17]
	s_cbranch_execnz .LBB20_132
; %bb.93:
	s_andn2_saveexec_b64 s[8:9], s[8:9]
	s_cbranch_execnz .LBB20_133
.LBB20_94:
	s_or_b64 exec, exec, s[8:9]
	s_and_saveexec_b64 s[8:9], s[14:15]
.LBB20_95:
	ds_write_b64 v23, v[8:9] offset:8
.LBB20_96:
	s_or_b64 exec, exec, s[8:9]
	s_mov_b64 s[8:9], 0
                                        ; implicit-def: $vgpr19
	s_and_saveexec_b64 s[14:15], s[10:11]
	s_xor_b64 s[10:11], exec, s[14:15]
	s_cbranch_execz .LBB20_100
; %bb.97:
	v_cmp_eq_u32_e32 vcc, v20, v10
                                        ; implicit-def: $vgpr19
	s_and_saveexec_b64 s[14:15], vcc
; %bb.98:
	s_mov_b64 s[8:9], exec
	v_add_u32_e32 v19, v14, v16
; %bb.99:
	s_or_b64 exec, exec, s[14:15]
	s_and_b64 s[8:9], s[8:9], exec
.LBB20_100:
	s_or_saveexec_b64 s[10:11], s[10:11]
	v_mov_b32_e32 v8, 0
	v_mov_b32_e32 v9, 0
	s_xor_b64 exec, exec, s[10:11]
	s_cbranch_execz .LBB20_102
; %bb.101:
	ds_read_b128 v[6:9], v47 offset:528
	v_add_u32_e32 v19, 32, v18
	s_or_b64 s[8:9], s[8:9], exec
	s_waitcnt lgkmcnt(0)
	v_xor_b32_e32 v9, 0x80000000, v9
	ds_write_b64 v18, v[6:7] offset:32
.LBB20_102:
	s_or_b64 exec, exec, s[10:11]
	s_and_saveexec_b64 s[10:11], s[8:9]
; %bb.103:
	ds_write_b64 v19, v[8:9] offset:8
; %bb.104:
	s_or_b64 exec, exec, s[10:11]
	s_mov_b64 s[8:9], 0
                                        ; implicit-def: $vgpr19
	s_and_saveexec_b64 s[10:11], s[12:13]
	s_xor_b64 s[10:11], exec, s[10:11]
	s_cbranch_execz .LBB20_108
; %bb.105:
	v_cmp_eq_u32_e32 vcc, v21, v10
                                        ; implicit-def: $vgpr19
	s_and_saveexec_b64 s[12:13], vcc
; %bb.106:
	s_mov_b64 s[8:9], exec
	v_add_u32_e32 v19, v14, v16
; %bb.107:
	s_or_b64 exec, exec, s[12:13]
	s_and_b64 s[8:9], s[8:9], exec
                                        ; implicit-def: $vgpr18
.LBB20_108:
	s_or_saveexec_b64 s[10:11], s[10:11]
	v_mov_b32_e32 v8, 0
	v_mov_b32_e32 v9, 0
	s_xor_b64 exec, exec, s[10:11]
	s_cbranch_execz .LBB20_110
; %bb.109:
	ds_read_b128 v[6:9], v47 offset:1056
	v_add_u32_e32 v19, 48, v18
	s_or_b64 s[8:9], s[8:9], exec
	s_waitcnt lgkmcnt(0)
	v_xor_b32_e32 v9, 0x80000000, v9
	ds_write_b64 v18, v[6:7] offset:48
.LBB20_110:
	s_or_b64 exec, exec, s[10:11]
	v_add_u32_e32 v16, 0x4700, v22
	s_and_saveexec_b64 s[10:11], s[8:9]
; %bb.111:
	ds_write_b64 v19, v[8:9] offset:8
; %bb.112:
	s_or_b64 exec, exec, s[10:11]
	s_waitcnt lgkmcnt(0)
	s_barrier
	ds_read_b128 v[6:9], v34
	ds_read_b128 v[18:21], v16 offset:512
	ds_read_b128 v[22:25], v16 offset:528
	;; [unrolled: 1-line block ×3, first 2 shown]
	ds_read_b128 v[30:33], v47
	ds_read_b128 v[48:51], v16 offset:544
	ds_read_b128 v[52:55], v47 offset:528
	v_cmp_eq_u32_e64 s[8:9], 1, v13
	s_waitcnt lgkmcnt(5)
	v_mul_f64 v[35:36], v[20:21], v[8:9]
	v_mul_f64 v[8:9], v[18:19], v[8:9]
	s_waitcnt lgkmcnt(2)
	v_mul_f64 v[42:43], v[24:25], v[32:33]
	v_mul_f64 v[32:33], v[22:23], v[32:33]
	v_fma_f64 v[18:19], v[18:19], v[6:7], -v[35:36]
	v_fma_f64 v[20:21], v[20:21], v[6:7], v[8:9]
	s_waitcnt lgkmcnt(0)
	v_mul_f64 v[35:36], v[50:51], v[54:55]
	v_mul_f64 v[54:55], v[48:49], v[54:55]
	v_fma_f64 v[22:23], v[22:23], v[30:31], -v[42:43]
	v_fma_f64 v[24:25], v[24:25], v[30:31], v[32:33]
	ds_read_b128 v[6:9], v16 offset:560
	s_waitcnt lgkmcnt(0)
	v_add_f64 v[18:19], v[18:19], 0
	v_add_f64 v[20:21], v[20:21], 0
	v_fma_f64 v[32:33], v[48:49], v[52:53], -v[35:36]
	v_mul_f64 v[30:31], v[8:9], v[28:29]
	v_mul_f64 v[28:29], v[6:7], v[28:29]
	v_fma_f64 v[35:36], v[50:51], v[52:53], v[54:55]
	s_barrier
	v_add_f64 v[18:19], v[18:19], v[22:23]
	v_add_f64 v[20:21], v[20:21], v[24:25]
	v_fma_f64 v[6:7], v[6:7], v[26:27], -v[30:31]
	v_fma_f64 v[8:9], v[8:9], v[26:27], v[28:29]
	v_add_f64 v[18:19], v[18:19], v[32:33]
	v_add_f64 v[20:21], v[20:21], v[35:36]
	;; [unrolled: 1-line block ×4, first 2 shown]
	ds_write_b128 v46, v[6:9]
	s_waitcnt lgkmcnt(0)
	s_barrier
	s_and_saveexec_b64 s[10:11], s[8:9]
	s_cbranch_execz .LBB20_114
; %bb.113:
	ds_read_b128 v[2:5], v45
	ds_read_b128 v[6:9], v45 offset:16
	s_waitcnt lgkmcnt(0)
	v_add_f64 v[18:19], v[6:7], v[2:3]
	v_add_f64 v[20:21], v[8:9], v[4:5]
	ds_read_b128 v[2:5], v45 offset:32
	ds_read_b128 v[6:9], v45 offset:48
	s_waitcnt lgkmcnt(1)
	v_add_f64 v[2:3], v[18:19], v[2:3]
	v_add_f64 v[4:5], v[20:21], v[4:5]
	s_waitcnt lgkmcnt(0)
	v_add_f64 v[18:19], v[2:3], v[6:7]
	v_add_f64 v[20:21], v[4:5], v[8:9]
	ds_read_b128 v[2:5], v45 offset:64
	ds_read_b128 v[6:9], v45 offset:80
	s_waitcnt lgkmcnt(1)
	v_add_f64 v[2:3], v[18:19], v[2:3]
	v_add_f64 v[4:5], v[20:21], v[4:5]
	;; [unrolled: 8-line block ×3, first 2 shown]
	s_waitcnt lgkmcnt(0)
	v_add_f64 v[2:3], v[2:3], v[6:7]
	v_add_f64 v[4:5], v[4:5], v[8:9]
.LBB20_114:
	s_or_b64 exec, exec, s[10:11]
	v_add_co_u32_e32 v6, vcc, 0xfffffe00, v11
	v_addc_co_u32_e32 v7, vcc, -1, v12, vcc
	s_and_b64 vcc, exec, s[22:23]
	s_barrier
	s_cbranch_vccz .LBB20_136
; %bb.115:
	v_sub_co_u32_e32 v8, vcc, v11, v15
	s_ashr_i32 s25, s24, 31
	v_subbrev_co_u32_e32 v9, vcc, 0, v12, vcc
	s_lshl_b64 s[12:13], s[24:25], 4
	v_mov_b32_e32 v18, s13
	v_add_co_u32_e32 v8, vcc, s12, v8
	v_addc_co_u32_e32 v9, vcc, v9, v18, vcc
	v_add_co_u32_e32 v8, vcc, 0xfffffdf0, v8
	v_addc_co_u32_e32 v9, vcc, -1, v9, vcc
	v_cmp_gt_i32_e32 vcc, s24, v10
	s_sub_i32 s16, s24, 32
	v_cndmask_b32_e32 v9, v9, v7, vcc
	v_cndmask_b32_e32 v8, v8, v6, vcc
	v_cmp_le_i32_e64 s[10:11], s16, v13
	s_and_saveexec_b64 s[14:15], s[10:11]
	s_xor_b64 s[10:11], exec, s[14:15]
; %bb.116:
	v_mov_b32_e32 v18, 0
	v_mov_b32_e32 v19, v18
	;; [unrolled: 1-line block ×4, first 2 shown]
	ds_write_b128 v17, v[18:21]
; %bb.117:
	s_andn2_saveexec_b64 s[10:11], s[10:11]
	s_cbranch_execz .LBB20_119
; %bb.118:
	global_load_dwordx4 v[18:21], v[8:9], off
	s_waitcnt vmcnt(0)
	ds_write2_b64 v17, v[18:19], v[20:21] offset1:1
.LBB20_119:
	s_or_b64 exec, exec, s[10:11]
	v_add_u32_e32 v10, 8, v13
	v_cmp_le_i32_e64 s[10:11], s16, v10
	s_and_saveexec_b64 s[14:15], s[10:11]
	s_xor_b64 s[10:11], exec, s[14:15]
	s_cbranch_execz .LBB20_121
; %bb.120:
	s_movk_i32 s14, 0x210
	v_mov_b32_e32 v18, 0
	v_mad_u32_u24 v22, v10, s14, v14
	v_mov_b32_e32 v19, v18
	v_mov_b32_e32 v20, v18
	;; [unrolled: 1-line block ×3, first 2 shown]
	ds_write_b128 v22, v[18:21]
.LBB20_121:
	s_andn2_saveexec_b64 s[14:15], s[10:11]
	s_cbranch_execz .LBB20_123
; %bb.122:
	s_lshl_b64 s[10:11], s[20:21], 7
	v_mov_b32_e32 v19, s11
	v_add_co_u32_e64 v18, s[10:11], s10, v8
	v_addc_co_u32_e64 v19, s[10:11], v9, v19, s[10:11]
	global_load_dwordx4 v[18:21], v[18:19], off
	s_movk_i32 s10, 0x210
	v_mad_u32_u24 v22, v10, s10, v14
	s_waitcnt vmcnt(0)
	ds_write2_b64 v22, v[18:19], v[20:21] offset1:1
.LBB20_123:
	s_or_b64 exec, exec, s[14:15]
	v_add_u32_e32 v19, 16, v13
	v_cmp_le_i32_e64 s[10:11], s16, v19
	s_and_saveexec_b64 s[14:15], s[10:11]
	s_xor_b64 s[10:11], exec, s[14:15]
	s_cbranch_execz .LBB20_125
; %bb.124:
	s_movk_i32 s14, 0x210
	v_mov_b32_e32 v20, 0
	v_mad_u32_u24 v18, v19, s14, v14
	v_mov_b32_e32 v21, v20
	v_mov_b32_e32 v22, v20
	;; [unrolled: 1-line block ×3, first 2 shown]
	ds_write_b128 v18, v[20:23]
.LBB20_125:
	s_andn2_saveexec_b64 s[14:15], s[10:11]
	s_cbranch_execz .LBB20_127
; %bb.126:
	s_lshl_b64 s[10:11], s[20:21], 8
	v_mov_b32_e32 v18, s11
	v_add_co_u32_e64 v20, s[10:11], s10, v8
	v_addc_co_u32_e64 v21, s[10:11], v9, v18, s[10:11]
	global_load_dwordx4 v[20:23], v[20:21], off
	s_movk_i32 s10, 0x210
	v_mad_u32_u24 v18, v19, s10, v14
	s_waitcnt vmcnt(0)
	ds_write2_b64 v18, v[20:21], v[22:23] offset1:1
.LBB20_127:
	s_or_b64 exec, exec, s[14:15]
	v_add_u32_e32 v18, 24, v13
	v_cmp_le_i32_e64 s[10:11], s16, v18
	s_and_saveexec_b64 s[14:15], s[10:11]
	s_xor_b64 s[10:11], exec, s[14:15]
	s_cbranch_execz .LBB20_129
; %bb.128:
	s_movk_i32 s14, 0x210
	v_mov_b32_e32 v20, 0
	v_mad_u32_u24 v24, v18, s14, v14
	v_mov_b32_e32 v21, v20
	v_mov_b32_e32 v22, v20
	;; [unrolled: 1-line block ×3, first 2 shown]
	ds_write_b128 v24, v[20:23]
.LBB20_129:
	s_andn2_saveexec_b64 s[10:11], s[10:11]
	s_cbranch_execz .LBB20_131
; %bb.130:
	v_mov_b32_e32 v20, 0x180
	v_mad_u64_u32 v[20:21], s[14:15], s20, v20, v[8:9]
	s_mul_i32 s14, s21, 0x180
	v_add_u32_e32 v21, s14, v21
	global_load_dwordx4 v[20:23], v[20:21], off
	s_movk_i32 s14, 0x210
	v_mad_u32_u24 v24, v18, s14, v14
	s_waitcnt vmcnt(0)
	ds_write2_b64 v24, v[20:21], v[22:23] offset1:1
.LBB20_131:
	s_or_b64 exec, exec, s[10:11]
	v_add_co_u32_e64 v8, s[10:11], v8, v15
	v_addc_co_u32_e64 v9, s[10:11], 0, v9, s[10:11]
	v_mov_b32_e32 v15, s13
	v_subrev_co_u32_e64 v8, s[10:11], s12, v8
	v_subb_co_u32_e64 v9, s[10:11], v9, v15, s[10:11]
	v_add_co_u32_e64 v8, s[10:11], 16, v8
	v_addc_co_u32_e64 v9, s[10:11], 0, v9, s[10:11]
	v_cndmask_b32_e32 v43, v9, v7, vcc
	v_cndmask_b32_e32 v42, v8, v6, vcc
	s_branch .LBB20_138
.LBB20_132:
	ds_read_b128 v[6:9], v47
	s_mov_b64 s[14:15], exec
	v_add_u32_e32 v23, 16, v18
                                        ; implicit-def: $vgpr19
	s_waitcnt lgkmcnt(0)
	v_xor_b32_e32 v9, 0x80000000, v9
	ds_write_b64 v18, v[6:7] offset:16
	s_andn2_saveexec_b64 s[8:9], s[8:9]
	s_cbranch_execz .LBB20_94
.LBB20_133:
	v_cmp_eq_u32_e32 vcc, v19, v10
	s_mov_b64 s[16:17], s[14:15]
                                        ; implicit-def: $vgpr23
	s_and_saveexec_b64 s[30:31], vcc
; %bb.134:
	v_add_u32_e32 v23, v14, v16
	s_or_b64 s[16:17], s[14:15], exec
; %bb.135:
	s_or_b64 exec, exec, s[30:31]
	v_mov_b32_e32 v8, 0
	s_andn2_b64 s[14:15], s[14:15], exec
	s_and_b64 s[16:17], s[16:17], exec
	v_mov_b32_e32 v9, 0
	s_or_b64 s[14:15], s[14:15], s[16:17]
	s_or_b64 exec, exec, s[8:9]
	s_and_saveexec_b64 s[8:9], s[14:15]
	s_cbranch_execnz .LBB20_95
	s_branch .LBB20_96
.LBB20_136:
                                        ; implicit-def: $vgpr42_vgpr43
                                        ; implicit-def: $vgpr10
                                        ; implicit-def: $vgpr19
                                        ; implicit-def: $vgpr18
	s_cbranch_execz .LBB20_138
; %bb.137:
	s_lshl_b64 s[10:11], s[20:21], 7
	v_mov_b32_e32 v15, s11
	v_add_co_u32_e32 v8, vcc, s10, v11
	v_addc_co_u32_e32 v9, vcc, v12, v15, vcc
	global_load_dwordx4 v[20:23], v[6:7], off
	global_load_dwordx4 v[24:27], v[8:9], off offset:-512
	v_add_co_u32_e32 v8, vcc, s10, v8
	v_addc_co_u32_e32 v9, vcc, v9, v15, vcc
	v_add_co_u32_e32 v10, vcc, s10, v8
	v_addc_co_u32_e32 v11, vcc, v9, v15, vcc
	global_load_dwordx4 v[28:31], v[8:9], off offset:-512
	global_load_dwordx4 v[48:51], v[10:11], off offset:-512
	v_add_u32_e32 v10, 8, v13
	s_movk_i32 s10, 0x210
	v_mov_b32_e32 v43, v7
	v_add_u32_e32 v19, 16, v13
	v_add_u32_e32 v18, 24, v13
	v_mad_u32_u24 v8, v10, s10, v14
	v_mov_b32_e32 v42, v6
	v_add_u32_e32 v9, 0x1080, v8
	v_add_u32_e32 v11, 0x2100, v8
	s_waitcnt vmcnt(3)
	ds_write2_b64 v17, v[20:21], v[22:23] offset1:1
	s_waitcnt vmcnt(2)
	ds_write2_b64 v8, v[24:25], v[26:27] offset1:1
	s_waitcnt vmcnt(1)
	ds_write2_b64 v9, v[28:29], v[30:31] offset1:1
	s_waitcnt vmcnt(0)
	ds_write2_b64 v11, v[48:49], v[50:51] offset1:1
.LBB20_138:
	v_lshlrev_b32_e32 v11, 4, v13
	v_add_u32_e32 v6, v45, v11
	s_waitcnt lgkmcnt(0)
	s_barrier
	ds_read_b128 v[6:9], v6
	ds_read_b128 v[11:14], v11 offset:18176
	v_lshlrev_b32_e32 v10, 4, v10
	v_add_u32_e32 v15, v45, v10
	ds_read_b128 v[20:23], v15
	ds_read_b128 v[24:27], v10 offset:18176
	v_lshlrev_b32_e32 v10, 4, v19
	s_waitcnt lgkmcnt(2)
	v_mul_f64 v[32:33], v[8:9], v[13:14]
	v_mul_f64 v[8:9], v[8:9], v[11:12]
	v_add_u32_e32 v15, v45, v10
	s_waitcnt lgkmcnt(0)
	v_mul_f64 v[35:36], v[22:23], v[26:27]
	ds_read_b128 v[28:31], v15
	ds_read_b128 v[48:51], v10 offset:18176
	v_mul_f64 v[22:23], v[22:23], v[24:25]
	v_fma_f64 v[10:11], v[6:7], v[11:12], v[32:33]
	v_fma_f64 v[14:15], v[6:7], v[13:14], -v[8:9]
	s_waitcnt lgkmcnt(0)
	v_mul_f64 v[32:33], v[30:31], v[50:51]
	v_fma_f64 v[24:25], v[20:21], v[24:25], v[35:36]
	v_mul_f64 v[30:31], v[30:31], v[48:49]
	v_add_f64 v[35:36], v[10:11], 0
	v_lshlrev_b32_e32 v10, 4, v18
	v_fma_f64 v[17:18], v[20:21], v[26:27], -v[22:23]
	v_add_f64 v[14:15], v[14:15], 0
	v_add_u32_e32 v6, v45, v10
	ds_read_b128 v[6:9], v6
	ds_read_b128 v[10:13], v10 offset:18176
	v_fma_f64 v[21:22], v[28:29], v[48:49], v[32:33]
	v_add_f64 v[19:20], v[35:36], v[24:25]
	v_fma_f64 v[25:26], v[28:29], v[50:51], -v[30:31]
	s_waitcnt lgkmcnt(0)
	v_mul_f64 v[23:24], v[8:9], v[12:13]
	v_mul_f64 v[8:9], v[8:9], v[10:11]
	v_add_f64 v[14:15], v[14:15], v[17:18]
	v_add_f64 v[19:20], v[19:20], v[21:22]
	v_fma_f64 v[17:18], v[6:7], v[10:11], v[23:24]
	v_fma_f64 v[27:28], v[6:7], v[12:13], -v[8:9]
	v_add_f64 v[14:15], v[14:15], v[25:26]
	ds_read_b128 v[30:33], v16 offset:512
	ds_read_b128 v[22:25], v16 offset:528
	;; [unrolled: 1-line block ×4, first 2 shown]
	v_add_f64 v[48:49], v[19:20], v[17:18]
	v_add_f64 v[50:51], v[14:15], v[27:28]
	ds_read_b128 v[26:29], v47
	ds_read_b128 v[18:21], v47 offset:528
	ds_read_b128 v[34:37], v34
	ds_read_b128 v[14:17], v47 offset:1056
	s_waitcnt lgkmcnt(0)
	s_barrier
	ds_write_b128 v46, v[48:51]
	s_waitcnt lgkmcnt(0)
	s_barrier
	s_and_saveexec_b64 s[10:11], s[8:9]
	s_cbranch_execz .LBB20_140
; %bb.139:
	ds_read_b128 v[47:50], v45
	ds_read_b128 v[51:54], v45 offset:16
	s_waitcnt lgkmcnt(1)
	v_add_f64 v[2:3], v[2:3], v[47:48]
	v_add_f64 v[4:5], v[4:5], v[49:50]
	s_waitcnt lgkmcnt(0)
	v_add_f64 v[51:52], v[2:3], v[51:52]
	v_add_f64 v[53:54], v[4:5], v[53:54]
	ds_read_b128 v[2:5], v45 offset:32
	ds_read_b128 v[47:50], v45 offset:48
	s_waitcnt lgkmcnt(1)
	v_add_f64 v[2:3], v[51:52], v[2:3]
	v_add_f64 v[4:5], v[53:54], v[4:5]
	s_waitcnt lgkmcnt(0)
	v_add_f64 v[51:52], v[2:3], v[47:48]
	v_add_f64 v[53:54], v[4:5], v[49:50]
	ds_read_b128 v[2:5], v45 offset:64
	;; [unrolled: 8-line block ×3, first 2 shown]
	ds_read_b128 v[47:50], v45 offset:112
	s_waitcnt lgkmcnt(1)
	v_add_f64 v[2:3], v[51:52], v[2:3]
	v_add_f64 v[4:5], v[53:54], v[4:5]
	s_waitcnt lgkmcnt(0)
	v_add_f64 v[2:3], v[2:3], v[47:48]
	v_add_f64 v[4:5], v[4:5], v[49:50]
.LBB20_140:
	s_or_b64 exec, exec, s[10:11]
	v_mul_f64 v[47:48], v[32:33], v[36:37]
	v_mul_f64 v[36:37], v[30:31], v[36:37]
	;; [unrolled: 1-line block ×4, first 2 shown]
	s_barrier
	v_fma_f64 v[30:31], v[30:31], v[34:35], -v[47:48]
	v_fma_f64 v[32:33], v[32:33], v[34:35], v[36:37]
	v_mul_f64 v[34:35], v[12:13], v[20:21]
	v_mul_f64 v[20:21], v[10:11], v[20:21]
	v_fma_f64 v[22:23], v[22:23], v[26:27], -v[49:50]
	v_fma_f64 v[24:25], v[24:25], v[26:27], v[28:29]
	v_add_f64 v[26:27], v[30:31], 0
	v_add_f64 v[28:29], v[32:33], 0
	v_mul_f64 v[30:31], v[8:9], v[16:17]
	v_mul_f64 v[16:17], v[6:7], v[16:17]
	v_fma_f64 v[10:11], v[10:11], v[18:19], -v[34:35]
	v_fma_f64 v[12:13], v[12:13], v[18:19], v[20:21]
	v_add_f64 v[18:19], v[26:27], v[22:23]
	v_add_f64 v[20:21], v[28:29], v[24:25]
	v_fma_f64 v[6:7], v[6:7], v[14:15], -v[30:31]
	v_fma_f64 v[8:9], v[8:9], v[14:15], v[16:17]
	v_add_f64 v[10:11], v[18:19], v[10:11]
	v_add_f64 v[12:13], v[20:21], v[12:13]
	;; [unrolled: 1-line block ×4, first 2 shown]
	ds_write_b128 v46, v[6:9]
	s_waitcnt lgkmcnt(0)
	s_barrier
	s_and_saveexec_b64 s[8:9], s[2:3]
	s_cbranch_execz .LBB20_142
; %bb.141:
	ds_read_b128 v[6:9], v45
	ds_read_b128 v[10:13], v45 offset:16
	s_waitcnt lgkmcnt(1)
	v_add_f64 v[2:3], v[2:3], v[6:7]
	v_add_f64 v[4:5], v[4:5], v[8:9]
	s_waitcnt lgkmcnt(0)
	v_add_f64 v[10:11], v[2:3], v[10:11]
	v_add_f64 v[12:13], v[4:5], v[12:13]
	ds_read_b128 v[2:5], v45 offset:32
	ds_read_b128 v[6:9], v45 offset:48
	s_waitcnt lgkmcnt(1)
	v_add_f64 v[2:3], v[10:11], v[2:3]
	v_add_f64 v[4:5], v[12:13], v[4:5]
	s_waitcnt lgkmcnt(0)
	v_add_f64 v[10:11], v[2:3], v[6:7]
	v_add_f64 v[12:13], v[4:5], v[8:9]
	ds_read_b128 v[2:5], v45 offset:64
	;; [unrolled: 8-line block ×3, first 2 shown]
	ds_read_b128 v[6:9], v45 offset:112
	s_waitcnt lgkmcnt(1)
	v_add_f64 v[2:3], v[10:11], v[2:3]
	v_add_f64 v[4:5], v[12:13], v[4:5]
	s_waitcnt lgkmcnt(0)
	v_add_f64 v[2:3], v[2:3], v[6:7]
	v_add_f64 v[4:5], v[4:5], v[8:9]
.LBB20_142:
	s_or_b64 exec, exec, s[8:9]
	s_load_dwordx2 s[2:3], s[4:5], 0x78
	s_mul_hi_u32 s4, s37, s7
	s_mul_i32 s38, s38, s7
	s_add_i32 s4, s4, s38
	s_mul_i32 s7, s37, s7
	s_mul_i32 s4, s4, s33
	s_mul_hi_u32 s5, s7, s33
	s_add_i32 s5, s5, s4
	s_mul_i32 s4, s7, s33
	s_lshl_b64 s[4:5], s[4:5], 4
	s_waitcnt lgkmcnt(0)
	s_add_u32 s4, s2, s4
	s_addc_u32 s5, s3, s5
	s_mul_hi_i32 s3, s37, s6
	s_mul_i32 s2, s37, s6
	s_lshl_b64 s[2:3], s[2:3], 4
	s_add_u32 s7, s4, s2
	s_addc_u32 s16, s5, s3
	s_add_i32 s2, s6, 1
	s_cmp_ge_u32 s2, s33
	v_lshlrev_b32_e32 v177, 4, v0
	s_barrier
	s_cbranch_scc1 .LBB20_200
; %bb.143:
	s_mul_i32 s2, s28, s27
	s_mul_hi_u32 s3, s28, s26
	s_add_i32 s2, s3, s2
	s_mul_i32 s3, s29, s26
	s_add_i32 s3, s2, s3
	s_mul_i32 s2, s28, s26
	s_lshl_b64 s[2:3], s[2:3], 4
	v_mov_b32_e32 v6, s3
	v_subrev_co_u32_e32 v179, vcc, s2, v40
	v_subb_co_u32_e32 v180, vcc, v41, v6, vcc
	v_lshrrev_b32_e32 v6, 4, v44
	v_lshlrev_b32_e32 v8, 6, v6
	v_mul_i32_i24_e32 v11, 0xffffffd0, v6
	v_and_b32_e32 v6, 48, v0
	v_and_b32_e32 v7, 15, v0
	v_lshlrev_b32_e32 v10, 6, v1
	s_movk_i32 s4, 0x430
	v_lshlrev_b32_e32 v6, 4, v6
	v_mad_u32_u24 v186, v7, s4, v6
	v_or_b32_e32 v6, 0xf0, v177
	v_add_u32_e32 v9, 0x200, v10
	v_mad_u32_u24 v185, v7, s4, v8
	v_mad_u32_u24 v187, v7, s4, v6
	v_mad_u64_u32 v[7:8], s[4:5], s20, v9, 0
	v_add_u32_e32 v13, 0x530, v10
	v_add_u32_e32 v182, 0x4300, v10
	v_mad_u64_u32 v[8:9], s[4:5], s21, v9, v[8:9]
	v_sub_co_u32_e32 v7, vcc, v7, v38
	v_subb_co_u32_e32 v9, vcc, v8, v39, vcc
	v_or_b32_e32 v12, 8, v7
	v_mad_u64_u32 v[7:8], s[4:5], s20, v13, 0
	v_add_co_u32_e32 v203, vcc, v42, v12
	v_addc_co_u32_e32 v204, vcc, v43, v9, vcc
	v_mad_u64_u32 v[8:9], s[4:5], s21, v13, v[8:9]
	v_sub_co_u32_e32 v9, vcc, v7, v38
	v_add_u32_e32 v13, 0x220, v10
	v_subb_co_u32_e32 v12, vcc, v8, v39, vcc
	v_mad_u64_u32 v[7:8], s[4:5], s20, v13, 0
	v_add_co_u32_e32 v205, vcc, v42, v9
	v_mad_u64_u32 v[8:9], s[4:5], s21, v13, v[8:9]
	v_addc_co_u32_e32 v206, vcc, v43, v12, vcc
	v_sub_co_u32_e32 v9, vcc, v7, v38
	v_add_u32_e32 v13, 0x520, v10
	v_subb_co_u32_e32 v12, vcc, v8, v39, vcc
	v_mad_u64_u32 v[7:8], s[4:5], s20, v13, 0
	v_add_co_u32_e32 v207, vcc, v42, v9
	v_mad_u64_u32 v[8:9], s[4:5], s21, v13, v[8:9]
	v_addc_co_u32_e32 v208, vcc, v43, v12, vcc
	;; [unrolled: 7-line block ×3, first 2 shown]
	v_sub_co_u32_e32 v7, vcc, v7, v38
	v_add_u32_e32 v13, 0x510, v10
	v_subb_co_u32_e32 v9, vcc, v8, v39, vcc
	v_or_b32_e32 v12, 8, v7
	v_mad_u64_u32 v[7:8], s[4:5], s20, v13, 0
	v_add_co_u32_e32 v211, vcc, v42, v12
	v_addc_co_u32_e32 v212, vcc, v43, v9, vcc
	v_mad_u64_u32 v[8:9], s[4:5], s21, v13, v[8:9]
	v_sub_co_u32_e32 v9, vcc, v7, v38
	v_add_u32_e32 v13, 0x230, v10
	v_subb_co_u32_e32 v12, vcc, v8, v39, vcc
	v_mad_u64_u32 v[7:8], s[4:5], s20, v13, 0
	v_add_co_u32_e32 v213, vcc, v42, v9
	v_mad_u64_u32 v[8:9], s[4:5], s21, v13, v[8:9]
	v_addc_co_u32_e32 v214, vcc, v43, v12, vcc
	v_sub_co_u32_e32 v7, vcc, v7, v38
	v_add_u32_e32 v13, 0x500, v10
	v_subb_co_u32_e32 v9, vcc, v8, v39, vcc
	v_or_b32_e32 v12, 8, v7
	v_mad_u64_u32 v[7:8], s[4:5], s20, v13, 0
	v_add_co_u32_e32 v215, vcc, v42, v12
	v_addc_co_u32_e32 v216, vcc, v43, v9, vcc
	v_mad_u64_u32 v[8:9], s[4:5], s21, v13, v[8:9]
	v_sub_co_u32_e32 v9, vcc, v7, v38
	v_add_u32_e32 v13, 0x300, v10
	v_subb_co_u32_e32 v12, vcc, v8, v39, vcc
	v_mad_u64_u32 v[7:8], s[4:5], s20, v13, 0
	v_add_co_u32_e32 v217, vcc, v42, v9
	v_mad_u64_u32 v[8:9], s[4:5], s21, v13, v[8:9]
	v_addc_co_u32_e32 v218, vcc, v43, v12, vcc
	;; [unrolled: 15-line block ×5, first 2 shown]
	v_sub_co_u32_e32 v7, vcc, v7, v38
	v_add_u32_e32 v10, 0x400, v10
	v_subb_co_u32_e32 v9, vcc, v8, v39, vcc
	v_or_b32_e32 v12, 8, v7
	v_mad_u64_u32 v[7:8], s[4:5], s20, v10, 0
	v_add_co_u32_e32 v231, vcc, v42, v12
	v_addc_co_u32_e32 v232, vcc, v43, v9, vcc
	v_mad_u64_u32 v[8:9], s[4:5], s21, v10, v[8:9]
	v_sub_co_u32_e32 v7, vcc, v7, v38
	v_subb_co_u32_e32 v8, vcc, v8, v39, vcc
	v_or_b32_e32 v7, 8, v7
	v_lshlrev_b32_e32 v178, 2, v1
	s_movk_i32 s2, 0x10c0
	v_add_co_u32_e32 v233, vcc, v42, v7
	s_add_i32 s17, s33, -2
	v_add_u32_e32 v181, 0x4300, v177
	v_add_u32_e32 v183, 0x4700, v177
	v_mad_u32_u24 v184, v1, s2, v177
	v_cmp_gt_u32_e64 s[2:3], 64, v44
	v_or_b32_e32 v188, 1, v178
	v_or_b32_e32 v189, 2, v178
	;; [unrolled: 1-line block ×3, first 2 shown]
	v_add_u32_e32 v191, 16, v178
	v_add_u32_e32 v192, 17, v178
	v_add_u32_e32 v193, 18, v178
	v_add_u32_e32 v194, 19, v178
	v_add_u32_e32 v195, 32, v178
	v_add_u32_e32 v196, 33, v178
	v_add_u32_e32 v197, 34, v178
	v_add_u32_e32 v198, 35, v178
	v_add_u32_e32 v199, 48, v178
	v_add_u32_e32 v200, 49, v178
	v_add_u32_e32 v201, 50, v178
	v_add_u32_e32 v202, 51, v178
	s_add_i32 s22, s26, 64
	v_mov_b32_e32 v6, 0
	s_lshl_b64 s[10:11], s[20:21], 10
	v_addc_co_u32_e32 v234, vcc, v43, v8, vcc
	v_add_u32_e32 v235, v185, v11
	s_cmp_eq_u32 s17, s6
	s_cselect_b32 s20, s36, 0
	s_and_saveexec_b64 s[4:5], s[0:1]
	s_cbranch_execz .LBB20_148
.LBB20_144:
	s_cmp_lg_u32 s20, 0
	s_cselect_b64 s[8:9], -1, 0
	v_cmp_le_i32_e32 vcc, s20, v0
	s_and_b64 s[8:9], s[8:9], vcc
	s_and_saveexec_b64 s[12:13], s[8:9]
	s_xor_b64 s[8:9], exec, s[12:13]
; %bb.145:
	v_mov_b32_e32 v7, v6
	v_mov_b32_e32 v8, v6
	;; [unrolled: 1-line block ×3, first 2 shown]
	ds_write_b128 v181, v[6:9]
; %bb.146:
	s_andn2_saveexec_b64 s[8:9], s[8:9]
	s_cbranch_execz .LBB20_148
; %bb.147:
	s_ashr_i32 s8, s22, 31
	s_mul_hi_u32 s9, s28, s22
	s_mul_i32 s8, s28, s8
	s_add_i32 s8, s9, s8
	s_mul_i32 s9, s29, s22
	s_add_i32 s9, s8, s9
	s_mul_i32 s8, s28, s22
	s_lshl_b64 s[8:9], s[8:9], 4
	v_mov_b32_e32 v8, s9
	v_add_co_u32_e32 v7, vcc, s8, v179
	v_addc_co_u32_e32 v8, vcc, v180, v8, vcc
	global_load_dwordx4 v[7:10], v[7:8], off
	s_waitcnt vmcnt(0)
	ds_write2_b64 v181, v[7:8], v[9:10] offset1:1
.LBB20_148:                             ; =>This Inner Loop Header: Depth=1
	s_or_b64 exec, exec, s[4:5]
	s_cmp_eq_u32 s20, 0
	v_add_co_u32_e32 v19, vcc, v203, v177
	s_cselect_b64 s[12:13], -1, 0
	s_cmp_lg_u32 s20, 0
	v_addc_co_u32_e32 v20, vcc, 0, v204, vcc
	s_cselect_b64 s[8:9], -1, 0
	s_and_b64 vcc, exec, s[8:9]
	s_waitcnt lgkmcnt(0)
	s_barrier
	s_cbranch_vccz .LBB20_156
; %bb.149:                              ;   in Loop: Header=BB20_148 Depth=1
	v_mov_b32_e32 v11, 0
	v_mov_b32_e32 v7, 0
	;; [unrolled: 1-line block ×6, first 2 shown]
	v_cmp_gt_i32_e32 vcc, s20, v178
	s_and_saveexec_b64 s[4:5], vcc
	s_cbranch_execz .LBB20_151
; %bb.150:                              ;   in Loop: Header=BB20_148 Depth=1
	global_load_dwordx4 v[7:10], v[19:20], off offset:-8
.LBB20_151:                             ;   in Loop: Header=BB20_148 Depth=1
	s_or_b64 exec, exec, s[4:5]
	v_mov_b32_e32 v13, 0
	v_mov_b32_e32 v14, 0
	v_cmp_gt_i32_e32 vcc, s20, v188
	s_and_saveexec_b64 s[4:5], vcc
	s_cbranch_execz .LBB20_153
; %bb.152:                              ;   in Loop: Header=BB20_148 Depth=1
	v_add_co_u32_e32 v11, vcc, v211, v177
	v_addc_co_u32_e32 v12, vcc, 0, v212, vcc
	global_load_dwordx4 v[11:14], v[11:12], off offset:-8
.LBB20_153:                             ;   in Loop: Header=BB20_148 Depth=1
	s_or_b64 exec, exec, s[4:5]
	v_mov_b32_e32 v15, 0
	v_mov_b32_e32 v17, 0
	;; [unrolled: 1-line block ×4, first 2 shown]
	v_cmp_gt_i32_e32 vcc, s20, v189
	s_and_saveexec_b64 s[4:5], vcc
	s_cbranch_execz .LBB20_155
; %bb.154:                              ;   in Loop: Header=BB20_148 Depth=1
	v_add_co_u32_e32 v15, vcc, v207, v177
	v_addc_co_u32_e32 v16, vcc, 0, v208, vcc
	global_load_dwordx4 v[15:18], v[15:16], off
.LBB20_155:                             ;   in Loop: Header=BB20_148 Depth=1
	s_or_b64 exec, exec, s[4:5]
	v_cmp_gt_i32_e64 s[4:5], s20, v190
	s_branch .LBB20_158
.LBB20_156:                             ;   in Loop: Header=BB20_148 Depth=1
	s_mov_b64 s[4:5], 0
                                        ; implicit-def: $vgpr17_vgpr18
                                        ; implicit-def: $vgpr13_vgpr14
                                        ; implicit-def: $vgpr9_vgpr10
	s_cbranch_execz .LBB20_158
; %bb.157:                              ;   in Loop: Header=BB20_148 Depth=1
	s_waitcnt vmcnt(0)
	v_add_co_u32_e32 v11, vcc, v211, v177
	v_addc_co_u32_e32 v12, vcc, 0, v212, vcc
	v_add_co_u32_e32 v15, vcc, v207, v177
	v_addc_co_u32_e32 v16, vcc, 0, v208, vcc
	global_load_dwordx4 v[7:10], v[19:20], off offset:-8
	s_or_b64 s[4:5], s[4:5], exec
	global_load_dwordx4 v[11:14], v[11:12], off offset:-8
	s_nop 0
	global_load_dwordx4 v[15:18], v[15:16], off
.LBB20_158:                             ;   in Loop: Header=BB20_148 Depth=1
	v_mov_b32_e32 v19, 0
	v_mov_b32_e32 v21, 0
	;; [unrolled: 1-line block ×4, first 2 shown]
	s_and_saveexec_b64 s[14:15], s[4:5]
	s_cbranch_execz .LBB20_160
; %bb.159:                              ;   in Loop: Header=BB20_148 Depth=1
	v_add_co_u32_e32 v19, vcc, v215, v177
	v_addc_co_u32_e32 v20, vcc, 0, v216, vcc
	global_load_dwordx4 v[19:22], v[19:20], off offset:-8
.LBB20_160:                             ;   in Loop: Header=BB20_148 Depth=1
	s_or_b64 exec, exec, s[14:15]
	ds_read_b128 v[23:26], v183
	s_andn2_b64 vcc, exec, s[8:9]
	s_waitcnt vmcnt(0) lgkmcnt(0)
	v_mul_f64 v[27:28], v[9:10], v[25:26]
	v_mul_f64 v[29:30], v[9:10], v[23:24]
	;; [unrolled: 1-line block ×8, first 2 shown]
	v_fma_f64 v[27:28], v[7:8], v[23:24], v[27:28]
	v_fma_f64 v[29:30], v[7:8], v[25:26], -v[29:30]
	v_fma_f64 v[31:32], v[11:12], v[23:24], v[31:32]
	v_fma_f64 v[33:34], v[11:12], v[25:26], -v[33:34]
	v_fma_f64 v[39:40], v[15:16], v[23:24], v[35:36]
	v_fma_f64 v[41:42], v[15:16], v[25:26], -v[37:38]
	v_fma_f64 v[51:52], v[19:20], v[23:24], v[43:44]
	v_fma_f64 v[53:54], v[19:20], v[25:26], -v[45:46]
	ds_read_b128 v[47:50], v182
	ds_read_b128 v[43:46], v182 offset:16
	ds_read_b128 v[35:38], v182 offset:32
	;; [unrolled: 1-line block ×3, first 2 shown]
	ds_write_b128 v184, v[27:30]
	ds_write_b128 v184, v[31:34] offset:1072
	ds_write_b128 v184, v[39:42] offset:2144
	;; [unrolled: 1-line block ×3, first 2 shown]
	s_waitcnt lgkmcnt(0)
	s_barrier
	ds_read_b128 v[95:98], v185
	ds_read_b128 v[91:94], v185 offset:16
	ds_read_b128 v[87:90], v185 offset:32
	;; [unrolled: 1-line block ×3, first 2 shown]
	v_cndmask_b32_e64 v27, 0, 1, s[8:9]
	v_add_co_u32_e64 v51, s[8:9], v219, v177
	v_cmp_ne_u32_e64 s[4:5], 1, v27
	v_addc_co_u32_e64 v52, s[8:9], 0, v220, s[8:9]
	s_waitcnt lgkmcnt(0)
	s_barrier
	s_cbranch_vccnz .LBB20_168
; %bb.161:                              ;   in Loop: Header=BB20_148 Depth=1
	v_mov_b32_e32 v27, 0
	v_mov_b32_e32 v31, 0
	;; [unrolled: 1-line block ×6, first 2 shown]
	v_cmp_gt_i32_e32 vcc, s20, v191
	s_and_saveexec_b64 s[8:9], vcc
	s_cbranch_execz .LBB20_163
; %bb.162:                              ;   in Loop: Header=BB20_148 Depth=1
	global_load_dwordx4 v[31:34], v[51:52], off offset:-8
.LBB20_163:                             ;   in Loop: Header=BB20_148 Depth=1
	s_or_b64 exec, exec, s[8:9]
	v_mov_b32_e32 v29, 0
	v_mov_b32_e32 v30, 0
	v_cmp_gt_i32_e32 vcc, s20, v192
	s_and_saveexec_b64 s[8:9], vcc
	s_cbranch_execz .LBB20_165
; %bb.164:                              ;   in Loop: Header=BB20_148 Depth=1
	v_add_co_u32_e32 v27, vcc, v223, v177
	v_addc_co_u32_e32 v28, vcc, 0, v224, vcc
	global_load_dwordx4 v[27:30], v[27:28], off offset:-8
.LBB20_165:                             ;   in Loop: Header=BB20_148 Depth=1
	s_or_b64 exec, exec, s[8:9]
	v_mov_b32_e32 v39, 0
	v_mov_b32_e32 v41, 0
	;; [unrolled: 1-line block ×4, first 2 shown]
	v_cmp_gt_i32_e32 vcc, s20, v193
	s_and_saveexec_b64 s[8:9], vcc
	s_cbranch_execz .LBB20_167
; %bb.166:                              ;   in Loop: Header=BB20_148 Depth=1
	v_add_co_u32_e32 v39, vcc, v227, v177
	v_addc_co_u32_e32 v40, vcc, 0, v228, vcc
	global_load_dwordx4 v[39:42], v[39:40], off offset:-8
.LBB20_167:                             ;   in Loop: Header=BB20_148 Depth=1
	s_or_b64 exec, exec, s[8:9]
	v_cmp_gt_i32_e64 s[8:9], s20, v194
	s_branch .LBB20_170
.LBB20_168:                             ;   in Loop: Header=BB20_148 Depth=1
	s_mov_b64 s[8:9], 0
                                        ; implicit-def: $vgpr41_vgpr42
                                        ; implicit-def: $vgpr29_vgpr30
                                        ; implicit-def: $vgpr33_vgpr34
	s_cbranch_execz .LBB20_170
; %bb.169:                              ;   in Loop: Header=BB20_148 Depth=1
	s_waitcnt vmcnt(0)
	v_add_co_u32_e32 v27, vcc, v223, v177
	v_addc_co_u32_e32 v28, vcc, 0, v224, vcc
	v_add_co_u32_e32 v39, vcc, v227, v177
	v_addc_co_u32_e32 v40, vcc, 0, v228, vcc
	global_load_dwordx4 v[31:34], v[51:52], off offset:-8
	s_or_b64 s[8:9], s[8:9], exec
	global_load_dwordx4 v[27:30], v[27:28], off offset:-8
	s_nop 0
	global_load_dwordx4 v[39:42], v[39:40], off offset:-8
.LBB20_170:                             ;   in Loop: Header=BB20_148 Depth=1
	v_mov_b32_e32 v51, 0
	v_mov_b32_e32 v53, 0
	;; [unrolled: 1-line block ×4, first 2 shown]
	s_and_saveexec_b64 s[14:15], s[8:9]
	s_cbranch_execz .LBB20_172
; %bb.171:                              ;   in Loop: Header=BB20_148 Depth=1
	v_add_co_u32_e32 v51, vcc, v231, v177
	v_addc_co_u32_e32 v52, vcc, 0, v232, vcc
	global_load_dwordx4 v[51:54], v[51:52], off offset:-8
.LBB20_172:                             ;   in Loop: Header=BB20_148 Depth=1
	s_or_b64 exec, exec, s[14:15]
	ds_read_b128 v[55:58], v183
	s_and_b64 vcc, exec, s[4:5]
	s_waitcnt vmcnt(0) lgkmcnt(0)
	v_mul_f64 v[59:60], v[33:34], v[57:58]
	v_mul_f64 v[61:62], v[33:34], v[55:56]
	;; [unrolled: 1-line block ×8, first 2 shown]
	v_fma_f64 v[63:64], v[31:32], v[55:56], v[59:60]
	v_fma_f64 v[65:66], v[31:32], v[57:58], -v[61:62]
	v_fma_f64 v[67:68], v[27:28], v[55:56], v[67:68]
	v_fma_f64 v[69:70], v[27:28], v[57:58], -v[69:70]
	;; [unrolled: 2-line block ×4, first 2 shown]
	ds_read_b128 v[75:78], v182 offset:256
	ds_read_b128 v[71:74], v182 offset:272
	;; [unrolled: 1-line block ×4, first 2 shown]
	ds_write_b128 v184, v[63:66]
	ds_write_b128 v184, v[67:70] offset:1072
	ds_write_b128 v184, v[79:82] offset:2144
	;; [unrolled: 1-line block ×3, first 2 shown]
	s_waitcnt lgkmcnt(0)
	s_barrier
	ds_read_b128 v[147:150], v185
	ds_read_b128 v[139:142], v185 offset:16
	ds_read_b128 v[135:138], v185 offset:32
	;; [unrolled: 1-line block ×3, first 2 shown]
	v_add_co_u32_e64 v99, s[8:9], v233, v177
	v_addc_co_u32_e64 v100, s[8:9], 0, v234, s[8:9]
	s_waitcnt lgkmcnt(0)
	s_barrier
	s_cbranch_vccnz .LBB20_180
; %bb.173:                              ;   in Loop: Header=BB20_148 Depth=1
	v_mov_b32_e32 v67, 0
	v_mov_b32_e32 v63, 0
	;; [unrolled: 1-line block ×6, first 2 shown]
	v_cmp_gt_i32_e32 vcc, s20, v195
	s_and_saveexec_b64 s[8:9], vcc
	s_cbranch_execz .LBB20_175
; %bb.174:                              ;   in Loop: Header=BB20_148 Depth=1
	global_load_dwordx4 v[63:66], v[99:100], off offset:-8
.LBB20_175:                             ;   in Loop: Header=BB20_148 Depth=1
	s_or_b64 exec, exec, s[8:9]
	v_mov_b32_e32 v69, 0
	v_mov_b32_e32 v70, 0
	v_cmp_gt_i32_e32 vcc, s20, v196
	s_and_saveexec_b64 s[8:9], vcc
	s_cbranch_execz .LBB20_177
; %bb.176:                              ;   in Loop: Header=BB20_148 Depth=1
	v_add_co_u32_e32 v67, vcc, v229, v177
	v_addc_co_u32_e32 v68, vcc, 0, v230, vcc
	global_load_dwordx4 v[67:70], v[67:68], off
.LBB20_177:                             ;   in Loop: Header=BB20_148 Depth=1
	s_or_b64 exec, exec, s[8:9]
	v_mov_b32_e32 v79, 0
	v_mov_b32_e32 v81, 0
	;; [unrolled: 1-line block ×4, first 2 shown]
	v_cmp_gt_i32_e32 vcc, s20, v197
	s_and_saveexec_b64 s[8:9], vcc
	s_cbranch_execz .LBB20_179
; %bb.178:                              ;   in Loop: Header=BB20_148 Depth=1
	v_add_co_u32_e32 v79, vcc, v225, v177
	v_addc_co_u32_e32 v80, vcc, 0, v226, vcc
	global_load_dwordx4 v[79:82], v[79:80], off
.LBB20_179:                             ;   in Loop: Header=BB20_148 Depth=1
	s_or_b64 exec, exec, s[8:9]
	v_cmp_gt_i32_e64 s[8:9], s20, v198
	s_branch .LBB20_182
.LBB20_180:                             ;   in Loop: Header=BB20_148 Depth=1
	s_mov_b64 s[8:9], 0
                                        ; implicit-def: $vgpr81_vgpr82
                                        ; implicit-def: $vgpr69_vgpr70
                                        ; implicit-def: $vgpr65_vgpr66
	s_cbranch_execz .LBB20_182
; %bb.181:                              ;   in Loop: Header=BB20_148 Depth=1
	s_waitcnt vmcnt(0)
	v_add_co_u32_e32 v67, vcc, v229, v177
	v_addc_co_u32_e32 v68, vcc, 0, v230, vcc
	v_add_co_u32_e32 v79, vcc, v225, v177
	v_addc_co_u32_e32 v80, vcc, 0, v226, vcc
	global_load_dwordx4 v[63:66], v[99:100], off offset:-8
	s_or_b64 s[8:9], s[8:9], exec
	global_load_dwordx4 v[67:70], v[67:68], off
	s_nop 0
	global_load_dwordx4 v[79:82], v[79:80], off
.LBB20_182:                             ;   in Loop: Header=BB20_148 Depth=1
	v_mov_b32_e32 v99, 0
	v_mov_b32_e32 v101, 0
	;; [unrolled: 1-line block ×4, first 2 shown]
	s_and_saveexec_b64 s[14:15], s[8:9]
	s_cbranch_execz .LBB20_184
; %bb.183:                              ;   in Loop: Header=BB20_148 Depth=1
	v_add_co_u32_e32 v99, vcc, v221, v177
	v_addc_co_u32_e32 v100, vcc, 0, v222, vcc
	global_load_dwordx4 v[99:102], v[99:100], off
.LBB20_184:                             ;   in Loop: Header=BB20_148 Depth=1
	s_or_b64 exec, exec, s[14:15]
	ds_read_b128 v[103:106], v183
	s_and_b64 vcc, exec, s[4:5]
	s_waitcnt vmcnt(0) lgkmcnt(0)
	v_mul_f64 v[107:108], v[65:66], v[105:106]
	v_mul_f64 v[109:110], v[65:66], v[103:104]
	;; [unrolled: 1-line block ×8, first 2 shown]
	v_fma_f64 v[119:120], v[63:64], v[103:104], v[107:108]
	v_fma_f64 v[121:122], v[63:64], v[105:106], -v[109:110]
	v_fma_f64 v[123:124], v[67:68], v[103:104], v[111:112]
	v_fma_f64 v[125:126], v[67:68], v[105:106], -v[113:114]
	v_fma_f64 v[127:128], v[79:80], v[103:104], v[115:116]
	v_fma_f64 v[129:130], v[79:80], v[105:106], -v[117:118]
	v_fma_f64 v[143:144], v[99:100], v[103:104], v[143:144]
	v_fma_f64 v[145:146], v[99:100], v[105:106], -v[145:146]
	ds_read_b128 v[115:118], v182 offset:512
	ds_read_b128 v[111:114], v182 offset:528
	;; [unrolled: 1-line block ×4, first 2 shown]
	ds_write_b128 v184, v[119:122]
	ds_write_b128 v184, v[123:126] offset:1072
	ds_write_b128 v184, v[127:130] offset:2144
	;; [unrolled: 1-line block ×3, first 2 shown]
	s_waitcnt lgkmcnt(0)
	s_barrier
	ds_read_b128 v[155:158], v185
	ds_read_b128 v[151:154], v185 offset:16
	ds_read_b128 v[171:174], v185 offset:32
	;; [unrolled: 1-line block ×3, first 2 shown]
	v_add_co_u32_e64 v143, s[4:5], v217, v177
	v_addc_co_u32_e64 v144, s[4:5], 0, v218, s[4:5]
	s_waitcnt lgkmcnt(0)
	s_barrier
	s_cbranch_vccnz .LBB20_192
; %bb.185:                              ;   in Loop: Header=BB20_148 Depth=1
	v_mov_b32_e32 v123, 0
	v_mov_b32_e32 v119, 0
	v_mov_b32_e32 v121, 0
	v_mov_b32_e32 v124, 0
	v_mov_b32_e32 v120, 0
	v_mov_b32_e32 v122, 0
	v_cmp_gt_i32_e32 vcc, s20, v199
	s_and_saveexec_b64 s[4:5], vcc
	s_cbranch_execz .LBB20_187
; %bb.186:                              ;   in Loop: Header=BB20_148 Depth=1
	global_load_dwordx4 v[119:122], v[143:144], off
.LBB20_187:                             ;   in Loop: Header=BB20_148 Depth=1
	s_or_b64 exec, exec, s[4:5]
	v_mov_b32_e32 v125, 0
	v_mov_b32_e32 v126, 0
	v_cmp_gt_i32_e32 vcc, s20, v200
	s_and_saveexec_b64 s[4:5], vcc
	s_cbranch_execz .LBB20_189
; %bb.188:                              ;   in Loop: Header=BB20_148 Depth=1
	v_add_co_u32_e32 v123, vcc, v213, v177
	v_addc_co_u32_e32 v124, vcc, 0, v214, vcc
	global_load_dwordx4 v[123:126], v[123:124], off
.LBB20_189:                             ;   in Loop: Header=BB20_148 Depth=1
	s_or_b64 exec, exec, s[4:5]
	v_mov_b32_e32 v127, 0
	v_mov_b32_e32 v129, 0
	;; [unrolled: 1-line block ×4, first 2 shown]
	v_cmp_gt_i32_e32 vcc, s20, v201
	s_and_saveexec_b64 s[4:5], vcc
	s_cbranch_execz .LBB20_191
; %bb.190:                              ;   in Loop: Header=BB20_148 Depth=1
	v_add_co_u32_e32 v127, vcc, v209, v177
	v_addc_co_u32_e32 v128, vcc, 0, v210, vcc
	global_load_dwordx4 v[127:130], v[127:128], off
.LBB20_191:                             ;   in Loop: Header=BB20_148 Depth=1
	s_or_b64 exec, exec, s[4:5]
	v_cmp_gt_i32_e64 s[4:5], s20, v202
	s_branch .LBB20_194
.LBB20_192:                             ;   in Loop: Header=BB20_148 Depth=1
	s_mov_b64 s[4:5], 0
                                        ; implicit-def: $vgpr129_vgpr130
                                        ; implicit-def: $vgpr125_vgpr126
                                        ; implicit-def: $vgpr121_vgpr122
	s_cbranch_execz .LBB20_194
; %bb.193:                              ;   in Loop: Header=BB20_148 Depth=1
	s_waitcnt vmcnt(0)
	v_add_co_u32_e32 v123, vcc, v213, v177
	v_addc_co_u32_e32 v124, vcc, 0, v214, vcc
	v_add_co_u32_e32 v127, vcc, v209, v177
	v_addc_co_u32_e32 v128, vcc, 0, v210, vcc
	global_load_dwordx4 v[119:122], v[143:144], off
	s_or_b64 s[4:5], s[4:5], exec
	global_load_dwordx4 v[123:126], v[123:124], off
	s_nop 0
	global_load_dwordx4 v[127:130], v[127:128], off
.LBB20_194:                             ;   in Loop: Header=BB20_148 Depth=1
	v_mov_b32_e32 v143, 0
	v_mov_b32_e32 v145, 0
	;; [unrolled: 1-line block ×4, first 2 shown]
	s_and_saveexec_b64 s[8:9], s[4:5]
	s_cbranch_execz .LBB20_196
; %bb.195:                              ;   in Loop: Header=BB20_148 Depth=1
	v_add_co_u32_e32 v143, vcc, v205, v177
	v_addc_co_u32_e32 v144, vcc, 0, v206, vcc
	global_load_dwordx4 v[143:146], v[143:144], off
.LBB20_196:                             ;   in Loop: Header=BB20_148 Depth=1
	s_or_b64 exec, exec, s[8:9]
	v_add_f64 v[155:156], v[155:156], 0
	v_add_f64 v[157:158], v[157:158], 0
	ds_read_b128 v[159:162], v183
	v_add_f64 v[147:148], v[147:148], 0
	v_add_f64 v[149:150], v[149:150], 0
	v_cmp_gt_i32_e32 vcc, s20, v0
	s_or_b64 s[4:5], s[12:13], vcc
	s_waitcnt vmcnt(0) lgkmcnt(0)
	v_mul_f64 v[163:164], v[121:122], v[161:162]
	v_mul_f64 v[165:166], v[121:122], v[159:160]
	;; [unrolled: 1-line block ×3, first 2 shown]
	v_add_f64 v[252:253], v[155:156], v[151:152]
	v_mul_f64 v[151:152], v[125:126], v[159:160]
	v_add_f64 v[254:255], v[157:158], v[153:154]
	v_mul_f64 v[153:154], v[129:130], v[161:162]
	v_mul_f64 v[155:156], v[129:130], v[159:160]
	;; [unrolled: 1-line block ×4, first 2 shown]
	v_fma_f64 v[236:237], v[119:120], v[159:160], v[163:164]
	v_fma_f64 v[238:239], v[119:120], v[161:162], -v[165:166]
	v_fma_f64 v[240:241], v[123:124], v[159:160], v[240:241]
	v_fma_f64 v[242:243], v[123:124], v[161:162], -v[151:152]
	;; [unrolled: 2-line block ×4, first 2 shown]
	ds_read_b128 v[163:166], v182 offset:768
	ds_read_b128 v[159:162], v182 offset:784
	;; [unrolled: 1-line block ×4, first 2 shown]
	ds_write_b128 v184, v[236:239]
	ds_write_b128 v184, v[240:243] offset:1072
	ds_write_b128 v184, v[244:247] offset:2144
	;; [unrolled: 1-line block ×3, first 2 shown]
	s_waitcnt lgkmcnt(0)
	s_barrier
	ds_read_b128 v[236:239], v185
	v_add_f64 v[240:241], v[95:96], 0
	v_add_f64 v[242:243], v[97:98], 0
	ds_read_b128 v[95:98], v185 offset:16
	v_add_f64 v[139:140], v[147:148], v[139:140]
	s_waitcnt lgkmcnt(1)
	v_add_f64 v[236:237], v[236:237], 0
	v_add_f64 v[238:239], v[238:239], 0
	;; [unrolled: 1-line block ×6, first 2 shown]
	ds_read_b128 v[91:94], v185 offset:32
	v_add_f64 v[135:136], v[139:140], v[135:136]
	s_waitcnt lgkmcnt(1)
	v_add_f64 v[95:96], v[236:237], v[95:96]
	v_add_f64 v[97:98], v[238:239], v[97:98]
	;; [unrolled: 1-line block ×6, first 2 shown]
	ds_read_b128 v[87:90], v185 offset:48
	s_and_b64 s[8:9], s[2:3], s[4:5]
	s_waitcnt lgkmcnt(1)
	v_add_f64 v[149:150], v[95:96], v[91:92]
	v_add_f64 v[171:172], v[97:98], v[93:94]
	;; [unrolled: 1-line block ×8, first 2 shown]
	s_waitcnt lgkmcnt(0)
	v_add_f64 v[87:88], v[149:150], v[87:88]
	v_add_f64 v[89:90], v[171:172], v[89:90]
	s_barrier
	ds_write_b128 v235, v[83:86]
	ds_write_b128 v235, v[95:98] offset:256
	ds_write_b128 v235, v[91:94] offset:512
	;; [unrolled: 1-line block ×3, first 2 shown]
	s_waitcnt lgkmcnt(0)
	s_barrier
	s_and_saveexec_b64 s[4:5], s[8:9]
	s_cbranch_execz .LBB20_198
; %bb.197:                              ;   in Loop: Header=BB20_148 Depth=1
	ds_read_b128 v[83:86], v186
	ds_read_b128 v[87:90], v186 offset:16
	s_waitcnt lgkmcnt(0)
	v_add_f64 v[91:92], v[87:88], v[83:84]
	v_add_f64 v[93:94], v[89:90], v[85:86]
	ds_read_b128 v[83:86], v186 offset:32
	ds_read_b128 v[87:90], v186 offset:48
	s_waitcnt lgkmcnt(1)
	v_add_f64 v[83:84], v[91:92], v[83:84]
	v_add_f64 v[85:86], v[93:94], v[85:86]
	s_waitcnt lgkmcnt(0)
	v_add_f64 v[91:92], v[83:84], v[87:88]
	v_add_f64 v[93:94], v[85:86], v[89:90]
	ds_read_b128 v[83:86], v186 offset:64
	ds_read_b128 v[87:90], v186 offset:80
	s_waitcnt lgkmcnt(1)
	v_add_f64 v[83:84], v[91:92], v[83:84]
	v_add_f64 v[85:86], v[93:94], v[85:86]
	;; [unrolled: 8-line block ×6, first 2 shown]
	s_waitcnt lgkmcnt(0)
	v_add_f64 v[91:92], v[83:84], v[87:88]
	v_add_f64 v[93:94], v[85:86], v[89:90]
	ds_read_b128 v[83:86], v186 offset:224
	ds_read_b128 v[87:90], v187
	s_waitcnt lgkmcnt(1)
	v_add_f64 v[83:84], v[91:92], v[83:84]
	v_add_f64 v[85:86], v[93:94], v[85:86]
	s_waitcnt lgkmcnt(0)
	v_add_f64 v[83:84], v[83:84], v[87:88]
	v_add_f64 v[85:86], v[85:86], v[89:90]
	v_add_u32_e32 v87, s22, v0
	v_ashrrev_i32_e32 v88, 31, v87
	v_lshlrev_b64 v[87:88], 4, v[87:88]
	v_mov_b32_e32 v89, s16
	v_add_co_u32_e32 v87, vcc, s7, v87
	v_addc_co_u32_e32 v88, vcc, v89, v88, vcc
	global_store_dwordx4 v[87:88], v[83:86], off
.LBB20_198:                             ;   in Loop: Header=BB20_148 Depth=1
	s_or_b64 exec, exec, s[4:5]
	v_mul_f64 v[83:84], v[9:10], v[49:50]
	v_mul_f64 v[49:50], v[7:8], v[49:50]
	;; [unrolled: 1-line block ×4, first 2 shown]
	v_add_co_u32_e32 v203, vcc, s10, v203
	s_add_i32 s4, s6, 1
	s_add_i32 s22, s22, 64
	v_fma_f64 v[7:8], v[7:8], v[47:48], -v[83:84]
	v_fma_f64 v[9:10], v[9:10], v[47:48], v[49:50]
	v_mul_f64 v[47:48], v[17:18], v[37:38]
	v_mul_f64 v[37:38], v[15:16], v[37:38]
	v_fma_f64 v[11:12], v[11:12], v[43:44], -v[85:86]
	v_fma_f64 v[13:14], v[13:14], v[43:44], v[45:46]
	v_mul_f64 v[49:50], v[21:22], v[25:26]
	v_mul_f64 v[43:44], v[29:30], v[73:74]
	v_add_f64 v[2:3], v[2:3], v[7:8]
	v_add_f64 v[4:5], v[4:5], v[9:10]
	v_mul_f64 v[7:8], v[19:20], v[25:26]
	v_fma_f64 v[15:16], v[15:16], v[35:36], -v[47:48]
	v_fma_f64 v[17:18], v[17:18], v[35:36], v[37:38]
	v_mul_f64 v[9:10], v[33:34], v[77:78]
	v_mul_f64 v[25:26], v[31:32], v[77:78]
	v_fma_f64 v[19:20], v[19:20], v[23:24], -v[49:50]
	v_add_f64 v[2:3], v[2:3], v[11:12]
	v_add_f64 v[4:5], v[4:5], v[13:14]
	v_fma_f64 v[7:8], v[21:22], v[23:24], v[7:8]
	v_mul_f64 v[11:12], v[27:28], v[73:74]
	v_mul_f64 v[13:14], v[41:42], v[61:62]
	v_fma_f64 v[9:10], v[31:32], v[75:76], -v[9:10]
	v_fma_f64 v[25:26], v[33:34], v[75:76], v[25:26]
	v_mul_f64 v[35:36], v[39:40], v[61:62]
	v_add_f64 v[2:3], v[2:3], v[15:16]
	v_add_f64 v[4:5], v[4:5], v[17:18]
	v_fma_f64 v[27:28], v[27:28], v[71:72], -v[43:44]
	v_fma_f64 v[11:12], v[29:30], v[71:72], v[11:12]
	v_mul_f64 v[37:38], v[53:54], v[57:58]
	v_mul_f64 v[15:16], v[51:52], v[57:58]
	v_fma_f64 v[13:14], v[39:40], v[59:60], -v[13:14]
	v_fma_f64 v[35:36], v[41:42], v[59:60], v[35:36]
	v_add_f64 v[2:3], v[2:3], v[19:20]
	v_add_f64 v[4:5], v[4:5], v[7:8]
	v_mul_f64 v[17:18], v[65:66], v[117:118]
	v_mul_f64 v[21:22], v[63:64], v[117:118]
	v_fma_f64 v[37:38], v[51:52], v[55:56], -v[37:38]
	v_fma_f64 v[15:16], v[53:54], v[55:56], v[15:16]
	v_mul_f64 v[23:24], v[69:70], v[113:114]
	v_mul_f64 v[7:8], v[67:68], v[113:114]
	v_add_f64 v[2:3], v[2:3], v[9:10]
	v_add_f64 v[4:5], v[4:5], v[25:26]
	v_fma_f64 v[17:18], v[63:64], v[115:116], -v[17:18]
	v_fma_f64 v[21:22], v[65:66], v[115:116], v[21:22]
	v_mul_f64 v[19:20], v[81:82], v[109:110]
	v_mul_f64 v[31:32], v[79:80], v[109:110]
	;; [unrolled: 1-line block ×3, first 2 shown]
	v_fma_f64 v[7:8], v[69:70], v[111:112], v[7:8]
	v_add_f64 v[2:3], v[2:3], v[27:28]
	v_add_f64 v[4:5], v[4:5], v[11:12]
	v_mul_f64 v[9:10], v[99:100], v[105:106]
	v_mul_f64 v[25:26], v[121:122], v[165:166]
	;; [unrolled: 1-line block ×6, first 2 shown]
	v_add_f64 v[2:3], v[2:3], v[13:14]
	v_add_f64 v[4:5], v[4:5], v[35:36]
	v_fma_f64 v[9:10], v[101:102], v[103:104], v[9:10]
	v_mul_f64 v[39:40], v[127:128], v[157:158]
	v_mov_b32_e32 v35, s11
	v_addc_co_u32_e32 v204, vcc, v204, v35, vcc
	v_add_co_u32_e32 v205, vcc, s10, v205
	v_add_f64 v[2:3], v[2:3], v[37:38]
	v_add_f64 v[4:5], v[4:5], v[15:16]
	v_fma_f64 v[15:16], v[67:68], v[111:112], -v[23:24]
	v_addc_co_u32_e32 v206, vcc, v206, v35, vcc
	v_add_co_u32_e32 v207, vcc, s10, v207
	v_addc_co_u32_e32 v208, vcc, v208, v35, vcc
	v_add_f64 v[2:3], v[2:3], v[17:18]
	v_add_f64 v[4:5], v[4:5], v[21:22]
	v_fma_f64 v[17:18], v[79:80], v[107:108], -v[19:20]
	v_fma_f64 v[19:20], v[81:82], v[107:108], v[31:32]
	v_add_co_u32_e32 v209, vcc, s10, v209
	v_addc_co_u32_e32 v210, vcc, v210, v35, vcc
	v_add_f64 v[2:3], v[2:3], v[15:16]
	v_add_f64 v[4:5], v[4:5], v[7:8]
	v_fma_f64 v[7:8], v[99:100], v[103:104], -v[33:34]
	v_fma_f64 v[15:16], v[119:120], v[163:164], -v[25:26]
	v_mul_f64 v[41:42], v[145:146], v[153:154]
	v_mul_f64 v[13:14], v[143:144], v[153:154]
	v_add_co_u32_e32 v211, vcc, s10, v211
	v_add_f64 v[2:3], v[2:3], v[17:18]
	v_add_f64 v[4:5], v[4:5], v[19:20]
	v_fma_f64 v[17:18], v[121:122], v[163:164], v[29:30]
	v_addc_co_u32_e32 v212, vcc, v212, v35, vcc
	v_add_co_u32_e32 v213, vcc, s10, v213
	v_addc_co_u32_e32 v214, vcc, v214, v35, vcc
	v_add_f64 v[2:3], v[2:3], v[7:8]
	v_add_f64 v[4:5], v[4:5], v[9:10]
	v_fma_f64 v[7:8], v[123:124], v[159:160], -v[43:44]
	v_fma_f64 v[9:10], v[125:126], v[159:160], v[11:12]
	v_fma_f64 v[11:12], v[127:128], v[155:156], -v[27:28]
	v_add_co_u32_e32 v215, vcc, s10, v215
	v_addc_co_u32_e32 v216, vcc, v216, v35, vcc
	v_add_f64 v[2:3], v[2:3], v[15:16]
	v_add_f64 v[4:5], v[4:5], v[17:18]
	v_fma_f64 v[15:16], v[129:130], v[155:156], v[39:40]
	v_add_co_u32_e32 v217, vcc, s10, v217
	v_addc_co_u32_e32 v218, vcc, v218, v35, vcc
	v_add_co_u32_e32 v219, vcc, s10, v219
	v_add_f64 v[2:3], v[2:3], v[7:8]
	v_add_f64 v[4:5], v[4:5], v[9:10]
	v_fma_f64 v[7:8], v[143:144], v[151:152], -v[41:42]
	v_fma_f64 v[9:10], v[145:146], v[151:152], v[13:14]
	v_addc_co_u32_e32 v220, vcc, v220, v35, vcc
	v_add_co_u32_e32 v221, vcc, s10, v221
	v_add_f64 v[2:3], v[2:3], v[11:12]
	v_add_f64 v[4:5], v[4:5], v[15:16]
	v_addc_co_u32_e32 v222, vcc, v222, v35, vcc
	v_add_co_u32_e32 v223, vcc, s10, v223
	v_addc_co_u32_e32 v224, vcc, v224, v35, vcc
	v_add_co_u32_e32 v225, vcc, s10, v225
	v_addc_co_u32_e32 v226, vcc, v226, v35, vcc
	v_add_f64 v[2:3], v[2:3], v[7:8]
	v_add_f64 v[4:5], v[4:5], v[9:10]
	v_add_co_u32_e32 v227, vcc, s10, v227
	v_addc_co_u32_e32 v228, vcc, v228, v35, vcc
	v_add_co_u32_e32 v229, vcc, s10, v229
	v_addc_co_u32_e32 v230, vcc, v230, v35, vcc
	;; [unrolled: 2-line block ×3, first 2 shown]
	s_add_i32 s5, s6, 2
	v_add_co_u32_e32 v233, vcc, s10, v233
	s_cmp_ge_u32 s5, s33
	v_addc_co_u32_e32 v234, vcc, v234, v35, vcc
	s_waitcnt vmcnt(0)
	s_barrier
	s_cbranch_scc1 .LBB20_200
; %bb.199:                              ;   in Loop: Header=BB20_148 Depth=1
	s_mov_b32 s6, s4
	s_cmp_eq_u32 s17, s6
	s_cselect_b32 s20, s36, 0
	s_and_saveexec_b64 s[4:5], s[0:1]
	s_cbranch_execnz .LBB20_144
	s_branch .LBB20_148
.LBB20_200:
	s_movk_i32 s2, 0x430
	v_cmp_gt_i32_e32 vcc, s24, v0
	v_mad_u32_u24 v1, v1, s2, v177
	s_or_b64 s[2:3], s[18:19], vcc
	s_and_b64 s[0:1], s[0:1], s[2:3]
	ds_write_b128 v1, v[2:5]
	s_waitcnt lgkmcnt(0)
	s_barrier
	s_and_saveexec_b64 s[2:3], s[0:1]
	s_cbranch_execz .LBB20_202
; %bb.201:
	ds_read_b128 v[0:3], v177 offset:1072
	ds_read_b128 v[4:7], v177
	s_waitcnt lgkmcnt(0)
	v_add_f64 v[8:9], v[0:1], v[4:5]
	v_add_f64 v[10:11], v[2:3], v[6:7]
	ds_read_b128 v[0:3], v177 offset:2144
	ds_read_b128 v[4:7], v177 offset:3216
	s_waitcnt lgkmcnt(1)
	v_add_f64 v[0:1], v[8:9], v[0:1]
	v_add_f64 v[2:3], v[10:11], v[2:3]
	s_waitcnt lgkmcnt(0)
	v_add_f64 v[0:1], v[0:1], v[4:5]
	v_add_f64 v[2:3], v[2:3], v[6:7]
	v_lshlrev_b64 v[4:5], 4, v[175:176]
	v_mov_b32_e32 v6, s16
	v_add_co_u32_e32 v4, vcc, s7, v4
	v_addc_co_u32_e32 v5, vcc, v6, v5, vcc
	global_store_dwordx4 v[4:5], v[0:3], off
.LBB20_202:
	s_endpgm
	.section	.rodata,"a",@progbits
	.p2align	6, 0x0
	.amdhsa_kernel _ZL26rocblas_hemvn_kernel_upperILb1ELi64ELi4ELi33ELi32ELi16El19rocblas_complex_numIdEPKS1_PS1_EviT6_lT7_lT5_lS6_lS7_lS5_lT8_i
		.amdhsa_group_segment_fixed_size 19200
		.amdhsa_private_segment_fixed_size 0
		.amdhsa_kernarg_size 392
		.amdhsa_user_sgpr_count 6
		.amdhsa_user_sgpr_private_segment_buffer 1
		.amdhsa_user_sgpr_dispatch_ptr 0
		.amdhsa_user_sgpr_queue_ptr 0
		.amdhsa_user_sgpr_kernarg_segment_ptr 1
		.amdhsa_user_sgpr_dispatch_id 0
		.amdhsa_user_sgpr_flat_scratch_init 0
		.amdhsa_user_sgpr_private_segment_size 0
		.amdhsa_uses_dynamic_stack 0
		.amdhsa_system_sgpr_private_segment_wavefront_offset 0
		.amdhsa_system_sgpr_workgroup_id_x 1
		.amdhsa_system_sgpr_workgroup_id_y 0
		.amdhsa_system_sgpr_workgroup_id_z 1
		.amdhsa_system_sgpr_workgroup_info 0
		.amdhsa_system_vgpr_workitem_id 1
		.amdhsa_next_free_vgpr 256
		.amdhsa_next_free_sgpr 98
		.amdhsa_reserve_vcc 1
		.amdhsa_reserve_flat_scratch 0
		.amdhsa_float_round_mode_32 0
		.amdhsa_float_round_mode_16_64 0
		.amdhsa_float_denorm_mode_32 3
		.amdhsa_float_denorm_mode_16_64 3
		.amdhsa_dx10_clamp 1
		.amdhsa_ieee_mode 1
		.amdhsa_fp16_overflow 0
		.amdhsa_exception_fp_ieee_invalid_op 0
		.amdhsa_exception_fp_denorm_src 0
		.amdhsa_exception_fp_ieee_div_zero 0
		.amdhsa_exception_fp_ieee_overflow 0
		.amdhsa_exception_fp_ieee_underflow 0
		.amdhsa_exception_fp_ieee_inexact 0
		.amdhsa_exception_int_div_zero 0
	.end_amdhsa_kernel
	.section	.text._ZL26rocblas_hemvn_kernel_upperILb1ELi64ELi4ELi33ELi32ELi16El19rocblas_complex_numIdEPKS1_PS1_EviT6_lT7_lT5_lS6_lS7_lS5_lT8_i,"axG",@progbits,_ZL26rocblas_hemvn_kernel_upperILb1ELi64ELi4ELi33ELi32ELi16El19rocblas_complex_numIdEPKS1_PS1_EviT6_lT7_lT5_lS6_lS7_lS5_lT8_i,comdat
.Lfunc_end20:
	.size	_ZL26rocblas_hemvn_kernel_upperILb1ELi64ELi4ELi33ELi32ELi16El19rocblas_complex_numIdEPKS1_PS1_EviT6_lT7_lT5_lS6_lS7_lS5_lT8_i, .Lfunc_end20-_ZL26rocblas_hemvn_kernel_upperILb1ELi64ELi4ELi33ELi32ELi16El19rocblas_complex_numIdEPKS1_PS1_EviT6_lT7_lT5_lS6_lS7_lS5_lT8_i
                                        ; -- End function
	.set _ZL26rocblas_hemvn_kernel_upperILb1ELi64ELi4ELi33ELi32ELi16El19rocblas_complex_numIdEPKS1_PS1_EviT6_lT7_lT5_lS6_lS7_lS5_lT8_i.num_vgpr, 256
	.set _ZL26rocblas_hemvn_kernel_upperILb1ELi64ELi4ELi33ELi32ELi16El19rocblas_complex_numIdEPKS1_PS1_EviT6_lT7_lT5_lS6_lS7_lS5_lT8_i.num_agpr, 0
	.set _ZL26rocblas_hemvn_kernel_upperILb1ELi64ELi4ELi33ELi32ELi16El19rocblas_complex_numIdEPKS1_PS1_EviT6_lT7_lT5_lS6_lS7_lS5_lT8_i.numbered_sgpr, 42
	.set _ZL26rocblas_hemvn_kernel_upperILb1ELi64ELi4ELi33ELi32ELi16El19rocblas_complex_numIdEPKS1_PS1_EviT6_lT7_lT5_lS6_lS7_lS5_lT8_i.num_named_barrier, 0
	.set _ZL26rocblas_hemvn_kernel_upperILb1ELi64ELi4ELi33ELi32ELi16El19rocblas_complex_numIdEPKS1_PS1_EviT6_lT7_lT5_lS6_lS7_lS5_lT8_i.private_seg_size, 0
	.set _ZL26rocblas_hemvn_kernel_upperILb1ELi64ELi4ELi33ELi32ELi16El19rocblas_complex_numIdEPKS1_PS1_EviT6_lT7_lT5_lS6_lS7_lS5_lT8_i.uses_vcc, 1
	.set _ZL26rocblas_hemvn_kernel_upperILb1ELi64ELi4ELi33ELi32ELi16El19rocblas_complex_numIdEPKS1_PS1_EviT6_lT7_lT5_lS6_lS7_lS5_lT8_i.uses_flat_scratch, 0
	.set _ZL26rocblas_hemvn_kernel_upperILb1ELi64ELi4ELi33ELi32ELi16El19rocblas_complex_numIdEPKS1_PS1_EviT6_lT7_lT5_lS6_lS7_lS5_lT8_i.has_dyn_sized_stack, 0
	.set _ZL26rocblas_hemvn_kernel_upperILb1ELi64ELi4ELi33ELi32ELi16El19rocblas_complex_numIdEPKS1_PS1_EviT6_lT7_lT5_lS6_lS7_lS5_lT8_i.has_recursion, 0
	.set _ZL26rocblas_hemvn_kernel_upperILb1ELi64ELi4ELi33ELi32ELi16El19rocblas_complex_numIdEPKS1_PS1_EviT6_lT7_lT5_lS6_lS7_lS5_lT8_i.has_indirect_call, 0
	.section	.AMDGPU.csdata,"",@progbits
; Kernel info:
; codeLenInByte = 11380
; TotalNumSgprs: 46
; NumVgprs: 256
; ScratchSize: 0
; MemoryBound: 1
; FloatMode: 240
; IeeeMode: 1
; LDSByteSize: 19200 bytes/workgroup (compile time only)
; SGPRBlocks: 12
; VGPRBlocks: 63
; NumSGPRsForWavesPerEU: 102
; NumVGPRsForWavesPerEU: 256
; Occupancy: 1
; WaveLimiterHint : 0
; COMPUTE_PGM_RSRC2:SCRATCH_EN: 0
; COMPUTE_PGM_RSRC2:USER_SGPR: 6
; COMPUTE_PGM_RSRC2:TRAP_HANDLER: 0
; COMPUTE_PGM_RSRC2:TGID_X_EN: 1
; COMPUTE_PGM_RSRC2:TGID_Y_EN: 0
; COMPUTE_PGM_RSRC2:TGID_Z_EN: 1
; COMPUTE_PGM_RSRC2:TIDIG_COMP_CNT: 1
	.section	.text._ZL36rocblas_hemvn_kernel_upper_block_sumILi64El19rocblas_complex_numIdEPS1_S1_EviT1_lS3_lT2_lT0_lPT3_i,"axG",@progbits,_ZL36rocblas_hemvn_kernel_upper_block_sumILi64El19rocblas_complex_numIdEPS1_S1_EviT1_lS3_lT2_lT0_lPT3_i,comdat
	.globl	_ZL36rocblas_hemvn_kernel_upper_block_sumILi64El19rocblas_complex_numIdEPS1_S1_EviT1_lS3_lT2_lT0_lPT3_i ; -- Begin function _ZL36rocblas_hemvn_kernel_upper_block_sumILi64El19rocblas_complex_numIdEPS1_S1_EviT1_lS3_lT2_lT0_lPT3_i
	.p2align	8
	.type	_ZL36rocblas_hemvn_kernel_upper_block_sumILi64El19rocblas_complex_numIdEPS1_S1_EviT1_lS3_lT2_lT0_lPT3_i,@function
_ZL36rocblas_hemvn_kernel_upper_block_sumILi64El19rocblas_complex_numIdEPS1_S1_EviT1_lS3_lT2_lT0_lPT3_i: ; @_ZL36rocblas_hemvn_kernel_upper_block_sumILi64El19rocblas_complex_numIdEPS1_S1_EviT1_lS3_lT2_lT0_lPT3_i
; %bb.0:
	s_load_dwordx4 s[20:23], s[4:5], 0x8
	s_load_dwordx4 s[16:19], s[4:5], 0x20
	s_waitcnt lgkmcnt(0)
	v_cmp_neq_f64_e64 s[0:1], s[20:21], 0
	v_cmp_neq_f64_e64 s[2:3], s[22:23], 0
	s_or_b64 s[0:1], s[0:1], s[2:3]
	s_mov_b64 s[2:3], -1
	s_and_b64 vcc, exec, s[0:1]
	s_cbranch_vccnz .LBB21_2
; %bb.1:
	v_cmp_neq_f64_e64 s[2:3], s[16:17], 1.0
	v_cmp_neq_f64_e64 s[8:9], s[18:19], 0
	s_or_b64 s[2:3], s[2:3], s[8:9]
.LBB21_2:
	s_andn2_b64 vcc, exec, s[2:3]
	s_cbranch_vccnz .LBB21_22
; %bb.3:
	s_load_dwordx8 s[8:15], s[4:5], 0x40
	s_load_dwordx2 s[2:3], s[4:5], 0x38
	s_load_dword s24, s[4:5], 0x0
	s_xor_b64 s[0:1], s[0:1], -1
	v_lshl_or_b32 v4, s6, 6, v0
	s_waitcnt lgkmcnt(0)
	s_mul_i32 s13, s13, s7
	s_mul_hi_u32 s25, s12, s7
	s_add_i32 s13, s25, s13
	s_mul_i32 s12, s12, s7
	s_lshl_b64 s[12:13], s[12:13], 4
	s_add_u32 s12, s2, s12
	s_addc_u32 s13, s3, s13
	s_lshl_b64 s[2:3], s[8:9], 4
	s_add_u32 s26, s12, s2
	s_addc_u32 s27, s13, s3
	s_andn2_b64 vcc, exec, s[0:1]
	v_cmp_gt_i32_e64 s[0:1], s24, v4
	s_cbranch_vccnz .LBB21_8
; %bb.4:
	s_mov_b64 s[8:9], 0
	s_mov_b64 s[2:3], 0
                                        ; implicit-def: $vgpr2_vgpr3
                                        ; implicit-def: $vgpr5_vgpr6
	s_and_saveexec_b64 s[12:13], s[0:1]
	s_cbranch_execz .LBB21_9
; %bb.5:
	v_cmp_neq_f64_e64 s[0:1], s[16:17], 0
	v_cmp_neq_f64_e64 s[2:3], s[18:19], 0
	v_ashrrev_i32_e32 v0, 31, v4
	v_mul_lo_u32 v7, s11, v4
	v_mad_u64_u32 v[5:6], s[28:29], s10, v4, 0
	v_mul_lo_u32 v8, s10, v0
	v_mov_b32_e32 v2, 0
	v_mov_b32_e32 v0, 0
	s_or_b64 s[0:1], s[0:1], s[2:3]
	v_mov_b32_e32 v3, 0
	s_andn2_b64 vcc, exec, s[0:1]
	v_mov_b32_e32 v1, 0
	v_add3_u32 v6, v6, v8, v7
	s_cbranch_vccnz .LBB21_7
; %bb.6:
	v_lshlrev_b64 v[0:1], 4, v[5:6]
	v_mov_b32_e32 v2, s27
	v_add_co_u32_e32 v0, vcc, s26, v0
	v_addc_co_u32_e32 v1, vcc, v2, v1, vcc
	global_load_dwordx4 v[7:10], v[0:1], off
	s_waitcnt vmcnt(0)
	v_mul_f64 v[0:1], s[18:19], v[9:10]
	v_mul_f64 v[2:3], s[16:17], v[9:10]
	v_fma_f64 v[0:1], s[16:17], v[7:8], -v[0:1]
	v_fma_f64 v[2:3], s[18:19], v[7:8], v[2:3]
.LBB21_7:
	s_mov_b64 s[2:3], exec
	s_or_b64 exec, exec, s[12:13]
	s_and_b64 vcc, exec, s[8:9]
	s_cbranch_vccnz .LBB21_10
	s_branch .LBB21_20
.LBB21_8:
	s_mov_b64 s[2:3], 0
                                        ; implicit-def: $vgpr2_vgpr3
                                        ; implicit-def: $vgpr5_vgpr6
	s_cbranch_execnz .LBB21_10
	s_branch .LBB21_20
.LBB21_9:
	s_or_b64 exec, exec, s[12:13]
	s_and_b64 vcc, exec, s[8:9]
	s_cbranch_vccz .LBB21_20
.LBB21_10:
	v_cmp_gt_i32_e32 vcc, s24, v4
                                        ; implicit-def: $vgpr2_vgpr3
                                        ; implicit-def: $vgpr5_vgpr6
	s_and_saveexec_b64 s[0:1], vcc
	s_cbranch_execz .LBB21_19
; %bb.11:
	v_mov_b32_e32 v0, 0
	v_mov_b32_e32 v2, 0
	;; [unrolled: 1-line block ×3, first 2 shown]
	s_cmp_lt_i32 s6, 0
	v_mov_b32_e32 v3, 0
	v_ashrrev_i32_e32 v5, 31, v4
	s_cbranch_scc1 .LBB21_14
; %bb.12:
	s_load_dword s4, s[4:5], 0x68
	s_ashr_i32 s25, s24, 31
	s_mul_hi_u32 s5, s24, s7
	s_mul_i32 s8, s25, s7
	s_add_i32 s5, s5, s8
	s_mul_i32 s7, s24, s7
	s_waitcnt lgkmcnt(0)
	s_mul_i32 s5, s5, s4
	s_mul_hi_u32 s8, s7, s4
	s_add_i32 s5, s8, s5
	s_mul_i32 s4, s7, s4
	s_add_i32 s6, s6, 1
	s_lshl_b64 s[4:5], s[4:5], 4
	v_lshlrev_b64 v[0:1], 4, v[4:5]
	s_add_u32 s4, s14, s4
	s_addc_u32 s5, s15, s5
	v_mov_b32_e32 v2, s5
	v_add_co_u32_e32 v0, vcc, s4, v0
	v_addc_co_u32_e32 v1, vcc, v2, v1, vcc
	v_add_co_u32_e32 v6, vcc, 8, v0
	v_addc_co_u32_e32 v7, vcc, 0, v1, vcc
	s_lshl_b64 s[4:5], s[24:25], 4
	v_mov_b32_e32 v0, 0
	v_mov_b32_e32 v2, 0
	v_mov_b32_e32 v1, 0
	v_mov_b32_e32 v3, 0
	v_mov_b32_e32 v8, s5
.LBB21_13:                              ; =>This Inner Loop Header: Depth=1
	global_load_dwordx4 v[9:12], v[6:7], off offset:-8
	s_add_i32 s6, s6, -1
	v_add_co_u32_e32 v6, vcc, s4, v6
	s_cmp_eq_u32 s6, 0
	v_addc_co_u32_e32 v7, vcc, v7, v8, vcc
	s_waitcnt vmcnt(0)
	v_add_f64 v[2:3], v[2:3], v[9:10]
	v_add_f64 v[0:1], v[0:1], v[11:12]
	s_cbranch_scc0 .LBB21_13
.LBB21_14:
	v_mul_f64 v[6:7], s[22:23], v[0:1]
	v_mul_f64 v[8:9], s[20:21], v[0:1]
	v_cmp_neq_f64_e64 s[4:5], s[16:17], 0
	v_cmp_neq_f64_e64 s[6:7], s[18:19], 0
	v_fma_f64 v[0:1], s[20:21], v[2:3], -v[6:7]
	v_fma_f64 v[2:3], s[22:23], v[2:3], v[8:9]
	v_mul_lo_u32 v7, s11, v4
	v_mul_lo_u32 v8, s10, v5
	s_or_b64 s[4:5], s[4:5], s[6:7]
	s_andn2_b64 vcc, exec, s[4:5]
	s_mov_b64 s[4:5], 0
	s_cbranch_vccz .LBB21_16
; %bb.15:
	v_mad_u64_u32 v[5:6], s[6:7], s10, v4, 0
	v_add3_u32 v6, v6, v8, v7
	s_andn2_b64 vcc, exec, s[4:5]
	s_cbranch_vccz .LBB21_17
	s_branch .LBB21_18
.LBB21_16:
                                        ; implicit-def: $vgpr5_vgpr6
.LBB21_17:
	v_mad_u64_u32 v[5:6], s[4:5], s10, v4, 0
	v_mov_b32_e32 v4, s27
	v_add3_u32 v6, v6, v8, v7
	v_lshlrev_b64 v[7:8], 4, v[5:6]
	v_add_co_u32_e32 v7, vcc, s26, v7
	v_addc_co_u32_e32 v8, vcc, v4, v8, vcc
	global_load_dwordx4 v[7:10], v[7:8], off
	s_waitcnt vmcnt(0)
	v_mul_f64 v[11:12], s[18:19], v[9:10]
	v_mul_f64 v[9:10], s[16:17], v[9:10]
	v_fma_f64 v[11:12], s[16:17], v[7:8], -v[11:12]
	v_fma_f64 v[7:8], s[18:19], v[7:8], v[9:10]
	v_add_f64 v[0:1], v[0:1], v[11:12]
	v_add_f64 v[2:3], v[2:3], v[7:8]
.LBB21_18:
	s_or_b64 s[2:3], s[2:3], exec
.LBB21_19:
	s_or_b64 exec, exec, s[0:1]
.LBB21_20:
	s_and_saveexec_b64 s[0:1], s[2:3]
	s_cbranch_execz .LBB21_22
; %bb.21:
	v_lshlrev_b64 v[4:5], 4, v[5:6]
	v_mov_b32_e32 v6, s27
	v_add_co_u32_e32 v4, vcc, s26, v4
	v_addc_co_u32_e32 v5, vcc, v6, v5, vcc
	global_store_dwordx4 v[4:5], v[0:3], off
.LBB21_22:
	s_endpgm
	.section	.rodata,"a",@progbits
	.p2align	6, 0x0
	.amdhsa_kernel _ZL36rocblas_hemvn_kernel_upper_block_sumILi64El19rocblas_complex_numIdEPS1_S1_EviT1_lS3_lT2_lT0_lPT3_i
		.amdhsa_group_segment_fixed_size 0
		.amdhsa_private_segment_fixed_size 0
		.amdhsa_kernarg_size 360
		.amdhsa_user_sgpr_count 6
		.amdhsa_user_sgpr_private_segment_buffer 1
		.amdhsa_user_sgpr_dispatch_ptr 0
		.amdhsa_user_sgpr_queue_ptr 0
		.amdhsa_user_sgpr_kernarg_segment_ptr 1
		.amdhsa_user_sgpr_dispatch_id 0
		.amdhsa_user_sgpr_flat_scratch_init 0
		.amdhsa_user_sgpr_private_segment_size 0
		.amdhsa_uses_dynamic_stack 0
		.amdhsa_system_sgpr_private_segment_wavefront_offset 0
		.amdhsa_system_sgpr_workgroup_id_x 1
		.amdhsa_system_sgpr_workgroup_id_y 0
		.amdhsa_system_sgpr_workgroup_id_z 1
		.amdhsa_system_sgpr_workgroup_info 0
		.amdhsa_system_vgpr_workitem_id 0
		.amdhsa_next_free_vgpr 13
		.amdhsa_next_free_sgpr 30
		.amdhsa_reserve_vcc 1
		.amdhsa_reserve_flat_scratch 0
		.amdhsa_float_round_mode_32 0
		.amdhsa_float_round_mode_16_64 0
		.amdhsa_float_denorm_mode_32 3
		.amdhsa_float_denorm_mode_16_64 3
		.amdhsa_dx10_clamp 1
		.amdhsa_ieee_mode 1
		.amdhsa_fp16_overflow 0
		.amdhsa_exception_fp_ieee_invalid_op 0
		.amdhsa_exception_fp_denorm_src 0
		.amdhsa_exception_fp_ieee_div_zero 0
		.amdhsa_exception_fp_ieee_overflow 0
		.amdhsa_exception_fp_ieee_underflow 0
		.amdhsa_exception_fp_ieee_inexact 0
		.amdhsa_exception_int_div_zero 0
	.end_amdhsa_kernel
	.section	.text._ZL36rocblas_hemvn_kernel_upper_block_sumILi64El19rocblas_complex_numIdEPS1_S1_EviT1_lS3_lT2_lT0_lPT3_i,"axG",@progbits,_ZL36rocblas_hemvn_kernel_upper_block_sumILi64El19rocblas_complex_numIdEPS1_S1_EviT1_lS3_lT2_lT0_lPT3_i,comdat
.Lfunc_end21:
	.size	_ZL36rocblas_hemvn_kernel_upper_block_sumILi64El19rocblas_complex_numIdEPS1_S1_EviT1_lS3_lT2_lT0_lPT3_i, .Lfunc_end21-_ZL36rocblas_hemvn_kernel_upper_block_sumILi64El19rocblas_complex_numIdEPS1_S1_EviT1_lS3_lT2_lT0_lPT3_i
                                        ; -- End function
	.set _ZL36rocblas_hemvn_kernel_upper_block_sumILi64El19rocblas_complex_numIdEPS1_S1_EviT1_lS3_lT2_lT0_lPT3_i.num_vgpr, 13
	.set _ZL36rocblas_hemvn_kernel_upper_block_sumILi64El19rocblas_complex_numIdEPS1_S1_EviT1_lS3_lT2_lT0_lPT3_i.num_agpr, 0
	.set _ZL36rocblas_hemvn_kernel_upper_block_sumILi64El19rocblas_complex_numIdEPS1_S1_EviT1_lS3_lT2_lT0_lPT3_i.numbered_sgpr, 30
	.set _ZL36rocblas_hemvn_kernel_upper_block_sumILi64El19rocblas_complex_numIdEPS1_S1_EviT1_lS3_lT2_lT0_lPT3_i.num_named_barrier, 0
	.set _ZL36rocblas_hemvn_kernel_upper_block_sumILi64El19rocblas_complex_numIdEPS1_S1_EviT1_lS3_lT2_lT0_lPT3_i.private_seg_size, 0
	.set _ZL36rocblas_hemvn_kernel_upper_block_sumILi64El19rocblas_complex_numIdEPS1_S1_EviT1_lS3_lT2_lT0_lPT3_i.uses_vcc, 1
	.set _ZL36rocblas_hemvn_kernel_upper_block_sumILi64El19rocblas_complex_numIdEPS1_S1_EviT1_lS3_lT2_lT0_lPT3_i.uses_flat_scratch, 0
	.set _ZL36rocblas_hemvn_kernel_upper_block_sumILi64El19rocblas_complex_numIdEPS1_S1_EviT1_lS3_lT2_lT0_lPT3_i.has_dyn_sized_stack, 0
	.set _ZL36rocblas_hemvn_kernel_upper_block_sumILi64El19rocblas_complex_numIdEPS1_S1_EviT1_lS3_lT2_lT0_lPT3_i.has_recursion, 0
	.set _ZL36rocblas_hemvn_kernel_upper_block_sumILi64El19rocblas_complex_numIdEPS1_S1_EviT1_lS3_lT2_lT0_lPT3_i.has_indirect_call, 0
	.section	.AMDGPU.csdata,"",@progbits
; Kernel info:
; codeLenInByte = 836
; TotalNumSgprs: 34
; NumVgprs: 13
; ScratchSize: 0
; MemoryBound: 0
; FloatMode: 240
; IeeeMode: 1
; LDSByteSize: 0 bytes/workgroup (compile time only)
; SGPRBlocks: 4
; VGPRBlocks: 3
; NumSGPRsForWavesPerEU: 34
; NumVGPRsForWavesPerEU: 13
; Occupancy: 10
; WaveLimiterHint : 0
; COMPUTE_PGM_RSRC2:SCRATCH_EN: 0
; COMPUTE_PGM_RSRC2:USER_SGPR: 6
; COMPUTE_PGM_RSRC2:TRAP_HANDLER: 0
; COMPUTE_PGM_RSRC2:TGID_X_EN: 1
; COMPUTE_PGM_RSRC2:TGID_Y_EN: 0
; COMPUTE_PGM_RSRC2:TGID_Z_EN: 1
; COMPUTE_PGM_RSRC2:TIDIG_COMP_CNT: 0
	.section	.text._ZL26rocblas_hemvn_kernel_upperILb1ELi64ELi4ELi33ELi32ELi16Ei19rocblas_complex_numIdEPKS1_PS1_EviT6_lT7_lT5_lS6_lS7_lS5_lT8_i,"axG",@progbits,_ZL26rocblas_hemvn_kernel_upperILb1ELi64ELi4ELi33ELi32ELi16Ei19rocblas_complex_numIdEPKS1_PS1_EviT6_lT7_lT5_lS6_lS7_lS5_lT8_i,comdat
	.globl	_ZL26rocblas_hemvn_kernel_upperILb1ELi64ELi4ELi33ELi32ELi16Ei19rocblas_complex_numIdEPKS1_PS1_EviT6_lT7_lT5_lS6_lS7_lS5_lT8_i ; -- Begin function _ZL26rocblas_hemvn_kernel_upperILb1ELi64ELi4ELi33ELi32ELi16Ei19rocblas_complex_numIdEPKS1_PS1_EviT6_lT7_lT5_lS6_lS7_lS5_lT8_i
	.p2align	8
	.type	_ZL26rocblas_hemvn_kernel_upperILb1ELi64ELi4ELi33ELi32ELi16Ei19rocblas_complex_numIdEPKS1_PS1_EviT6_lT7_lT5_lS6_lS7_lS5_lT8_i,@function
_ZL26rocblas_hemvn_kernel_upperILb1ELi64ELi4ELi33ELi32ELi16Ei19rocblas_complex_numIdEPKS1_PS1_EviT6_lT7_lT5_lS6_lS7_lS5_lT8_i: ; @_ZL26rocblas_hemvn_kernel_upperILb1ELi64ELi4ELi33ELi32ELi16Ei19rocblas_complex_numIdEPKS1_PS1_EviT6_lT7_lT5_lS6_lS7_lS5_lT8_i
; %bb.0:
	s_load_dwordx2 s[0:1], s[4:5], 0x94
	s_add_u32 s12, s4, 0x88
	s_addc_u32 s13, s5, 0
	s_waitcnt lgkmcnt(0)
	s_lshr_b32 s2, s0, 16
	s_and_b32 s0, s0, 0xffff
	s_and_b32 s1, s1, 0xffff
	s_mul_i32 s0, s2, s0
	s_mul_i32 s0, s0, s1
	s_cmpk_lg_i32 s0, 0x100
	s_cbranch_scc1 .LBB22_202
; %bb.1:
	s_load_dwordx4 s[0:3], s[4:5], 0x8
	s_waitcnt lgkmcnt(0)
	v_cmp_neq_f64_e64 s[8:9], s[0:1], 0
	v_cmp_neq_f64_e64 s[14:15], s[2:3], 0
	s_load_dwordx4 s[0:3], s[4:5], 0x58
	s_load_dwordx2 s[10:11], s[4:5], 0x68
	s_or_b64 s[8:9], s[8:9], s[14:15]
	s_mov_b64 s[14:15], -1
	s_and_b64 vcc, exec, s[8:9]
	s_cbranch_vccnz .LBB22_3
; %bb.2:
	s_waitcnt lgkmcnt(0)
	v_cmp_neq_f64_e64 s[2:3], s[2:3], 1.0
	v_cmp_neq_f64_e64 s[10:11], s[10:11], 0
	s_or_b64 s[14:15], s[2:3], s[10:11]
.LBB22_3:
	s_andn2_b64 vcc, exec, s[14:15]
	s_cbranch_vccnz .LBB22_202
; %bb.4:
	s_andn2_b64 vcc, exec, s[8:9]
	s_cbranch_vccnz .LBB22_202
; %bb.5:
	s_load_dword s33, s[12:13], 0x0
	s_load_dword s40, s[4:5], 0x0
	s_waitcnt lgkmcnt(0)
	s_load_dwordx4 s[8:11], s[4:5], 0x38
	s_load_dwordx2 s[2:3], s[4:5], 0x48
	s_load_dword s39, s[4:5], 0x50
	s_mul_i32 s1, s1, s7
	s_mul_hi_u32 s12, s0, s7
	s_add_i32 s1, s12, s1
	s_mul_i32 s0, s0, s7
	s_lshl_b64 s[0:1], s[0:1], 4
	s_waitcnt lgkmcnt(0)
	s_add_u32 s10, s10, s0
	s_addc_u32 s11, s11, s1
	s_lshl_b64 s[0:1], s[2:3], 4
	s_add_u32 s0, s10, s0
	s_addc_u32 s1, s11, s1
	s_lshl_b32 s24, s6, 6
	v_add_u32_e32 v167, s24, v0
	v_mul_lo_u32 v2, s39, v167
	s_ashr_i32 s41, s40, 31
	s_lshr_b32 s3, s41, 26
	s_add_i32 s3, s40, s3
	v_ashrrev_i32_e32 v3, 31, v2
	s_andn2_b32 s3, s3, 63
	v_lshlrev_b64 v[2:3], 4, v[2:3]
	s_add_i32 s2, s33, -1
	s_sub_i32 s38, s40, s3
	s_cmp_eq_u32 s6, s2
	v_mov_b32_e32 v4, s1
	v_add_co_u32_e32 v38, vcc, s0, v2
	s_cselect_b32 s18, s38, 0
	v_addc_co_u32_e32 v39, vcc, v4, v3, vcc
	v_cmp_eq_u32_e64 s[0:1], 0, v1
	s_and_saveexec_b64 s[2:3], s[0:1]
	s_cbranch_execz .LBB22_10
; %bb.6:
	s_cmp_lg_u32 s18, 0
	s_cselect_b64 s[10:11], -1, 0
	v_cmp_le_i32_e32 vcc, s18, v0
	v_mov_b32_e32 v2, 0x4700
	s_and_b64 s[10:11], s[10:11], vcc
	v_lshl_add_u32 v2, v0, 4, v2
	s_and_saveexec_b64 s[12:13], s[10:11]
	s_xor_b64 s[10:11], exec, s[12:13]
; %bb.7:
	v_mov_b32_e32 v3, 0
	v_mov_b32_e32 v4, v3
	;; [unrolled: 1-line block ×4, first 2 shown]
	ds_write_b128 v2, v[3:6]
                                        ; implicit-def: $vgpr2
; %bb.8:
	s_andn2_saveexec_b64 s[10:11], s[10:11]
	s_cbranch_execz .LBB22_10
; %bb.9:
	global_load_dwordx4 v[3:6], v[38:39], off
	s_waitcnt vmcnt(0)
	ds_write2_b64 v2, v[3:4], v[5:6] offset1:1
.LBB22_10:
	s_or_b64 exec, exec, s[2:3]
	s_load_dwordx4 s[12:15], s[4:5], 0x20
	s_load_dword s22, s[4:5], 0x30
	s_mul_i32 s2, s9, s7
	s_mul_hi_u32 s3, s8, s7
	s_add_i32 s3, s3, s2
	s_mul_i32 s2, s8, s7
	s_lshl_b64 s[2:3], s[2:3], 4
	s_waitcnt lgkmcnt(0)
	s_add_u32 s8, s12, s2
	v_lshl_add_u32 v44, v1, 6, v0
	s_addc_u32 s9, s13, s3
	s_lshl_b64 s[2:3], s[14:15], 4
	v_and_b32_e32 v10, 31, v0
	v_lshrrev_b32_e32 v13, 5, v44
	s_add_u32 s8, s8, s2
	s_addc_u32 s9, s9, s3
	v_mad_u64_u32 v[2:3], s[2:3], s22, v13, v[10:11]
	s_ashr_i32 s25, s24, 31
	s_lshl_b64 s[2:3], s[24:25], 4
	v_ashrrev_i32_e32 v3, 31, v2
	v_lshlrev_b64 v[40:41], 4, v[2:3]
	s_add_u32 s2, s8, s2
	s_addc_u32 s3, s9, s3
	v_add_co_u32_e32 v3, vcc, s2, v40
	s_mul_i32 s2, s22, s24
	v_mov_b32_e32 v2, s3
	s_ashr_i32 s3, s2, 31
	s_lshl_b64 s[2:3], s[2:3], 4
	v_addc_co_u32_e32 v4, vcc, v2, v41, vcc
	s_cmp_eq_u32 s18, 0
	v_mov_b32_e32 v5, s3
	v_add_co_u32_e32 v2, vcc, s2, v3
	s_cselect_b64 s[20:21], -1, 0
	s_cmp_lg_u32 s18, 0
	v_addc_co_u32_e32 v3, vcc, v4, v5, vcc
	s_cselect_b64 s[28:29], -1, 0
	s_and_b64 vcc, exec, s[28:29]
	v_cmp_gt_i32_e64 s[2:3], s18, v10
	v_lshlrev_b32_e32 v14, 4, v10
	s_cbranch_vccz .LBB22_28
; %bb.11:
	v_sub_co_u32_e32 v4, vcc, v2, v14
	s_ashr_i32 s19, s18, 31
	v_subbrev_co_u32_e32 v5, vcc, 0, v3, vcc
	s_lshl_b64 s[8:9], s[18:19], 4
	v_mov_b32_e32 v6, s9
	v_add_co_u32_e32 v4, vcc, s8, v4
	v_addc_co_u32_e32 v5, vcc, v5, v6, vcc
	v_add_co_u32_e32 v4, vcc, -16, v4
	v_addc_co_u32_e32 v5, vcc, -1, v5, vcc
	s_movk_i32 s10, 0x210
	v_cndmask_b32_e64 v5, v5, v3, s[2:3]
	v_cndmask_b32_e64 v4, v4, v2, s[2:3]
	v_cmp_le_i32_e32 vcc, s18, v13
	v_mad_u32_u24 v7, v13, s10, v14
	s_and_saveexec_b64 s[10:11], vcc
	s_xor_b64 s[10:11], exec, s[10:11]
; %bb.12:
	v_mov_b32_e32 v15, 0
	v_mov_b32_e32 v16, v15
	;; [unrolled: 1-line block ×4, first 2 shown]
	ds_write_b128 v7, v[15:18]
                                        ; implicit-def: $vgpr7
; %bb.13:
	s_or_saveexec_b64 s[10:11], s[10:11]
	v_mul_u32_u24_e32 v6, 0x210, v13
	s_xor_b64 exec, exec, s[10:11]
	s_cbranch_execz .LBB22_15
; %bb.14:
	global_load_dwordx4 v[15:18], v[4:5], off
	s_waitcnt vmcnt(0)
	ds_write2_b64 v7, v[15:16], v[17:18] offset1:1
.LBB22_15:
	s_or_b64 exec, exec, s[10:11]
	v_add_u32_e32 v7, 8, v13
	v_cmp_le_i32_e32 vcc, s18, v7
	v_add_u32_e32 v7, v6, v14
	s_and_saveexec_b64 s[10:11], vcc
	s_xor_b64 s[10:11], exec, s[10:11]
; %bb.16:
	v_mov_b32_e32 v15, 0
	v_mov_b32_e32 v16, v15
	;; [unrolled: 1-line block ×4, first 2 shown]
	ds_write_b128 v7, v[15:18] offset:4224
; %bb.17:
	s_andn2_saveexec_b64 s[10:11], s[10:11]
	s_cbranch_execz .LBB22_19
; %bb.18:
	s_lshl_b32 s12, s22, 3
	s_ashr_i32 s13, s12, 31
	s_lshl_b64 s[12:13], s[12:13], 4
	v_mov_b32_e32 v9, s13
	v_add_co_u32_e32 v8, vcc, s12, v4
	v_addc_co_u32_e32 v9, vcc, v5, v9, vcc
	global_load_dwordx4 v[15:18], v[8:9], off
	s_movk_i32 s12, 0x1080
	v_add3_u32 v8, v6, v14, s12
	s_waitcnt vmcnt(0)
	ds_write2_b64 v8, v[15:16], v[17:18] offset1:1
.LBB22_19:
	s_or_b64 exec, exec, s[10:11]
	v_add_u32_e32 v8, 16, v13
	v_cmp_le_i32_e32 vcc, s18, v8
	s_and_saveexec_b64 s[10:11], vcc
	s_xor_b64 s[10:11], exec, s[10:11]
; %bb.20:
	v_mov_b32_e32 v15, 0
	v_mov_b32_e32 v16, v15
	;; [unrolled: 1-line block ×4, first 2 shown]
	ds_write_b128 v7, v[15:18] offset:8448
; %bb.21:
	s_andn2_saveexec_b64 s[10:11], s[10:11]
	s_cbranch_execz .LBB22_23
; %bb.22:
	s_lshl_b32 s12, s22, 4
	s_ashr_i32 s13, s12, 31
	s_lshl_b64 s[12:13], s[12:13], 4
	v_mov_b32_e32 v9, s13
	v_add_co_u32_e32 v8, vcc, s12, v4
	v_addc_co_u32_e32 v9, vcc, v5, v9, vcc
	global_load_dwordx4 v[15:18], v[8:9], off
	s_movk_i32 s12, 0x2100
	v_add3_u32 v8, v6, v14, s12
	s_waitcnt vmcnt(0)
	ds_write2_b64 v8, v[15:16], v[17:18] offset1:1
.LBB22_23:
	s_or_b64 exec, exec, s[10:11]
	v_add_u32_e32 v8, 24, v13
	v_cmp_le_i32_e32 vcc, s18, v8
	s_and_saveexec_b64 s[10:11], vcc
	s_xor_b64 s[10:11], exec, s[10:11]
; %bb.24:
	v_mov_b32_e32 v15, 0
	v_mov_b32_e32 v16, v15
	;; [unrolled: 1-line block ×4, first 2 shown]
	ds_write_b128 v7, v[15:18] offset:12672
                                        ; implicit-def: $vgpr6
; %bb.25:
	s_andn2_saveexec_b64 s[10:11], s[10:11]
	s_cbranch_execz .LBB22_27
; %bb.26:
	s_mul_i32 s12, s22, 24
	s_ashr_i32 s13, s12, 31
	s_lshl_b64 s[12:13], s[12:13], 4
	v_mov_b32_e32 v8, s13
	v_add_co_u32_e32 v7, vcc, s12, v4
	v_addc_co_u32_e32 v8, vcc, v5, v8, vcc
	global_load_dwordx4 v[15:18], v[7:8], off
	s_movk_i32 s12, 0x3180
	v_add3_u32 v6, v6, v14, s12
	s_waitcnt vmcnt(0)
	ds_write2_b64 v6, v[15:16], v[17:18] offset1:1
.LBB22_27:
	s_or_b64 exec, exec, s[10:11]
	v_add_co_u32_e32 v4, vcc, v4, v14
	v_addc_co_u32_e32 v5, vcc, 0, v5, vcc
	v_mov_b32_e32 v6, s9
	v_subrev_co_u32_e32 v4, vcc, s8, v4
	v_subb_co_u32_e32 v5, vcc, v5, v6, vcc
	v_add_co_u32_e32 v4, vcc, 16, v4
	v_addc_co_u32_e32 v5, vcc, 0, v5, vcc
	v_cndmask_b32_e64 v7, v5, v3, s[2:3]
	v_cndmask_b32_e64 v6, v4, v2, s[2:3]
	s_branch .LBB22_30
.LBB22_28:
                                        ; implicit-def: $vgpr6_vgpr7
	s_cbranch_execz .LBB22_30
; %bb.29:
	s_lshl_b32 s2, s22, 3
	s_ashr_i32 s3, s2, 31
	s_lshl_b64 s[2:3], s[2:3], 4
	v_mov_b32_e32 v4, s3
	v_add_co_u32_e32 v8, vcc, s2, v2
	s_ashr_i32 s23, s22, 31
	v_addc_co_u32_e32 v9, vcc, v3, v4, vcc
	s_lshl_b64 s[2:3], s[22:23], 7
	global_load_dwordx4 v[4:7], v[2:3], off
	global_load_dwordx4 v[15:18], v[8:9], off
	v_mov_b32_e32 v12, s3
	v_add_co_u32_e32 v8, vcc, s2, v8
	v_addc_co_u32_e32 v9, vcc, v9, v12, vcc
	v_add_co_u32_e32 v11, vcc, s2, v8
	v_addc_co_u32_e32 v12, vcc, v9, v12, vcc
	global_load_dwordx4 v[19:22], v[8:9], off
	global_load_dwordx4 v[23:26], v[11:12], off
	v_mul_u32_u24_e32 v8, 0x210, v13
	v_lshl_add_u32 v8, v10, 4, v8
	v_add_u32_e32 v9, 0x1080, v8
	v_add_u32_e32 v11, 0x2100, v8
	;; [unrolled: 1-line block ×3, first 2 shown]
	s_waitcnt vmcnt(3)
	ds_write2_b64 v8, v[4:5], v[6:7] offset1:1
	s_waitcnt vmcnt(2)
	ds_write2_b64 v9, v[15:16], v[17:18] offset1:1
	;; [unrolled: 2-line block ×4, first 2 shown]
	v_mov_b32_e32 v7, v3
	v_mov_b32_e32 v6, v2
.LBB22_30:
	v_lshlrev_b32_e32 v17, 2, v13
	v_mul_u32_u24_e32 v15, 0x210, v10
	v_cmp_le_u32_e64 s[16:17], v17, v10
	s_mov_b64 s[2:3], 0
	s_waitcnt lgkmcnt(0)
	s_barrier
                                        ; implicit-def: $vgpr2
	s_and_saveexec_b64 s[8:9], s[16:17]
	s_xor_b64 s[8:9], exec, s[8:9]
	s_cbranch_execz .LBB22_34
; %bb.31:
	v_cmp_eq_u32_e32 vcc, v17, v10
                                        ; implicit-def: $vgpr2
	s_and_saveexec_b64 s[10:11], vcc
	s_xor_b64 s[10:11], exec, s[10:11]
; %bb.32:
	s_mov_b64 s[2:3], exec
	v_add_u32_e32 v2, v14, v15
; %bb.33:
	s_or_b64 exec, exec, s[10:11]
	s_and_b64 s[2:3], s[2:3], exec
.LBB22_34:
	s_or_saveexec_b64 s[8:9], s[8:9]
	v_lshl_or_b32 v3, v10, 9, v14
	v_mov_b32_e32 v4, 0
	v_mov_b32_e32 v5, 0
	v_lshl_add_u32 v8, v17, 4, v3
	s_xor_b64 exec, exec, s[8:9]
	s_cbranch_execz .LBB22_36
; %bb.35:
	s_movk_i32 s10, 0x840
	v_mad_u32_u24 v2, v13, s10, v14
	ds_read_b128 v[2:5], v2
	s_or_b64 s[2:3], s[2:3], exec
	s_waitcnt lgkmcnt(0)
	v_xor_b32_e32 v5, 0x80000000, v5
	ds_write_b64 v8, v[2:3]
	v_mov_b32_e32 v2, v8
.LBB22_36:
	s_or_b64 exec, exec, s[8:9]
	s_and_saveexec_b64 s[8:9], s[2:3]
; %bb.37:
	ds_write_b64 v2, v[4:5] offset:8
; %bb.38:
	s_or_b64 exec, exec, s[8:9]
	v_or_b32_e32 v18, 1, v17
	v_cmp_ge_u32_e64 s[8:9], v17, v10
	s_mov_b64 s[2:3], 0
                                        ; implicit-def: $vgpr4_vgpr5
                                        ; implicit-def: $vgpr9
	s_and_saveexec_b64 s[10:11], s[8:9]
	s_xor_b64 s[10:11], exec, s[10:11]
	s_cbranch_execnz .LBB22_78
; %bb.39:
	s_andn2_saveexec_b64 s[10:11], s[10:11]
	s_cbranch_execnz .LBB22_79
.LBB22_40:
	s_or_b64 exec, exec, s[10:11]
	s_and_saveexec_b64 s[10:11], s[2:3]
.LBB22_41:
	ds_write_b64 v9, v[4:5] offset:8
.LBB22_42:
	s_or_b64 exec, exec, s[10:11]
	v_or_b32_e32 v19, 2, v17
	v_cmp_le_u32_e64 s[10:11], v19, v10
	s_mov_b64 s[2:3], 0
                                        ; implicit-def: $vgpr9
	s_and_saveexec_b64 s[12:13], s[10:11]
	s_xor_b64 s[12:13], exec, s[12:13]
	s_cbranch_execz .LBB22_46
; %bb.43:
	v_cmp_eq_u32_e32 vcc, v19, v10
                                        ; implicit-def: $vgpr9
	s_and_saveexec_b64 s[14:15], vcc
; %bb.44:
	s_mov_b64 s[2:3], exec
	v_add_u32_e32 v9, v14, v15
; %bb.45:
	s_or_b64 exec, exec, s[14:15]
	s_and_b64 s[2:3], s[2:3], exec
.LBB22_46:
	s_or_saveexec_b64 s[12:13], s[12:13]
	v_mov_b32_e32 v4, 0
	v_mov_b32_e32 v5, 0
	s_xor_b64 exec, exec, s[12:13]
	s_cbranch_execz .LBB22_48
; %bb.47:
	s_movk_i32 s14, 0x210
	v_mad_u32_u24 v2, v19, s14, v14
	ds_read_b128 v[2:5], v2
	v_add_u32_e32 v9, 32, v8
	s_or_b64 s[2:3], s[2:3], exec
	s_waitcnt lgkmcnt(0)
	v_xor_b32_e32 v5, 0x80000000, v5
	ds_write_b64 v8, v[2:3] offset:32
.LBB22_48:
	s_or_b64 exec, exec, s[12:13]
	s_and_saveexec_b64 s[12:13], s[2:3]
; %bb.49:
	ds_write_b64 v9, v[4:5] offset:8
; %bb.50:
	s_or_b64 exec, exec, s[12:13]
	v_or_b32_e32 v20, 3, v17
	v_cmp_le_u32_e64 s[12:13], v20, v10
	s_mov_b64 s[2:3], 0
                                        ; implicit-def: $vgpr9
	s_and_saveexec_b64 s[14:15], s[12:13]
	s_xor_b64 s[14:15], exec, s[14:15]
	s_cbranch_execz .LBB22_54
; %bb.51:
	v_cmp_eq_u32_e32 vcc, v20, v10
                                        ; implicit-def: $vgpr9
	s_and_saveexec_b64 s[26:27], vcc
; %bb.52:
	s_mov_b64 s[2:3], exec
	v_add_u32_e32 v9, v14, v15
; %bb.53:
	s_or_b64 exec, exec, s[26:27]
	s_and_b64 s[2:3], s[2:3], exec
                                        ; implicit-def: $vgpr8
.LBB22_54:
	s_or_saveexec_b64 s[14:15], s[14:15]
	v_mov_b32_e32 v4, 0
	v_mov_b32_e32 v5, 0
	s_xor_b64 exec, exec, s[14:15]
	s_cbranch_execz .LBB22_56
; %bb.55:
	s_movk_i32 s19, 0x210
	v_mad_u32_u24 v2, v20, s19, v14
	ds_read_b128 v[2:5], v2
	v_add_u32_e32 v9, 48, v8
	s_or_b64 s[2:3], s[2:3], exec
	s_waitcnt lgkmcnt(0)
	v_xor_b32_e32 v5, 0x80000000, v5
	ds_write_b64 v8, v[2:3] offset:48
.LBB22_56:
	s_or_b64 exec, exec, s[14:15]
	s_and_saveexec_b64 s[14:15], s[2:3]
; %bb.57:
	ds_write_b64 v9, v[4:5] offset:8
; %bb.58:
	s_or_b64 exec, exec, s[14:15]
	s_movk_i32 s2, 0x840
	v_lshlrev_b32_e32 v21, 4, v17
	s_waitcnt lgkmcnt(0)
	s_barrier
	v_mad_u32_u24 v8, v13, s2, v14
	ds_read_b128 v[2:5], v21 offset:18176
	ds_read_b128 v[22:25], v8
	ds_read_b128 v[26:29], v21 offset:18192
	s_movk_i32 s2, 0x210
	v_mad_u32_u24 v16, v18, s2, v14
	ds_read_b128 v[30:33], v16
	ds_read_b128 v[45:48], v16 offset:528
	s_waitcnt lgkmcnt(3)
	v_mul_f64 v[8:9], v[4:5], v[24:25]
	v_mul_f64 v[11:12], v[2:3], v[24:25]
	ds_read_b128 v[34:37], v21 offset:18208
	s_waitcnt lgkmcnt(2)
	v_mul_f64 v[42:43], v[28:29], v[32:33]
	v_mul_f64 v[32:33], v[26:27], v[32:33]
	v_cmp_gt_u32_e64 s[2:3], 32, v44
	v_fma_f64 v[8:9], v[2:3], v[22:23], -v[8:9]
	v_fma_f64 v[11:12], v[4:5], v[22:23], v[11:12]
	ds_read_b128 v[2:5], v21 offset:18224
	ds_read_b128 v[22:25], v16 offset:1056
	v_fma_f64 v[26:27], v[26:27], v[30:31], -v[42:43]
	s_waitcnt lgkmcnt(2)
	v_mul_f64 v[42:43], v[36:37], v[47:48]
	v_fma_f64 v[28:29], v[28:29], v[30:31], v[32:33]
	v_mul_f64 v[30:31], v[34:35], v[47:48]
	s_waitcnt lgkmcnt(0)
	v_mul_f64 v[32:33], v[4:5], v[24:25]
	v_add_f64 v[8:9], v[8:9], 0
	v_add_f64 v[11:12], v[11:12], 0
	v_mul_f64 v[24:25], v[2:3], v[24:25]
	v_fma_f64 v[34:35], v[34:35], v[45:46], -v[42:43]
	s_barrier
	v_add_f64 v[8:9], v[8:9], v[26:27]
	v_fma_f64 v[26:27], v[36:37], v[45:46], v[30:31]
	v_add_f64 v[11:12], v[11:12], v[28:29]
	v_fma_f64 v[28:29], v[2:3], v[22:23], -v[32:33]
	v_fma_f64 v[4:5], v[4:5], v[22:23], v[24:25]
	v_mov_b32_e32 v2, 0
	v_mov_b32_e32 v3, 0
	v_add_f64 v[8:9], v[8:9], v[34:35]
	v_add_f64 v[11:12], v[11:12], v[26:27]
	;; [unrolled: 1-line block ×3, first 2 shown]
	v_mul_u32_u24_e32 v8, 33, v10
	v_add_f64 v[24:25], v[11:12], v[4:5]
	v_mov_b32_e32 v4, 0
	v_lshlrev_b32_e32 v45, 4, v8
	v_mov_b32_e32 v5, 0
	v_lshl_add_u32 v46, v13, 4, v45
	ds_write_b128 v46, v[22:25]
	s_waitcnt lgkmcnt(0)
	s_barrier
	s_and_saveexec_b64 s[14:15], s[2:3]
	s_cbranch_execz .LBB22_60
; %bb.59:
	ds_read_b128 v[2:5], v45
	ds_read_b128 v[22:25], v45 offset:16
	s_waitcnt lgkmcnt(0)
	v_add_f64 v[8:9], v[22:23], v[2:3]
	v_add_f64 v[11:12], v[24:25], v[4:5]
	ds_read_b128 v[2:5], v45 offset:32
	ds_read_b128 v[22:25], v45 offset:48
	s_waitcnt lgkmcnt(1)
	v_add_f64 v[2:3], v[8:9], v[2:3]
	v_add_f64 v[4:5], v[11:12], v[4:5]
	s_waitcnt lgkmcnt(0)
	v_add_f64 v[8:9], v[2:3], v[22:23]
	v_add_f64 v[11:12], v[4:5], v[24:25]
	ds_read_b128 v[2:5], v45 offset:64
	ds_read_b128 v[22:25], v45 offset:80
	s_waitcnt lgkmcnt(1)
	v_add_f64 v[2:3], v[8:9], v[2:3]
	v_add_f64 v[4:5], v[11:12], v[4:5]
	;; [unrolled: 8-line block ×3, first 2 shown]
	s_waitcnt lgkmcnt(0)
	v_add_f64 v[2:3], v[2:3], v[22:23]
	v_add_f64 v[4:5], v[4:5], v[24:25]
.LBB22_60:
	s_or_b64 exec, exec, s[14:15]
	s_lshl_b32 s30, s22, 5
	s_ashr_i32 s31, s30, 31
	s_lshl_b64 s[26:27], s[30:31], 4
	v_mov_b32_e32 v8, s27
	v_add_co_u32_e32 v16, vcc, s26, v6
	v_addc_co_u32_e32 v22, vcc, v7, v8, vcc
	v_add_co_u32_e32 v6, vcc, 0x200, v16
	v_addc_co_u32_e32 v7, vcc, 0, v22, vcc
	s_and_b64 vcc, exec, s[28:29]
	s_barrier
	s_cbranch_vccz .LBB22_82
; %bb.61:
	v_sub_co_u32_e32 v9, vcc, v16, v14
	s_ashr_i32 s19, s18, 31
	v_subbrev_co_u32_e32 v11, vcc, 0, v22, vcc
	s_lshl_b64 s[34:35], s[18:19], 4
	v_mov_b32_e32 v12, s35
	v_add_co_u32_e32 v9, vcc, s34, v9
	v_addc_co_u32_e32 v11, vcc, v11, v12, vcc
	v_or_b32_e32 v8, 32, v10
	v_add_co_u32_e32 v12, vcc, -16, v9
	v_addc_co_u32_e32 v9, vcc, -1, v11, vcc
	v_cmp_gt_i32_e64 s[14:15], s18, v8
	s_sub_i32 s19, s18, 32
	s_movk_i32 s23, 0x210
	v_cndmask_b32_e64 v9, v9, v7, s[14:15]
	v_cndmask_b32_e64 v8, v12, v6, s[14:15]
	v_cmp_le_i32_e32 vcc, s19, v13
	v_mad_u32_u24 v12, v13, s23, v14
	s_and_saveexec_b64 s[36:37], vcc
	s_xor_b64 s[36:37], exec, s[36:37]
; %bb.62:
	v_mov_b32_e32 v23, 0
	v_mov_b32_e32 v24, v23
	;; [unrolled: 1-line block ×4, first 2 shown]
	ds_write_b128 v12, v[23:26]
                                        ; implicit-def: $vgpr12
; %bb.63:
	s_or_saveexec_b64 s[36:37], s[36:37]
	v_mul_u32_u24_e32 v11, 0x210, v13
	s_xor_b64 exec, exec, s[36:37]
	s_cbranch_execz .LBB22_65
; %bb.64:
	global_load_dwordx4 v[23:26], v[8:9], off
	s_waitcnt vmcnt(0)
	ds_write2_b64 v12, v[23:24], v[25:26] offset1:1
.LBB22_65:
	s_or_b64 exec, exec, s[36:37]
	v_add_u32_e32 v12, 8, v13
	v_cmp_le_i32_e32 vcc, s19, v12
	v_add_u32_e32 v12, v11, v14
	s_and_saveexec_b64 s[36:37], vcc
	s_xor_b64 s[36:37], exec, s[36:37]
; %bb.66:
	v_mov_b32_e32 v23, 0
	v_mov_b32_e32 v24, v23
	;; [unrolled: 1-line block ×4, first 2 shown]
	ds_write_b128 v12, v[23:26] offset:4224
; %bb.67:
	s_andn2_saveexec_b64 s[36:37], s[36:37]
	s_cbranch_execz .LBB22_69
; %bb.68:
	s_lshl_b32 s42, s22, 3
	s_ashr_i32 s43, s42, 31
	s_lshl_b64 s[42:43], s[42:43], 4
	v_mov_b32_e32 v24, s43
	v_add_co_u32_e32 v23, vcc, s42, v8
	v_addc_co_u32_e32 v24, vcc, v9, v24, vcc
	global_load_dwordx4 v[23:26], v[23:24], off
	s_movk_i32 s23, 0x1080
	v_add3_u32 v27, v11, v14, s23
	s_waitcnt vmcnt(0)
	ds_write2_b64 v27, v[23:24], v[25:26] offset1:1
.LBB22_69:
	s_or_b64 exec, exec, s[36:37]
	v_add_u32_e32 v23, 16, v13
	v_cmp_le_i32_e32 vcc, s19, v23
	s_and_saveexec_b64 s[36:37], vcc
	s_xor_b64 s[36:37], exec, s[36:37]
; %bb.70:
	v_mov_b32_e32 v23, 0
	v_mov_b32_e32 v24, v23
	;; [unrolled: 1-line block ×4, first 2 shown]
	ds_write_b128 v12, v[23:26] offset:8448
; %bb.71:
	s_andn2_saveexec_b64 s[36:37], s[36:37]
	s_cbranch_execz .LBB22_73
; %bb.72:
	s_lshl_b32 s42, s22, 4
	s_ashr_i32 s43, s42, 31
	s_lshl_b64 s[42:43], s[42:43], 4
	v_mov_b32_e32 v24, s43
	v_add_co_u32_e32 v23, vcc, s42, v8
	v_addc_co_u32_e32 v24, vcc, v9, v24, vcc
	global_load_dwordx4 v[23:26], v[23:24], off
	s_movk_i32 s23, 0x2100
	v_add3_u32 v27, v11, v14, s23
	s_waitcnt vmcnt(0)
	ds_write2_b64 v27, v[23:24], v[25:26] offset1:1
.LBB22_73:
	s_or_b64 exec, exec, s[36:37]
	v_add_u32_e32 v23, 24, v13
	v_cmp_le_i32_e32 vcc, s19, v23
	s_and_saveexec_b64 s[36:37], vcc
	s_xor_b64 s[36:37], exec, s[36:37]
; %bb.74:
	v_mov_b32_e32 v23, 0
	v_mov_b32_e32 v24, v23
	;; [unrolled: 1-line block ×4, first 2 shown]
	ds_write_b128 v12, v[23:26] offset:12672
                                        ; implicit-def: $vgpr11
; %bb.75:
	s_andn2_saveexec_b64 s[36:37], s[36:37]
	s_cbranch_execz .LBB22_77
; %bb.76:
	s_mul_i32 s42, s22, 24
	s_ashr_i32 s43, s42, 31
	s_lshl_b64 s[42:43], s[42:43], 4
	v_mov_b32_e32 v12, s43
	v_add_co_u32_e32 v23, vcc, s42, v8
	v_addc_co_u32_e32 v24, vcc, v9, v12, vcc
	global_load_dwordx4 v[23:26], v[23:24], off
	s_movk_i32 s19, 0x3180
	v_add3_u32 v11, v11, v14, s19
	s_waitcnt vmcnt(0)
	ds_write2_b64 v11, v[23:24], v[25:26] offset1:1
.LBB22_77:
	s_or_b64 exec, exec, s[36:37]
	v_add_co_u32_e32 v8, vcc, v8, v14
	v_addc_co_u32_e32 v9, vcc, 0, v9, vcc
	v_mov_b32_e32 v11, s35
	v_subrev_co_u32_e32 v8, vcc, s34, v8
	v_subb_co_u32_e32 v9, vcc, v9, v11, vcc
	v_add_co_u32_e32 v8, vcc, 0x210, v8
	v_addc_co_u32_e32 v9, vcc, 0, v9, vcc
	v_cndmask_b32_e64 v12, v9, v7, s[14:15]
	v_cndmask_b32_e64 v11, v8, v6, s[14:15]
	s_branch .LBB22_84
.LBB22_78:
	s_movk_i32 s12, 0x210
	v_mad_u32_u24 v2, v18, s12, v14
	ds_read_b128 v[2:5], v2
	s_mov_b64 s[2:3], exec
	v_add_u32_e32 v9, 16, v8
	s_waitcnt lgkmcnt(0)
	v_xor_b32_e32 v5, 0x80000000, v5
	ds_write_b64 v8, v[2:3] offset:16
	s_andn2_saveexec_b64 s[10:11], s[10:11]
	s_cbranch_execz .LBB22_40
.LBB22_79:
	v_cmp_eq_u32_e32 vcc, v18, v10
	s_mov_b64 s[12:13], s[2:3]
                                        ; implicit-def: $vgpr9
	s_and_saveexec_b64 s[14:15], vcc
; %bb.80:
	v_add_u32_e32 v9, v14, v15
	s_or_b64 s[12:13], s[2:3], exec
; %bb.81:
	s_or_b64 exec, exec, s[14:15]
	v_mov_b32_e32 v4, 0
	s_andn2_b64 s[2:3], s[2:3], exec
	s_and_b64 s[12:13], s[12:13], exec
	v_mov_b32_e32 v5, 0
	s_or_b64 s[2:3], s[2:3], s[12:13]
	s_or_b64 exec, exec, s[10:11]
	s_and_saveexec_b64 s[10:11], s[2:3]
	s_cbranch_execnz .LBB22_41
	s_branch .LBB22_42
.LBB22_82:
                                        ; implicit-def: $vgpr11_vgpr12
	s_cbranch_execz .LBB22_84
; %bb.83:
	s_lshl_b32 s14, s22, 3
	s_ashr_i32 s15, s14, 31
	s_lshl_b64 s[14:15], s[14:15], 4
	v_mov_b32_e32 v9, s15
	v_add_co_u32_e32 v8, vcc, s14, v16
	s_ashr_i32 s23, s22, 31
	v_addc_co_u32_e32 v9, vcc, v22, v9, vcc
	s_lshl_b64 s[14:15], s[22:23], 7
	global_load_dwordx4 v[22:25], v[6:7], off
	global_load_dwordx4 v[26:29], v[8:9], off offset:512
	v_mov_b32_e32 v12, s15
	v_add_co_u32_e32 v8, vcc, s14, v8
	v_addc_co_u32_e32 v9, vcc, v9, v12, vcc
	v_add_co_u32_e32 v11, vcc, s14, v8
	v_addc_co_u32_e32 v12, vcc, v9, v12, vcc
	global_load_dwordx4 v[30:33], v[8:9], off offset:512
	global_load_dwordx4 v[34:37], v[11:12], off offset:512
	s_movk_i32 s14, 0x210
	v_mad_u32_u24 v8, v13, s14, v14
	v_add_u32_e32 v11, 0x2100, v8
	v_add_u32_e32 v12, 0x3180, v8
	;; [unrolled: 1-line block ×3, first 2 shown]
	s_waitcnt vmcnt(3)
	ds_write2_b64 v8, v[22:23], v[24:25] offset1:1
	s_waitcnt vmcnt(2)
	ds_write2_b64 v9, v[26:27], v[28:29] offset1:1
	;; [unrolled: 2-line block ×4, first 2 shown]
	v_mov_b32_e32 v12, v7
	v_mov_b32_e32 v11, v6
.LBB22_84:
	v_mul_u32_u24_e32 v7, 0x840, v13
	s_mov_b64 s[14:15], 0
	s_waitcnt lgkmcnt(0)
	s_barrier
                                        ; implicit-def: $vgpr6
	s_and_saveexec_b64 s[34:35], s[16:17]
	s_xor_b64 s[16:17], exec, s[34:35]
	s_cbranch_execz .LBB22_88
; %bb.85:
	v_cmp_eq_u32_e32 vcc, v17, v10
                                        ; implicit-def: $vgpr6
	s_and_saveexec_b64 s[34:35], vcc
	s_xor_b64 s[34:35], exec, s[34:35]
; %bb.86:
	s_mov_b64 s[14:15], exec
	v_add_u32_e32 v6, v14, v15
; %bb.87:
	s_or_b64 exec, exec, s[34:35]
	s_and_b64 s[14:15], s[14:15], exec
.LBB22_88:
	s_or_saveexec_b64 s[16:17], s[16:17]
	v_mov_b32_e32 v8, 0
	v_mov_b32_e32 v9, 0
	v_add_u32_e32 v16, v14, v7
	v_lshl_add_u32 v22, v17, 4, v45
	s_xor_b64 exec, exec, s[16:17]
	s_cbranch_execz .LBB22_90
; %bb.89:
	ds_read_b128 v[6:9], v16
	s_or_b64 s[14:15], s[14:15], exec
	s_waitcnt lgkmcnt(0)
	v_xor_b32_e32 v9, 0x80000000, v9
	ds_write_b64 v22, v[6:7]
	v_mov_b32_e32 v6, v22
.LBB22_90:
	s_or_b64 exec, exec, s[16:17]
	v_mul_u32_u24_e32 v7, 0x210, v18
	s_and_saveexec_b64 s[16:17], s[14:15]
; %bb.91:
	ds_write_b64 v6, v[8:9] offset:8
; %bb.92:
	s_or_b64 exec, exec, s[16:17]
	s_mov_b64 s[14:15], 0
	v_add_u32_e32 v17, v14, v7
                                        ; implicit-def: $vgpr8_vgpr9
                                        ; implicit-def: $vgpr23
	s_and_saveexec_b64 s[16:17], s[8:9]
	s_xor_b64 s[8:9], exec, s[16:17]
	s_cbranch_execnz .LBB22_132
; %bb.93:
	s_andn2_saveexec_b64 s[8:9], s[8:9]
	s_cbranch_execnz .LBB22_133
.LBB22_94:
	s_or_b64 exec, exec, s[8:9]
	s_and_saveexec_b64 s[8:9], s[14:15]
.LBB22_95:
	ds_write_b64 v23, v[8:9] offset:8
.LBB22_96:
	s_or_b64 exec, exec, s[8:9]
	s_mov_b64 s[8:9], 0
                                        ; implicit-def: $vgpr18
	s_and_saveexec_b64 s[14:15], s[10:11]
	s_xor_b64 s[10:11], exec, s[14:15]
	s_cbranch_execz .LBB22_100
; %bb.97:
	v_cmp_eq_u32_e32 vcc, v19, v10
                                        ; implicit-def: $vgpr18
	s_and_saveexec_b64 s[14:15], vcc
; %bb.98:
	s_mov_b64 s[8:9], exec
	v_add_u32_e32 v18, v14, v15
; %bb.99:
	s_or_b64 exec, exec, s[14:15]
	s_and_b64 s[8:9], s[8:9], exec
.LBB22_100:
	s_or_saveexec_b64 s[10:11], s[10:11]
	v_mov_b32_e32 v8, 0
	v_mov_b32_e32 v9, 0
	s_xor_b64 exec, exec, s[10:11]
	s_cbranch_execz .LBB22_102
; %bb.101:
	ds_read_b128 v[6:9], v17 offset:528
	v_add_u32_e32 v18, 32, v22
	s_or_b64 s[8:9], s[8:9], exec
	s_waitcnt lgkmcnt(0)
	v_xor_b32_e32 v9, 0x80000000, v9
	ds_write_b64 v22, v[6:7] offset:32
.LBB22_102:
	s_or_b64 exec, exec, s[10:11]
	s_and_saveexec_b64 s[10:11], s[8:9]
; %bb.103:
	ds_write_b64 v18, v[8:9] offset:8
; %bb.104:
	s_or_b64 exec, exec, s[10:11]
	s_mov_b64 s[8:9], 0
                                        ; implicit-def: $vgpr18
	s_and_saveexec_b64 s[10:11], s[12:13]
	s_xor_b64 s[10:11], exec, s[10:11]
	s_cbranch_execz .LBB22_108
; %bb.105:
	v_cmp_eq_u32_e32 vcc, v20, v10
                                        ; implicit-def: $vgpr18
	s_and_saveexec_b64 s[12:13], vcc
; %bb.106:
	s_mov_b64 s[8:9], exec
	v_add_u32_e32 v18, v14, v15
; %bb.107:
	s_or_b64 exec, exec, s[12:13]
	s_and_b64 s[8:9], s[8:9], exec
                                        ; implicit-def: $vgpr22
.LBB22_108:
	s_or_saveexec_b64 s[10:11], s[10:11]
	v_mov_b32_e32 v8, 0
	v_mov_b32_e32 v9, 0
	s_xor_b64 exec, exec, s[10:11]
	s_cbranch_execz .LBB22_110
; %bb.109:
	ds_read_b128 v[6:9], v17 offset:1056
	v_add_u32_e32 v18, 48, v22
	s_or_b64 s[8:9], s[8:9], exec
	s_waitcnt lgkmcnt(0)
	v_xor_b32_e32 v9, 0x80000000, v9
	ds_write_b64 v22, v[6:7] offset:48
.LBB22_110:
	s_or_b64 exec, exec, s[10:11]
	v_add_u32_e32 v15, 0x4700, v21
	s_and_saveexec_b64 s[10:11], s[8:9]
; %bb.111:
	ds_write_b64 v18, v[8:9] offset:8
; %bb.112:
	s_or_b64 exec, exec, s[10:11]
	s_waitcnt lgkmcnt(0)
	s_barrier
	ds_read_b128 v[6:9], v16
	ds_read_b128 v[18:21], v15 offset:512
	ds_read_b128 v[22:25], v15 offset:528
	ds_read_b128 v[26:29], v17 offset:1056
	ds_read_b128 v[30:33], v17
	ds_read_b128 v[34:37], v15 offset:544
	ds_read_b128 v[47:50], v17 offset:528
	v_cmp_eq_u32_e64 s[8:9], 1, v13
	s_waitcnt lgkmcnt(5)
	v_mul_f64 v[42:43], v[20:21], v[8:9]
	v_mul_f64 v[8:9], v[18:19], v[8:9]
	s_waitcnt lgkmcnt(2)
	v_mul_f64 v[51:52], v[24:25], v[32:33]
	v_mul_f64 v[32:33], v[22:23], v[32:33]
	v_fma_f64 v[18:19], v[18:19], v[6:7], -v[42:43]
	v_fma_f64 v[20:21], v[20:21], v[6:7], v[8:9]
	s_waitcnt lgkmcnt(0)
	v_mul_f64 v[42:43], v[36:37], v[49:50]
	v_mul_f64 v[49:50], v[34:35], v[49:50]
	v_fma_f64 v[22:23], v[22:23], v[30:31], -v[51:52]
	v_fma_f64 v[24:25], v[24:25], v[30:31], v[32:33]
	ds_read_b128 v[6:9], v15 offset:560
	s_waitcnt lgkmcnt(0)
	v_add_f64 v[18:19], v[18:19], 0
	v_add_f64 v[20:21], v[20:21], 0
	v_fma_f64 v[32:33], v[34:35], v[47:48], -v[42:43]
	v_mul_f64 v[30:31], v[8:9], v[28:29]
	v_mul_f64 v[28:29], v[6:7], v[28:29]
	v_fma_f64 v[34:35], v[36:37], v[47:48], v[49:50]
	s_barrier
	v_add_f64 v[18:19], v[18:19], v[22:23]
	v_add_f64 v[20:21], v[20:21], v[24:25]
	v_fma_f64 v[6:7], v[6:7], v[26:27], -v[30:31]
	v_fma_f64 v[8:9], v[8:9], v[26:27], v[28:29]
	v_add_f64 v[18:19], v[18:19], v[32:33]
	v_add_f64 v[20:21], v[20:21], v[34:35]
	;; [unrolled: 1-line block ×4, first 2 shown]
	ds_write_b128 v46, v[6:9]
	s_waitcnt lgkmcnt(0)
	s_barrier
	s_and_saveexec_b64 s[10:11], s[8:9]
	s_cbranch_execz .LBB22_114
; %bb.113:
	ds_read_b128 v[2:5], v45
	ds_read_b128 v[6:9], v45 offset:16
	s_waitcnt lgkmcnt(0)
	v_add_f64 v[18:19], v[6:7], v[2:3]
	v_add_f64 v[20:21], v[8:9], v[4:5]
	ds_read_b128 v[2:5], v45 offset:32
	ds_read_b128 v[6:9], v45 offset:48
	s_waitcnt lgkmcnt(1)
	v_add_f64 v[2:3], v[18:19], v[2:3]
	v_add_f64 v[4:5], v[20:21], v[4:5]
	s_waitcnt lgkmcnt(0)
	v_add_f64 v[18:19], v[2:3], v[6:7]
	v_add_f64 v[20:21], v[4:5], v[8:9]
	ds_read_b128 v[2:5], v45 offset:64
	ds_read_b128 v[6:9], v45 offset:80
	s_waitcnt lgkmcnt(1)
	v_add_f64 v[2:3], v[18:19], v[2:3]
	v_add_f64 v[4:5], v[20:21], v[4:5]
	;; [unrolled: 8-line block ×3, first 2 shown]
	s_waitcnt lgkmcnt(0)
	v_add_f64 v[2:3], v[2:3], v[6:7]
	v_add_f64 v[4:5], v[4:5], v[8:9]
.LBB22_114:
	s_or_b64 exec, exec, s[10:11]
	v_add_co_u32_e32 v6, vcc, 0xfffffe00, v11
	v_addc_co_u32_e32 v7, vcc, -1, v12, vcc
	s_and_b64 vcc, exec, s[28:29]
	s_barrier
	s_cbranch_vccz .LBB22_136
; %bb.115:
	v_sub_co_u32_e32 v8, vcc, v11, v14
	s_ashr_i32 s19, s18, 31
	v_subbrev_co_u32_e32 v9, vcc, 0, v12, vcc
	s_lshl_b64 s[12:13], s[18:19], 4
	v_mov_b32_e32 v18, s13
	v_add_co_u32_e32 v8, vcc, s12, v8
	v_addc_co_u32_e32 v9, vcc, v9, v18, vcc
	v_add_co_u32_e32 v8, vcc, 0xfffffdf0, v8
	v_addc_co_u32_e32 v9, vcc, -1, v9, vcc
	v_cmp_gt_i32_e32 vcc, s18, v10
	s_sub_i32 s16, s18, 32
	s_movk_i32 s14, 0x210
	v_cndmask_b32_e32 v9, v9, v7, vcc
	v_cndmask_b32_e32 v8, v8, v6, vcc
	v_cmp_le_i32_e64 s[10:11], s16, v13
	v_mad_u32_u24 v10, v13, s14, v14
	s_and_saveexec_b64 s[14:15], s[10:11]
	s_xor_b64 s[10:11], exec, s[14:15]
; %bb.116:
	v_mov_b32_e32 v18, 0
	v_mov_b32_e32 v19, v18
	;; [unrolled: 1-line block ×4, first 2 shown]
	ds_write_b128 v10, v[18:21]
                                        ; implicit-def: $vgpr10
; %bb.117:
	s_or_saveexec_b64 s[10:11], s[10:11]
	v_mul_u32_u24_e32 v20, 0x210, v13
	s_xor_b64 exec, exec, s[10:11]
	s_cbranch_execz .LBB22_119
; %bb.118:
	global_load_dwordx4 v[21:24], v[8:9], off
	s_waitcnt vmcnt(0)
	ds_write2_b64 v10, v[21:22], v[23:24] offset1:1
.LBB22_119:
	s_or_b64 exec, exec, s[10:11]
	v_add_u32_e32 v10, 8, v13
	v_cmp_le_i32_e64 s[10:11], s16, v10
	v_add_u32_e32 v21, v20, v14
	s_and_saveexec_b64 s[14:15], s[10:11]
	s_xor_b64 s[10:11], exec, s[14:15]
; %bb.120:
	v_mov_b32_e32 v22, 0
	v_mov_b32_e32 v23, v22
	;; [unrolled: 1-line block ×4, first 2 shown]
	ds_write_b128 v21, v[22:25] offset:4224
; %bb.121:
	s_andn2_saveexec_b64 s[14:15], s[10:11]
	s_cbranch_execz .LBB22_123
; %bb.122:
	s_lshl_b32 s10, s22, 3
	s_ashr_i32 s11, s10, 31
	s_lshl_b64 s[10:11], s[10:11], 4
	v_mov_b32_e32 v19, s11
	v_add_co_u32_e64 v18, s[10:11], s10, v8
	v_addc_co_u32_e64 v19, s[10:11], v9, v19, s[10:11]
	global_load_dwordx4 v[22:25], v[18:19], off
	s_movk_i32 s10, 0x1080
	v_add3_u32 v18, v20, v14, s10
	s_waitcnt vmcnt(0)
	ds_write2_b64 v18, v[22:23], v[24:25] offset1:1
.LBB22_123:
	s_or_b64 exec, exec, s[14:15]
	v_add_u32_e32 v19, 16, v13
	v_cmp_le_i32_e64 s[10:11], s16, v19
	s_and_saveexec_b64 s[14:15], s[10:11]
	s_xor_b64 s[10:11], exec, s[14:15]
; %bb.124:
	v_mov_b32_e32 v22, 0
	v_mov_b32_e32 v23, v22
	;; [unrolled: 1-line block ×4, first 2 shown]
	ds_write_b128 v21, v[22:25] offset:8448
; %bb.125:
	s_andn2_saveexec_b64 s[14:15], s[10:11]
	s_cbranch_execz .LBB22_127
; %bb.126:
	s_lshl_b32 s10, s22, 4
	s_ashr_i32 s11, s10, 31
	s_lshl_b64 s[10:11], s[10:11], 4
	v_mov_b32_e32 v18, s11
	v_add_co_u32_e64 v22, s[10:11], s10, v8
	v_addc_co_u32_e64 v23, s[10:11], v9, v18, s[10:11]
	global_load_dwordx4 v[22:25], v[22:23], off
	s_movk_i32 s10, 0x2100
	v_add3_u32 v18, v20, v14, s10
	s_waitcnt vmcnt(0)
	ds_write2_b64 v18, v[22:23], v[24:25] offset1:1
.LBB22_127:
	s_or_b64 exec, exec, s[14:15]
	v_add_u32_e32 v18, 24, v13
	v_cmp_le_i32_e64 s[10:11], s16, v18
	s_and_saveexec_b64 s[14:15], s[10:11]
	s_xor_b64 s[10:11], exec, s[14:15]
; %bb.128:
	v_mov_b32_e32 v22, 0
	v_mov_b32_e32 v23, v22
	v_mov_b32_e32 v24, v22
	v_mov_b32_e32 v25, v22
	ds_write_b128 v21, v[22:25] offset:12672
                                        ; implicit-def: $vgpr20
; %bb.129:
	s_andn2_saveexec_b64 s[14:15], s[10:11]
	s_cbranch_execz .LBB22_131
; %bb.130:
	s_mul_i32 s10, s22, 24
	s_ashr_i32 s11, s10, 31
	s_lshl_b64 s[10:11], s[10:11], 4
	v_mov_b32_e32 v22, s11
	v_add_co_u32_e64 v21, s[10:11], s10, v8
	v_addc_co_u32_e64 v22, s[10:11], v9, v22, s[10:11]
	global_load_dwordx4 v[21:24], v[21:22], off
	s_movk_i32 s10, 0x3180
	v_add3_u32 v20, v20, v14, s10
	s_waitcnt vmcnt(0)
	ds_write2_b64 v20, v[21:22], v[23:24] offset1:1
.LBB22_131:
	s_or_b64 exec, exec, s[14:15]
	v_add_co_u32_e64 v8, s[10:11], v8, v14
	v_addc_co_u32_e64 v9, s[10:11], 0, v9, s[10:11]
	v_mov_b32_e32 v20, s13
	v_subrev_co_u32_e64 v8, s[10:11], s12, v8
	v_subb_co_u32_e64 v9, s[10:11], v9, v20, s[10:11]
	v_add_co_u32_e64 v8, s[10:11], 16, v8
	v_addc_co_u32_e64 v9, s[10:11], 0, v9, s[10:11]
	v_cndmask_b32_e32 v43, v9, v7, vcc
	v_cndmask_b32_e32 v42, v8, v6, vcc
	s_branch .LBB22_138
.LBB22_132:
	ds_read_b128 v[6:9], v17
	s_mov_b64 s[14:15], exec
	v_add_u32_e32 v23, 16, v22
                                        ; implicit-def: $vgpr18
	s_waitcnt lgkmcnt(0)
	v_xor_b32_e32 v9, 0x80000000, v9
	ds_write_b64 v22, v[6:7] offset:16
	s_andn2_saveexec_b64 s[8:9], s[8:9]
	s_cbranch_execz .LBB22_94
.LBB22_133:
	v_cmp_eq_u32_e32 vcc, v18, v10
	s_mov_b64 s[16:17], s[14:15]
                                        ; implicit-def: $vgpr23
	s_and_saveexec_b64 s[34:35], vcc
; %bb.134:
	v_add_u32_e32 v23, v14, v15
	s_or_b64 s[16:17], s[14:15], exec
; %bb.135:
	s_or_b64 exec, exec, s[34:35]
	v_mov_b32_e32 v8, 0
	s_andn2_b64 s[14:15], s[14:15], exec
	s_and_b64 s[16:17], s[16:17], exec
	v_mov_b32_e32 v9, 0
	s_or_b64 s[14:15], s[14:15], s[16:17]
	s_or_b64 exec, exec, s[8:9]
	s_and_saveexec_b64 s[8:9], s[14:15]
	s_cbranch_execnz .LBB22_95
	s_branch .LBB22_96
.LBB22_136:
                                        ; implicit-def: $vgpr42_vgpr43
                                        ; implicit-def: $vgpr10
                                        ; implicit-def: $vgpr19
                                        ; implicit-def: $vgpr18
	s_cbranch_execz .LBB22_138
; %bb.137:
	s_lshl_b32 s10, s22, 3
	s_ashr_i32 s11, s10, 31
	s_lshl_b64 s[10:11], s[10:11], 4
	v_mov_b32_e32 v9, s11
	v_add_co_u32_e32 v8, vcc, s10, v11
	s_ashr_i32 s23, s22, 31
	v_addc_co_u32_e32 v9, vcc, v12, v9, vcc
	s_lshl_b64 s[10:11], s[22:23], 7
	global_load_dwordx4 v[20:23], v[6:7], off
	global_load_dwordx4 v[24:27], v[8:9], off offset:-512
	v_mov_b32_e32 v11, s11
	v_add_co_u32_e32 v8, vcc, s10, v8
	v_addc_co_u32_e32 v9, vcc, v9, v11, vcc
	v_add_co_u32_e32 v10, vcc, s10, v8
	v_addc_co_u32_e32 v11, vcc, v9, v11, vcc
	global_load_dwordx4 v[28:31], v[8:9], off offset:-512
	global_load_dwordx4 v[32:35], v[10:11], off offset:-512
	s_movk_i32 s10, 0x210
	v_mov_b32_e32 v43, v7
	v_add_u32_e32 v10, 8, v13
	v_add_u32_e32 v19, 16, v13
	;; [unrolled: 1-line block ×3, first 2 shown]
	v_mad_u32_u24 v8, v13, s10, v14
	v_mov_b32_e32 v42, v6
	v_add_u32_e32 v9, 0x1080, v8
	v_add_u32_e32 v11, 0x2100, v8
	;; [unrolled: 1-line block ×3, first 2 shown]
	s_waitcnt vmcnt(3)
	ds_write2_b64 v8, v[20:21], v[22:23] offset1:1
	s_waitcnt vmcnt(2)
	ds_write2_b64 v9, v[24:25], v[26:27] offset1:1
	;; [unrolled: 2-line block ×4, first 2 shown]
.LBB22_138:
	v_lshlrev_b32_e32 v11, 4, v13
	v_lshlrev_b32_e32 v10, 4, v10
	v_add_u32_e32 v6, v45, v11
	v_add_u32_e32 v20, v45, v10
	s_waitcnt lgkmcnt(0)
	s_barrier
	ds_read_b128 v[6:9], v6
	ds_read_b128 v[11:14], v11 offset:18176
	ds_read_b128 v[20:23], v20
	ds_read_b128 v[24:27], v10 offset:18176
	v_lshlrev_b32_e32 v10, 4, v19
	v_add_u32_e32 v19, v45, v10
	ds_read_b128 v[28:31], v19
	ds_read_b128 v[32:35], v10 offset:18176
	s_waitcnt lgkmcnt(4)
	v_mul_f64 v[36:37], v[8:9], v[13:14]
	v_mul_f64 v[8:9], v[8:9], v[11:12]
	s_waitcnt lgkmcnt(2)
	v_mul_f64 v[47:48], v[22:23], v[26:27]
	v_mul_f64 v[22:23], v[22:23], v[24:25]
	v_fma_f64 v[10:11], v[6:7], v[11:12], v[36:37]
	s_waitcnt lgkmcnt(0)
	v_mul_f64 v[36:37], v[30:31], v[34:35]
	v_fma_f64 v[24:25], v[20:21], v[24:25], v[47:48]
	v_fma_f64 v[47:48], v[6:7], v[13:14], -v[8:9]
	v_mul_f64 v[30:31], v[30:31], v[32:33]
	v_add_f64 v[49:50], v[10:11], 0
	v_lshlrev_b32_e32 v10, 4, v18
	v_fma_f64 v[18:19], v[20:21], v[26:27], -v[22:23]
	v_add_f64 v[20:21], v[47:48], 0
	v_add_u32_e32 v6, v45, v10
	ds_read_b128 v[6:9], v6
	ds_read_b128 v[10:13], v10 offset:18176
	v_add_f64 v[22:23], v[49:50], v[24:25]
	v_fma_f64 v[24:25], v[28:29], v[32:33], v[36:37]
	s_waitcnt lgkmcnt(0)
	v_mul_f64 v[26:27], v[8:9], v[12:13]
	v_mul_f64 v[8:9], v[8:9], v[10:11]
	v_fma_f64 v[28:29], v[28:29], v[34:35], -v[30:31]
	v_add_f64 v[18:19], v[20:21], v[18:19]
	v_add_f64 v[34:35], v[22:23], v[24:25]
	v_fma_f64 v[20:21], v[6:7], v[10:11], v[26:27]
	v_fma_f64 v[26:27], v[6:7], v[12:13], -v[8:9]
	ds_read_b128 v[30:33], v15 offset:512
	ds_read_b128 v[22:25], v15 offset:528
	;; [unrolled: 1-line block ×4, first 2 shown]
	v_add_f64 v[18:19], v[18:19], v[28:29]
	v_add_f64 v[47:48], v[34:35], v[20:21]
	v_add_f64 v[49:50], v[18:19], v[26:27]
	ds_read_b128 v[26:29], v17
	ds_read_b128 v[18:21], v17 offset:528
	ds_read_b128 v[34:37], v16
	ds_read_b128 v[14:17], v17 offset:1056
	s_waitcnt lgkmcnt(0)
	s_barrier
	ds_write_b128 v46, v[47:50]
	s_waitcnt lgkmcnt(0)
	s_barrier
	s_and_saveexec_b64 s[10:11], s[8:9]
	s_cbranch_execz .LBB22_140
; %bb.139:
	ds_read_b128 v[47:50], v45
	ds_read_b128 v[51:54], v45 offset:16
	s_waitcnt lgkmcnt(1)
	v_add_f64 v[2:3], v[2:3], v[47:48]
	v_add_f64 v[4:5], v[4:5], v[49:50]
	s_waitcnt lgkmcnt(0)
	v_add_f64 v[51:52], v[2:3], v[51:52]
	v_add_f64 v[53:54], v[4:5], v[53:54]
	ds_read_b128 v[2:5], v45 offset:32
	ds_read_b128 v[47:50], v45 offset:48
	s_waitcnt lgkmcnt(1)
	v_add_f64 v[2:3], v[51:52], v[2:3]
	v_add_f64 v[4:5], v[53:54], v[4:5]
	s_waitcnt lgkmcnt(0)
	v_add_f64 v[51:52], v[2:3], v[47:48]
	v_add_f64 v[53:54], v[4:5], v[49:50]
	ds_read_b128 v[2:5], v45 offset:64
	;; [unrolled: 8-line block ×3, first 2 shown]
	ds_read_b128 v[47:50], v45 offset:112
	s_waitcnt lgkmcnt(1)
	v_add_f64 v[2:3], v[51:52], v[2:3]
	v_add_f64 v[4:5], v[53:54], v[4:5]
	s_waitcnt lgkmcnt(0)
	v_add_f64 v[2:3], v[2:3], v[47:48]
	v_add_f64 v[4:5], v[4:5], v[49:50]
.LBB22_140:
	s_or_b64 exec, exec, s[10:11]
	v_mul_f64 v[47:48], v[32:33], v[36:37]
	v_mul_f64 v[36:37], v[30:31], v[36:37]
	;; [unrolled: 1-line block ×4, first 2 shown]
	s_barrier
	v_fma_f64 v[30:31], v[30:31], v[34:35], -v[47:48]
	v_fma_f64 v[32:33], v[32:33], v[34:35], v[36:37]
	v_mul_f64 v[34:35], v[12:13], v[20:21]
	v_mul_f64 v[20:21], v[10:11], v[20:21]
	v_fma_f64 v[22:23], v[22:23], v[26:27], -v[49:50]
	v_fma_f64 v[24:25], v[24:25], v[26:27], v[28:29]
	v_add_f64 v[26:27], v[30:31], 0
	v_add_f64 v[28:29], v[32:33], 0
	v_mul_f64 v[30:31], v[8:9], v[16:17]
	v_mul_f64 v[16:17], v[6:7], v[16:17]
	v_fma_f64 v[10:11], v[10:11], v[18:19], -v[34:35]
	v_fma_f64 v[12:13], v[12:13], v[18:19], v[20:21]
	v_add_f64 v[18:19], v[26:27], v[22:23]
	v_add_f64 v[20:21], v[28:29], v[24:25]
	v_fma_f64 v[6:7], v[6:7], v[14:15], -v[30:31]
	v_fma_f64 v[8:9], v[8:9], v[14:15], v[16:17]
	v_add_f64 v[10:11], v[18:19], v[10:11]
	v_add_f64 v[12:13], v[20:21], v[12:13]
	;; [unrolled: 1-line block ×4, first 2 shown]
	ds_write_b128 v46, v[6:9]
	s_waitcnt lgkmcnt(0)
	s_barrier
	s_and_saveexec_b64 s[8:9], s[2:3]
	s_cbranch_execz .LBB22_142
; %bb.141:
	ds_read_b128 v[6:9], v45
	ds_read_b128 v[10:13], v45 offset:16
	s_waitcnt lgkmcnt(1)
	v_add_f64 v[2:3], v[2:3], v[6:7]
	v_add_f64 v[4:5], v[4:5], v[8:9]
	s_waitcnt lgkmcnt(0)
	v_add_f64 v[10:11], v[2:3], v[10:11]
	v_add_f64 v[12:13], v[4:5], v[12:13]
	ds_read_b128 v[2:5], v45 offset:32
	ds_read_b128 v[6:9], v45 offset:48
	s_waitcnt lgkmcnt(1)
	v_add_f64 v[2:3], v[10:11], v[2:3]
	v_add_f64 v[4:5], v[12:13], v[4:5]
	s_waitcnt lgkmcnt(0)
	v_add_f64 v[10:11], v[2:3], v[6:7]
	v_add_f64 v[12:13], v[4:5], v[8:9]
	ds_read_b128 v[2:5], v45 offset:64
	;; [unrolled: 8-line block ×3, first 2 shown]
	ds_read_b128 v[6:9], v45 offset:112
	s_waitcnt lgkmcnt(1)
	v_add_f64 v[2:3], v[10:11], v[2:3]
	v_add_f64 v[4:5], v[12:13], v[4:5]
	s_waitcnt lgkmcnt(0)
	v_add_f64 v[2:3], v[2:3], v[6:7]
	v_add_f64 v[4:5], v[4:5], v[8:9]
.LBB22_142:
	s_or_b64 exec, exec, s[8:9]
	s_load_dwordx2 s[2:3], s[4:5], 0x78
	s_mul_hi_u32 s4, s40, s7
	s_mul_i32 s41, s41, s7
	s_add_i32 s4, s4, s41
	s_mul_i32 s7, s40, s7
	s_mul_i32 s4, s4, s33
	s_mul_hi_u32 s5, s7, s33
	s_add_i32 s5, s5, s4
	s_mul_i32 s4, s7, s33
	s_lshl_b64 s[4:5], s[4:5], 4
	s_waitcnt lgkmcnt(0)
	s_add_u32 s4, s2, s4
	s_addc_u32 s5, s3, s5
	s_mul_hi_i32 s3, s40, s6
	s_mul_i32 s2, s40, s6
	s_lshl_b64 s[2:3], s[2:3], 4
	s_add_u32 s7, s4, s2
	s_addc_u32 s19, s5, s3
	s_add_i32 s8, s6, 1
	s_cmp_ge_u32 s8, s33
	v_lshlrev_b32_e32 v170, 4, v0
	s_barrier
	s_cbranch_scc1 .LBB22_200
; %bb.143:
	s_mul_i32 s2, s39, s24
	s_ashr_i32 s3, s2, 31
	v_lshlrev_b32_e32 v171, 2, v1
	s_lshl_b64 s[2:3], s[2:3], 4
	v_mov_b32_e32 v8, s3
	v_mad_u64_u32 v[6:7], s[4:5], s22, v171, v[0:1]
	v_subrev_co_u32_e32 v172, vcc, s2, v38
	v_subb_co_u32_e32 v173, vcc, v39, v8, vcc
	v_lshrrev_b32_e32 v8, 4, v44
	v_mov_b32_e32 v10, 0x4300
	v_lshl_add_u32 v175, v1, 6, v10
	v_lshlrev_b32_e32 v10, 6, v8
	v_mul_i32_i24_e32 v12, 0xffffffd0, v8
	v_and_b32_e32 v8, 48, v0
	v_and_b32_e32 v9, 15, v0
	s_movk_i32 s4, 0x430
	v_lshlrev_b32_e32 v8, 4, v8
	v_ashrrev_i32_e32 v7, 31, v6
	v_mad_u32_u24 v179, v9, s4, v8
	v_or_b32_e32 v8, 0xf0, v170
	v_mad_u32_u24 v178, v9, s4, v10
	v_mad_u32_u24 v180, v9, s4, v8
	v_sub_co_u32_e32 v196, vcc, 0, v40
	v_lshlrev_b64 v[8:9], 4, v[6:7]
	v_subb_co_u32_e32 v197, vcc, 0, v41, vcc
	v_mov_b32_e32 v10, s27
	v_add_co_u32_e32 v11, vcc, s26, v8
	v_addc_co_u32_e32 v10, vcc, v10, v9, vcc
	v_add_co_u32_e32 v11, vcc, v42, v11
	v_addc_co_u32_e32 v10, vcc, v43, v10, vcc
	;; [unrolled: 2-line block ×3, first 2 shown]
	v_mov_b32_e32 v10, s31
	v_add_co_u32_e32 v6, vcc, s30, v6
	v_addc_co_u32_e32 v7, vcc, v10, v7, vcc
	v_lshlrev_b64 v[6:7], 4, v[6:7]
	s_lshl_b32 s14, s22, 4
	s_lshl_b32 s25, s39, 6
	s_mul_i32 s39, s39, s8
	v_mad_i64_i32 v[10:11], s[8:9], s14, 48, v[6:7]
	s_mul_i32 s28, s22, 3
	s_ashr_i32 s29, s28, 31
	s_lshl_b64 s[8:9], s[28:29], 4
	s_ashr_i32 s15, s14, 31
	s_ashr_i32 s23, s22, 31
	s_lshl_b32 s16, s22, 1
	v_mov_b32_e32 v13, s9
	v_add_co_u32_e32 v14, vcc, s8, v10
	s_add_i32 s24, s33, -2
	s_ashr_i32 s17, s16, 31
	s_lshl_b64 s[4:5], s[22:23], 4
	s_lshl_b32 s10, s39, 6
	s_lshl_b64 s[12:13], s[14:15], 6
	s_mul_i32 s11, s22, 0x300
	v_addc_co_u32_e32 v13, vcc, v11, v13, vcc
	s_lshl_b64 s[22:23], s[22:23], 5
	v_add_co_u32_e32 v200, vcc, v42, v14
	s_add_u32 s28, s22, s26
	v_addc_co_u32_e32 v201, vcc, v43, v13, vcc
	s_addc_u32 s29, s23, s27
	v_mov_b32_e32 v13, s29
	v_add_co_u32_e32 v14, vcc, s28, v8
	v_addc_co_u32_e32 v13, vcc, v13, v9, vcc
	s_mul_hi_i32 s34, s14, 48
	v_add_co_u32_e32 v202, vcc, v42, v14
	s_add_u32 s11, s11, s22
	v_addc_co_u32_e32 v203, vcc, v43, v13, vcc
	s_addc_u32 s22, s34, s23
	v_mov_b32_e32 v13, s22
	v_add_co_u32_e32 v6, vcc, s11, v6
	v_addc_co_u32_e32 v7, vcc, v13, v7, vcc
	v_add_co_u32_e32 v6, vcc, v42, v6
	v_addc_co_u32_e32 v7, vcc, v43, v7, vcc
	v_add_co_u32_e32 v204, vcc, 8, v6
	s_add_u32 s11, s4, s26
	v_addc_co_u32_e32 v205, vcc, 0, v7, vcc
	s_addc_u32 s30, s5, s27
	v_mov_b32_e32 v6, s30
	v_add_co_u32_e32 v7, vcc, s11, v8
	v_addc_co_u32_e32 v6, vcc, v6, v9, vcc
	v_add_co_u32_e32 v7, vcc, v42, v7
	v_addc_co_u32_e32 v6, vcc, v43, v6, vcc
	;; [unrolled: 2-line block ×3, first 2 shown]
	s_lshl_b64 s[16:17], s[16:17], 4
	v_mov_b32_e32 v6, s17
	v_add_co_u32_e32 v7, vcc, s16, v10
	v_addc_co_u32_e32 v6, vcc, v11, v6, vcc
	v_add_co_u32_e32 v208, vcc, v42, v7
	s_add_u32 s22, s26, s16
	v_addc_co_u32_e32 v209, vcc, v43, v6, vcc
	s_addc_u32 s23, s27, s17
	v_mov_b32_e32 v6, s23
	v_add_co_u32_e32 v7, vcc, s22, v8
	v_addc_co_u32_e32 v6, vcc, v6, v9, vcc
	v_add_co_u32_e32 v7, vcc, v42, v7
	v_addc_co_u32_e32 v6, vcc, v43, v6, vcc
	v_add_co_u32_e32 v210, vcc, 8, v7
	v_addc_co_u32_e32 v211, vcc, 0, v6, vcc
	v_mov_b32_e32 v6, s5
	v_add_co_u32_e32 v7, vcc, s4, v10
	v_addc_co_u32_e32 v6, vcc, v11, v6, vcc
	v_add_co_u32_e32 v212, vcc, v42, v7
	s_add_u32 s22, s26, s8
	v_addc_co_u32_e32 v213, vcc, v43, v6, vcc
	s_addc_u32 s23, s27, s9
	v_mov_b32_e32 v6, s23
	v_add_co_u32_e32 v7, vcc, s22, v8
	v_addc_co_u32_e32 v6, vcc, v6, v9, vcc
	v_add_co_u32_e32 v7, vcc, v42, v7
	v_addc_co_u32_e32 v6, vcc, v43, v6, vcc
	;; [unrolled: 2-line block ×3, first 2 shown]
	s_lshl_b64 s[22:23], s[14:15], 4
	v_add_co_u32_e32 v216, vcc, v42, v10
	s_add_u32 s31, s26, s22
	v_addc_co_u32_e32 v217, vcc, v43, v11, vcc
	s_addc_u32 s34, s27, s23
	v_mov_b32_e32 v6, s34
	v_add_co_u32_e32 v7, vcc, s31, v8
	v_addc_co_u32_e32 v6, vcc, v6, v9, vcc
	s_lshl_b64 s[14:15], s[14:15], 5
	v_add_co_u32_e32 v7, vcc, v42, v7
	s_add_u32 s26, s14, s26
	v_addc_co_u32_e32 v6, vcc, v43, v6, vcc
	s_addc_u32 s27, s15, s27
	v_add_co_u32_e32 v218, vcc, 8, v7
	s_add_u32 s35, s26, s8
	v_addc_co_u32_e32 v219, vcc, 0, v6, vcc
	s_addc_u32 s36, s27, s9
	v_mov_b32_e32 v6, s36
	v_add_co_u32_e32 v7, vcc, s35, v8
	v_addc_co_u32_e32 v6, vcc, v6, v9, vcc
	v_add_co_u32_e32 v220, vcc, v42, v7
	s_add_u32 s11, s11, s22
	v_addc_co_u32_e32 v221, vcc, v43, v6, vcc
	s_addc_u32 s30, s30, s23
	v_mov_b32_e32 v6, s30
	v_add_co_u32_e32 v7, vcc, s11, v8
	v_addc_co_u32_e32 v6, vcc, v6, v9, vcc
	v_add_co_u32_e32 v7, vcc, v42, v7
	v_addc_co_u32_e32 v6, vcc, v43, v6, vcc
	v_add_co_u32_e32 v222, vcc, 8, v7
	s_add_u32 s11, s28, s14
	v_addc_co_u32_e32 v223, vcc, 0, v6, vcc
	s_addc_u32 s14, s29, s15
	v_mov_b32_e32 v6, s14
	v_add_co_u32_e32 v7, vcc, s11, v8
	v_addc_co_u32_e32 v6, vcc, v6, v9, vcc
	v_add_co_u32_e32 v7, vcc, v42, v7
	v_addc_co_u32_e32 v6, vcc, v43, v6, vcc
	v_add_co_u32_e32 v224, vcc, 8, v7
	s_add_u32 s11, s31, s16
	v_addc_co_u32_e32 v225, vcc, 0, v6, vcc
	s_addc_u32 s14, s34, s17
	v_mov_b32_e32 v6, s14
	v_add_co_u32_e32 v7, vcc, s11, v8
	v_addc_co_u32_e32 v6, vcc, v6, v9, vcc
	v_add_co_u32_e32 v7, vcc, v42, v7
	v_addc_co_u32_e32 v6, vcc, v43, v6, vcc
	v_add_co_u32_e32 v226, vcc, 8, v7
	s_add_u32 s11, s26, s16
	v_addc_co_u32_e32 v227, vcc, 0, v6, vcc
	s_addc_u32 s14, s27, s17
	v_mov_b32_e32 v6, s14
	v_add_co_u32_e32 v7, vcc, s11, v8
	v_addc_co_u32_e32 v6, vcc, v6, v9, vcc
	v_add_co_u32_e32 v228, vcc, v42, v7
	s_add_u32 s11, s28, s22
	v_addc_co_u32_e32 v229, vcc, v43, v6, vcc
	s_addc_u32 s14, s29, s23
	v_mov_b32_e32 v6, s14
	v_add_co_u32_e32 v7, vcc, s11, v8
	v_addc_co_u32_e32 v6, vcc, v6, v9, vcc
	v_add_co_u32_e32 v230, vcc, v42, v7
	s_add_u32 s4, s26, s4
	v_addc_co_u32_e32 v231, vcc, v43, v6, vcc
	s_addc_u32 s5, s27, s5
	v_mov_b32_e32 v6, s5
	v_add_co_u32_e32 v7, vcc, s4, v8
	v_addc_co_u32_e32 v6, vcc, v6, v9, vcc
	;; [unrolled: 7-line block ×3, first 2 shown]
	v_add_co_u32_e32 v7, vcc, v42, v7
	v_addc_co_u32_e32 v6, vcc, v43, v6, vcc
	v_add_co_u32_e32 v234, vcc, 8, v7
	v_addc_co_u32_e32 v235, vcc, 0, v6, vcc
	v_mov_b32_e32 v6, s27
	v_add_co_u32_e32 v7, vcc, s26, v8
	v_addc_co_u32_e32 v6, vcc, v6, v9, vcc
	v_add_co_u32_e32 v7, vcc, v42, v7
	v_addc_co_u32_e32 v6, vcc, v43, v6, vcc
	s_movk_i32 s2, 0x10c0
	v_add_co_u32_e32 v236, vcc, 8, v7
	v_add_u32_e32 v174, 0x4300, v170
	v_add_u32_e32 v176, 0x4700, v170
	v_mad_u32_u24 v177, v1, s2, v170
	v_cmp_gt_u32_e64 s[2:3], 64, v44
	v_or_b32_e32 v181, 1, v171
	v_or_b32_e32 v182, 2, v171
	;; [unrolled: 1-line block ×3, first 2 shown]
	v_add_u32_e32 v184, 16, v171
	v_add_u32_e32 v185, 17, v171
	;; [unrolled: 1-line block ×13, first 2 shown]
	v_addc_co_u32_e32 v237, vcc, 0, v6, vcc
	v_add_u32_e32 v238, v178, v12
	v_mov_b32_e32 v6, 0
	s_cmp_eq_u32 s24, s6
	s_cselect_b32 s22, s38, 0
	s_and_saveexec_b64 s[4:5], s[0:1]
	s_cbranch_execz .LBB22_148
.LBB22_144:
	s_cmp_lg_u32 s22, 0
	s_cselect_b64 s[8:9], -1, 0
	v_cmp_le_i32_e32 vcc, s22, v0
	s_and_b64 s[8:9], s[8:9], vcc
	s_and_saveexec_b64 s[14:15], s[8:9]
	s_xor_b64 s[8:9], exec, s[14:15]
; %bb.145:
	v_mov_b32_e32 v7, v6
	v_mov_b32_e32 v8, v6
	;; [unrolled: 1-line block ×3, first 2 shown]
	ds_write_b128 v174, v[6:9]
; %bb.146:
	s_andn2_saveexec_b64 s[8:9], s[8:9]
	s_cbranch_execz .LBB22_148
; %bb.147:
	s_ashr_i32 s11, s10, 31
	s_lshl_b64 s[8:9], s[10:11], 4
	v_mov_b32_e32 v8, s9
	v_add_co_u32_e32 v7, vcc, s8, v172
	v_addc_co_u32_e32 v8, vcc, v173, v8, vcc
	global_load_dwordx4 v[7:10], v[7:8], off
	s_waitcnt vmcnt(0)
	ds_write2_b64 v174, v[7:8], v[9:10] offset1:1
.LBB22_148:                             ; =>This Inner Loop Header: Depth=1
	s_or_b64 exec, exec, s[4:5]
	s_cmp_eq_u32 s22, 0
	v_add_co_u32_e32 v19, vcc, v198, v196
	s_cselect_b64 s[14:15], -1, 0
	s_cmp_lg_u32 s22, 0
	v_addc_co_u32_e32 v20, vcc, v199, v197, vcc
	s_cselect_b64 s[8:9], -1, 0
	s_and_b64 vcc, exec, s[8:9]
	s_waitcnt lgkmcnt(0)
	s_barrier
	s_cbranch_vccz .LBB22_156
; %bb.149:                              ;   in Loop: Header=BB22_148 Depth=1
	v_mov_b32_e32 v11, 0
	v_mov_b32_e32 v7, 0
	;; [unrolled: 1-line block ×6, first 2 shown]
	v_cmp_gt_i32_e32 vcc, s22, v171
	s_and_saveexec_b64 s[4:5], vcc
	s_cbranch_execz .LBB22_151
; %bb.150:                              ;   in Loop: Header=BB22_148 Depth=1
	global_load_dwordx4 v[7:10], v[19:20], off offset:-8
.LBB22_151:                             ;   in Loop: Header=BB22_148 Depth=1
	s_or_b64 exec, exec, s[4:5]
	v_mov_b32_e32 v13, 0
	v_mov_b32_e32 v14, 0
	v_cmp_gt_i32_e32 vcc, s22, v181
	s_and_saveexec_b64 s[4:5], vcc
	s_cbranch_execz .LBB22_153
; %bb.152:                              ;   in Loop: Header=BB22_148 Depth=1
	v_add_co_u32_e32 v11, vcc, v206, v196
	v_addc_co_u32_e32 v12, vcc, v207, v197, vcc
	global_load_dwordx4 v[11:14], v[11:12], off offset:-8
.LBB22_153:                             ;   in Loop: Header=BB22_148 Depth=1
	s_or_b64 exec, exec, s[4:5]
	v_mov_b32_e32 v15, 0
	v_mov_b32_e32 v17, 0
	;; [unrolled: 1-line block ×4, first 2 shown]
	v_cmp_gt_i32_e32 vcc, s22, v182
	s_and_saveexec_b64 s[4:5], vcc
	s_cbranch_execz .LBB22_155
; %bb.154:                              ;   in Loop: Header=BB22_148 Depth=1
	v_add_co_u32_e32 v15, vcc, v210, v196
	v_addc_co_u32_e32 v16, vcc, v211, v197, vcc
	global_load_dwordx4 v[15:18], v[15:16], off offset:-8
.LBB22_155:                             ;   in Loop: Header=BB22_148 Depth=1
	s_or_b64 exec, exec, s[4:5]
	v_cmp_gt_i32_e64 s[4:5], s22, v183
	s_branch .LBB22_158
.LBB22_156:                             ;   in Loop: Header=BB22_148 Depth=1
	s_mov_b64 s[4:5], 0
                                        ; implicit-def: $vgpr17_vgpr18
                                        ; implicit-def: $vgpr13_vgpr14
                                        ; implicit-def: $vgpr9_vgpr10
	s_cbranch_execz .LBB22_158
; %bb.157:                              ;   in Loop: Header=BB22_148 Depth=1
	s_waitcnt vmcnt(0)
	v_add_co_u32_e32 v11, vcc, v206, v196
	v_addc_co_u32_e32 v12, vcc, v207, v197, vcc
	v_add_co_u32_e32 v15, vcc, v202, v196
	v_addc_co_u32_e32 v16, vcc, v203, v197, vcc
	global_load_dwordx4 v[7:10], v[19:20], off offset:-8
	s_or_b64 s[4:5], s[4:5], exec
	global_load_dwordx4 v[11:14], v[11:12], off offset:-8
	s_nop 0
	global_load_dwordx4 v[15:18], v[15:16], off
.LBB22_158:                             ;   in Loop: Header=BB22_148 Depth=1
	v_mov_b32_e32 v19, 0
	v_mov_b32_e32 v21, 0
	;; [unrolled: 1-line block ×4, first 2 shown]
	s_and_saveexec_b64 s[16:17], s[4:5]
	s_cbranch_execz .LBB22_160
; %bb.159:                              ;   in Loop: Header=BB22_148 Depth=1
	v_add_co_u32_e32 v19, vcc, v214, v196
	v_addc_co_u32_e32 v20, vcc, v215, v197, vcc
	global_load_dwordx4 v[19:22], v[19:20], off offset:-8
.LBB22_160:                             ;   in Loop: Header=BB22_148 Depth=1
	s_or_b64 exec, exec, s[16:17]
	ds_read_b128 v[23:26], v176
	s_andn2_b64 vcc, exec, s[8:9]
	s_waitcnt vmcnt(0) lgkmcnt(0)
	v_mul_f64 v[27:28], v[9:10], v[25:26]
	v_mul_f64 v[29:30], v[9:10], v[23:24]
	v_mul_f64 v[31:32], v[13:14], v[25:26]
	v_mul_f64 v[33:34], v[13:14], v[23:24]
	v_mul_f64 v[35:36], v[17:18], v[25:26]
	v_mul_f64 v[37:38], v[17:18], v[23:24]
	v_mul_f64 v[43:44], v[21:22], v[25:26]
	v_mul_f64 v[45:46], v[21:22], v[23:24]
	v_fma_f64 v[27:28], v[7:8], v[23:24], v[27:28]
	v_fma_f64 v[29:30], v[7:8], v[25:26], -v[29:30]
	v_fma_f64 v[31:32], v[11:12], v[23:24], v[31:32]
	v_fma_f64 v[33:34], v[11:12], v[25:26], -v[33:34]
	;; [unrolled: 2-line block ×4, first 2 shown]
	ds_read_b128 v[47:50], v175
	ds_read_b128 v[43:46], v175 offset:16
	ds_read_b128 v[35:38], v175 offset:32
	;; [unrolled: 1-line block ×3, first 2 shown]
	ds_write_b128 v177, v[27:30]
	ds_write_b128 v177, v[31:34] offset:1072
	ds_write_b128 v177, v[39:42] offset:2144
	;; [unrolled: 1-line block ×3, first 2 shown]
	s_waitcnt lgkmcnt(0)
	s_barrier
	ds_read_b128 v[131:134], v178
	ds_read_b128 v[127:130], v178 offset:16
	ds_read_b128 v[123:126], v178 offset:32
	;; [unrolled: 1-line block ×3, first 2 shown]
	v_cndmask_b32_e64 v27, 0, 1, s[8:9]
	v_add_co_u32_e64 v51, s[8:9], v218, v196
	v_cmp_ne_u32_e64 s[4:5], 1, v27
	v_addc_co_u32_e64 v52, s[8:9], v219, v197, s[8:9]
	s_waitcnt lgkmcnt(0)
	s_barrier
	s_cbranch_vccnz .LBB22_168
; %bb.161:                              ;   in Loop: Header=BB22_148 Depth=1
	v_mov_b32_e32 v27, 0
	v_mov_b32_e32 v31, 0
	;; [unrolled: 1-line block ×6, first 2 shown]
	v_cmp_gt_i32_e32 vcc, s22, v184
	s_and_saveexec_b64 s[8:9], vcc
	s_cbranch_execz .LBB22_163
; %bb.162:                              ;   in Loop: Header=BB22_148 Depth=1
	global_load_dwordx4 v[31:34], v[51:52], off offset:-8
.LBB22_163:                             ;   in Loop: Header=BB22_148 Depth=1
	s_or_b64 exec, exec, s[8:9]
	v_mov_b32_e32 v29, 0
	v_mov_b32_e32 v30, 0
	v_cmp_gt_i32_e32 vcc, s22, v185
	s_and_saveexec_b64 s[8:9], vcc
	s_cbranch_execz .LBB22_165
; %bb.164:                              ;   in Loop: Header=BB22_148 Depth=1
	v_add_co_u32_e32 v27, vcc, v222, v196
	v_addc_co_u32_e32 v28, vcc, v223, v197, vcc
	global_load_dwordx4 v[27:30], v[27:28], off offset:-8
.LBB22_165:                             ;   in Loop: Header=BB22_148 Depth=1
	s_or_b64 exec, exec, s[8:9]
	v_mov_b32_e32 v39, 0
	v_mov_b32_e32 v41, 0
	;; [unrolled: 1-line block ×4, first 2 shown]
	v_cmp_gt_i32_e32 vcc, s22, v186
	s_and_saveexec_b64 s[8:9], vcc
	s_cbranch_execz .LBB22_167
; %bb.166:                              ;   in Loop: Header=BB22_148 Depth=1
	v_add_co_u32_e32 v39, vcc, v226, v196
	v_addc_co_u32_e32 v40, vcc, v227, v197, vcc
	global_load_dwordx4 v[39:42], v[39:40], off offset:-8
.LBB22_167:                             ;   in Loop: Header=BB22_148 Depth=1
	s_or_b64 exec, exec, s[8:9]
	v_cmp_gt_i32_e64 s[8:9], s22, v187
	s_branch .LBB22_170
.LBB22_168:                             ;   in Loop: Header=BB22_148 Depth=1
	s_mov_b64 s[8:9], 0
                                        ; implicit-def: $vgpr41_vgpr42
                                        ; implicit-def: $vgpr29_vgpr30
                                        ; implicit-def: $vgpr33_vgpr34
	s_cbranch_execz .LBB22_170
; %bb.169:                              ;   in Loop: Header=BB22_148 Depth=1
	s_waitcnt vmcnt(0)
	v_add_co_u32_e32 v27, vcc, v222, v196
	v_addc_co_u32_e32 v28, vcc, v223, v197, vcc
	v_add_co_u32_e32 v39, vcc, v230, v196
	v_addc_co_u32_e32 v40, vcc, v231, v197, vcc
	global_load_dwordx4 v[31:34], v[51:52], off offset:-8
	s_or_b64 s[8:9], s[8:9], exec
	global_load_dwordx4 v[27:30], v[27:28], off offset:-8
	s_nop 0
	global_load_dwordx4 v[39:42], v[39:40], off
.LBB22_170:                             ;   in Loop: Header=BB22_148 Depth=1
	v_mov_b32_e32 v51, 0
	v_mov_b32_e32 v53, 0
	;; [unrolled: 1-line block ×4, first 2 shown]
	s_and_saveexec_b64 s[16:17], s[8:9]
	s_cbranch_execz .LBB22_172
; %bb.171:                              ;   in Loop: Header=BB22_148 Depth=1
	v_add_co_u32_e32 v51, vcc, v234, v196
	v_addc_co_u32_e32 v52, vcc, v235, v197, vcc
	global_load_dwordx4 v[51:54], v[51:52], off offset:-8
.LBB22_172:                             ;   in Loop: Header=BB22_148 Depth=1
	s_or_b64 exec, exec, s[16:17]
	ds_read_b128 v[55:58], v176
	s_and_b64 vcc, exec, s[4:5]
	s_waitcnt vmcnt(0) lgkmcnt(0)
	v_mul_f64 v[59:60], v[33:34], v[57:58]
	v_mul_f64 v[61:62], v[33:34], v[55:56]
	;; [unrolled: 1-line block ×8, first 2 shown]
	v_fma_f64 v[63:64], v[31:32], v[55:56], v[59:60]
	v_fma_f64 v[65:66], v[31:32], v[57:58], -v[61:62]
	v_fma_f64 v[67:68], v[27:28], v[55:56], v[67:68]
	v_fma_f64 v[69:70], v[27:28], v[57:58], -v[69:70]
	;; [unrolled: 2-line block ×4, first 2 shown]
	ds_read_b128 v[75:78], v175 offset:256
	ds_read_b128 v[71:74], v175 offset:272
	;; [unrolled: 1-line block ×4, first 2 shown]
	ds_write_b128 v177, v[63:66]
	ds_write_b128 v177, v[67:70] offset:1072
	ds_write_b128 v177, v[79:82] offset:2144
	;; [unrolled: 1-line block ×3, first 2 shown]
	s_waitcnt lgkmcnt(0)
	s_barrier
	ds_read_b128 v[147:150], v178
	ds_read_b128 v[143:146], v178 offset:16
	ds_read_b128 v[139:142], v178 offset:32
	;; [unrolled: 1-line block ×3, first 2 shown]
	v_add_co_u32_e64 v83, s[8:9], v236, v196
	v_addc_co_u32_e64 v84, s[8:9], v237, v197, s[8:9]
	s_waitcnt lgkmcnt(0)
	s_barrier
	s_cbranch_vccnz .LBB22_180
; %bb.173:                              ;   in Loop: Header=BB22_148 Depth=1
	v_mov_b32_e32 v67, 0
	v_mov_b32_e32 v63, 0
	;; [unrolled: 1-line block ×6, first 2 shown]
	v_cmp_gt_i32_e32 vcc, s22, v188
	s_and_saveexec_b64 s[8:9], vcc
	s_cbranch_execz .LBB22_175
; %bb.174:                              ;   in Loop: Header=BB22_148 Depth=1
	global_load_dwordx4 v[63:66], v[83:84], off offset:-8
.LBB22_175:                             ;   in Loop: Header=BB22_148 Depth=1
	s_or_b64 exec, exec, s[8:9]
	v_mov_b32_e32 v69, 0
	v_mov_b32_e32 v70, 0
	v_cmp_gt_i32_e32 vcc, s22, v189
	s_and_saveexec_b64 s[8:9], vcc
	s_cbranch_execz .LBB22_177
; %bb.176:                              ;   in Loop: Header=BB22_148 Depth=1
	v_add_co_u32_e32 v67, vcc, v232, v196
	v_addc_co_u32_e32 v68, vcc, v233, v197, vcc
	global_load_dwordx4 v[67:70], v[67:68], off
.LBB22_177:                             ;   in Loop: Header=BB22_148 Depth=1
	s_or_b64 exec, exec, s[8:9]
	v_mov_b32_e32 v79, 0
	v_mov_b32_e32 v81, 0
	;; [unrolled: 1-line block ×4, first 2 shown]
	v_cmp_gt_i32_e32 vcc, s22, v190
	s_and_saveexec_b64 s[8:9], vcc
	s_cbranch_execz .LBB22_179
; %bb.178:                              ;   in Loop: Header=BB22_148 Depth=1
	v_add_co_u32_e32 v79, vcc, v228, v196
	v_addc_co_u32_e32 v80, vcc, v229, v197, vcc
	global_load_dwordx4 v[79:82], v[79:80], off
.LBB22_179:                             ;   in Loop: Header=BB22_148 Depth=1
	s_or_b64 exec, exec, s[8:9]
	v_cmp_gt_i32_e64 s[8:9], s22, v191
	s_branch .LBB22_182
.LBB22_180:                             ;   in Loop: Header=BB22_148 Depth=1
	s_mov_b64 s[8:9], 0
                                        ; implicit-def: $vgpr81_vgpr82
                                        ; implicit-def: $vgpr69_vgpr70
                                        ; implicit-def: $vgpr65_vgpr66
	s_cbranch_execz .LBB22_182
; %bb.181:                              ;   in Loop: Header=BB22_148 Depth=1
	s_waitcnt vmcnt(0)
	v_add_co_u32_e32 v67, vcc, v232, v196
	v_addc_co_u32_e32 v68, vcc, v233, v197, vcc
	v_add_co_u32_e32 v79, vcc, v224, v196
	v_addc_co_u32_e32 v80, vcc, v225, v197, vcc
	global_load_dwordx4 v[63:66], v[83:84], off offset:-8
	s_or_b64 s[8:9], s[8:9], exec
	global_load_dwordx4 v[67:70], v[67:68], off
	s_nop 0
	global_load_dwordx4 v[79:82], v[79:80], off offset:-8
.LBB22_182:                             ;   in Loop: Header=BB22_148 Depth=1
	v_mov_b32_e32 v83, 0
	v_mov_b32_e32 v85, 0
	;; [unrolled: 1-line block ×4, first 2 shown]
	s_and_saveexec_b64 s[16:17], s[8:9]
	s_cbranch_execz .LBB22_184
; %bb.183:                              ;   in Loop: Header=BB22_148 Depth=1
	v_add_co_u32_e32 v83, vcc, v220, v196
	v_addc_co_u32_e32 v84, vcc, v221, v197, vcc
	global_load_dwordx4 v[83:86], v[83:84], off
.LBB22_184:                             ;   in Loop: Header=BB22_148 Depth=1
	s_or_b64 exec, exec, s[16:17]
	ds_read_b128 v[87:90], v176
	s_and_b64 vcc, exec, s[4:5]
	s_waitcnt vmcnt(0) lgkmcnt(0)
	v_mul_f64 v[91:92], v[65:66], v[89:90]
	v_mul_f64 v[93:94], v[65:66], v[87:88]
	;; [unrolled: 1-line block ×8, first 2 shown]
	v_fma_f64 v[103:104], v[63:64], v[87:88], v[91:92]
	v_fma_f64 v[105:106], v[63:64], v[89:90], -v[93:94]
	v_fma_f64 v[107:108], v[67:68], v[87:88], v[95:96]
	v_fma_f64 v[109:110], v[67:68], v[89:90], -v[97:98]
	;; [unrolled: 2-line block ×4, first 2 shown]
	ds_read_b128 v[99:102], v175 offset:512
	ds_read_b128 v[95:98], v175 offset:528
	;; [unrolled: 1-line block ×4, first 2 shown]
	ds_write_b128 v177, v[103:106]
	ds_write_b128 v177, v[107:110] offset:1072
	ds_write_b128 v177, v[111:114] offset:2144
	;; [unrolled: 1-line block ×3, first 2 shown]
	s_waitcnt lgkmcnt(0)
	s_barrier
	ds_read_b128 v[163:166], v178
	ds_read_b128 v[159:162], v178 offset:16
	ds_read_b128 v[155:158], v178 offset:32
	;; [unrolled: 1-line block ×3, first 2 shown]
	v_add_co_u32_e64 v115, s[4:5], v216, v196
	v_addc_co_u32_e64 v116, s[4:5], v217, v197, s[4:5]
	s_waitcnt lgkmcnt(0)
	s_barrier
	s_cbranch_vccnz .LBB22_192
; %bb.185:                              ;   in Loop: Header=BB22_148 Depth=1
	v_mov_b32_e32 v107, 0
	v_mov_b32_e32 v103, 0
	;; [unrolled: 1-line block ×6, first 2 shown]
	v_cmp_gt_i32_e32 vcc, s22, v192
	s_and_saveexec_b64 s[4:5], vcc
	s_cbranch_execz .LBB22_187
; %bb.186:                              ;   in Loop: Header=BB22_148 Depth=1
	global_load_dwordx4 v[103:106], v[115:116], off
.LBB22_187:                             ;   in Loop: Header=BB22_148 Depth=1
	s_or_b64 exec, exec, s[4:5]
	v_mov_b32_e32 v109, 0
	v_mov_b32_e32 v110, 0
	v_cmp_gt_i32_e32 vcc, s22, v193
	s_and_saveexec_b64 s[4:5], vcc
	s_cbranch_execz .LBB22_189
; %bb.188:                              ;   in Loop: Header=BB22_148 Depth=1
	v_add_co_u32_e32 v107, vcc, v212, v196
	v_addc_co_u32_e32 v108, vcc, v213, v197, vcc
	global_load_dwordx4 v[107:110], v[107:108], off
.LBB22_189:                             ;   in Loop: Header=BB22_148 Depth=1
	s_or_b64 exec, exec, s[4:5]
	v_mov_b32_e32 v111, 0
	v_mov_b32_e32 v113, 0
	;; [unrolled: 1-line block ×4, first 2 shown]
	v_cmp_gt_i32_e32 vcc, s22, v194
	s_and_saveexec_b64 s[4:5], vcc
	s_cbranch_execz .LBB22_191
; %bb.190:                              ;   in Loop: Header=BB22_148 Depth=1
	v_add_co_u32_e32 v111, vcc, v208, v196
	v_addc_co_u32_e32 v112, vcc, v209, v197, vcc
	global_load_dwordx4 v[111:114], v[111:112], off
.LBB22_191:                             ;   in Loop: Header=BB22_148 Depth=1
	s_or_b64 exec, exec, s[4:5]
	v_cmp_gt_i32_e64 s[4:5], s22, v195
	s_branch .LBB22_194
.LBB22_192:                             ;   in Loop: Header=BB22_148 Depth=1
	s_mov_b64 s[4:5], 0
                                        ; implicit-def: $vgpr113_vgpr114
                                        ; implicit-def: $vgpr109_vgpr110
                                        ; implicit-def: $vgpr105_vgpr106
	s_cbranch_execz .LBB22_194
; %bb.193:                              ;   in Loop: Header=BB22_148 Depth=1
	s_waitcnt vmcnt(0)
	v_add_co_u32_e32 v107, vcc, v212, v196
	v_addc_co_u32_e32 v108, vcc, v213, v197, vcc
	v_add_co_u32_e32 v111, vcc, v204, v196
	v_addc_co_u32_e32 v112, vcc, v205, v197, vcc
	global_load_dwordx4 v[103:106], v[115:116], off
	s_or_b64 s[4:5], s[4:5], exec
	global_load_dwordx4 v[107:110], v[107:108], off
	s_nop 0
	global_load_dwordx4 v[111:114], v[111:112], off offset:-8
.LBB22_194:                             ;   in Loop: Header=BB22_148 Depth=1
	v_mov_b32_e32 v115, 0
	v_mov_b32_e32 v117, 0
	;; [unrolled: 1-line block ×4, first 2 shown]
	s_and_saveexec_b64 s[8:9], s[4:5]
	s_cbranch_execz .LBB22_196
; %bb.195:                              ;   in Loop: Header=BB22_148 Depth=1
	v_add_co_u32_e32 v115, vcc, v200, v196
	v_addc_co_u32_e32 v116, vcc, v201, v197, vcc
	global_load_dwordx4 v[115:118], v[115:116], off
.LBB22_196:                             ;   in Loop: Header=BB22_148 Depth=1
	s_or_b64 exec, exec, s[8:9]
	v_add_f64 v[147:148], v[147:148], 0
	v_add_f64 v[149:150], v[149:150], 0
	;; [unrolled: 1-line block ×6, first 2 shown]
	v_cmp_gt_i32_e32 vcc, s22, v0
	s_or_b64 s[4:5], s[14:15], vcc
	v_add_f64 v[143:144], v[147:148], v[143:144]
	v_add_f64 v[145:146], v[149:150], v[145:146]
	;; [unrolled: 1-line block ×6, first 2 shown]
	s_and_b64 s[8:9], s[2:3], s[4:5]
	v_add_f64 v[139:140], v[143:144], v[139:140]
	v_add_f64 v[141:142], v[145:146], v[141:142]
	;; [unrolled: 1-line block ×10, first 2 shown]
	ds_read_b128 v[143:146], v176
	ds_read_b128 v[131:134], v175 offset:768
	ds_read_b128 v[127:130], v175 offset:784
	;; [unrolled: 1-line block ×4, first 2 shown]
	s_waitcnt vmcnt(0) lgkmcnt(4)
	v_mul_f64 v[147:148], v[105:106], v[145:146]
	v_mul_f64 v[149:150], v[105:106], v[143:144]
	v_add_f64 v[151:152], v[155:156], v[151:152]
	v_add_f64 v[153:154], v[157:158], v[153:154]
	v_fma_f64 v[147:148], v[103:104], v[143:144], v[147:148]
	v_fma_f64 v[149:150], v[103:104], v[145:146], -v[149:150]
	ds_write_b128 v177, v[147:150]
	v_mul_f64 v[147:148], v[109:110], v[145:146]
	v_mul_f64 v[149:150], v[109:110], v[143:144]
	v_fma_f64 v[147:148], v[107:108], v[143:144], v[147:148]
	v_fma_f64 v[149:150], v[107:108], v[145:146], -v[149:150]
	ds_write_b128 v177, v[147:150] offset:1072
	v_mul_f64 v[147:148], v[113:114], v[145:146]
	v_mul_f64 v[149:150], v[113:114], v[143:144]
	v_fma_f64 v[147:148], v[111:112], v[143:144], v[147:148]
	v_fma_f64 v[149:150], v[111:112], v[145:146], -v[149:150]
	ds_write_b128 v177, v[147:150] offset:2144
	v_mul_f64 v[147:148], v[117:118], v[145:146]
	v_fma_f64 v[147:148], v[115:116], v[143:144], v[147:148]
	v_mul_f64 v[143:144], v[117:118], v[143:144]
	v_fma_f64 v[149:150], v[115:116], v[145:146], -v[143:144]
	ds_write_b128 v177, v[147:150] offset:3216
	s_waitcnt lgkmcnt(0)
	s_barrier
	ds_read_b128 v[143:146], v178
	ds_read_b128 v[147:150], v178 offset:16
	ds_read_b128 v[155:158], v178 offset:32
	;; [unrolled: 1-line block ×3, first 2 shown]
	s_waitcnt lgkmcnt(0)
	v_add_f64 v[143:144], v[143:144], 0
	v_add_f64 v[145:146], v[145:146], 0
	s_barrier
	v_add_f64 v[143:144], v[143:144], v[147:148]
	v_add_f64 v[145:146], v[145:146], v[149:150]
	;; [unrolled: 1-line block ×6, first 2 shown]
	ds_write_b128 v238, v[139:142]
	ds_write_b128 v238, v[135:138] offset:256
	ds_write_b128 v238, v[151:154] offset:512
	;; [unrolled: 1-line block ×3, first 2 shown]
	s_waitcnt lgkmcnt(0)
	s_barrier
	s_and_saveexec_b64 s[4:5], s[8:9]
	s_cbranch_execz .LBB22_198
; %bb.197:                              ;   in Loop: Header=BB22_148 Depth=1
	ds_read_b128 v[135:138], v179
	ds_read_b128 v[139:142], v179 offset:16
	v_ashrrev_i32_e32 v169, 31, v168
	s_waitcnt lgkmcnt(0)
	v_add_f64 v[143:144], v[139:140], v[135:136]
	v_add_f64 v[145:146], v[141:142], v[137:138]
	ds_read_b128 v[135:138], v179 offset:32
	ds_read_b128 v[139:142], v179 offset:48
	s_waitcnt lgkmcnt(1)
	v_add_f64 v[135:136], v[143:144], v[135:136]
	v_add_f64 v[137:138], v[145:146], v[137:138]
	s_waitcnt lgkmcnt(0)
	v_add_f64 v[143:144], v[135:136], v[139:140]
	v_add_f64 v[145:146], v[137:138], v[141:142]
	ds_read_b128 v[135:138], v179 offset:64
	ds_read_b128 v[139:142], v179 offset:80
	s_waitcnt lgkmcnt(1)
	v_add_f64 v[135:136], v[143:144], v[135:136]
	v_add_f64 v[137:138], v[145:146], v[137:138]
	s_waitcnt lgkmcnt(0)
	v_add_f64 v[143:144], v[135:136], v[139:140]
	v_add_f64 v[145:146], v[137:138], v[141:142]
	ds_read_b128 v[135:138], v179 offset:96
	ds_read_b128 v[139:142], v179 offset:112
	s_waitcnt lgkmcnt(1)
	v_add_f64 v[135:136], v[143:144], v[135:136]
	v_add_f64 v[137:138], v[145:146], v[137:138]
	s_waitcnt lgkmcnt(0)
	v_add_f64 v[143:144], v[135:136], v[139:140]
	v_add_f64 v[145:146], v[137:138], v[141:142]
	ds_read_b128 v[135:138], v179 offset:128
	ds_read_b128 v[139:142], v179 offset:144
	s_waitcnt lgkmcnt(1)
	v_add_f64 v[135:136], v[143:144], v[135:136]
	v_add_f64 v[137:138], v[145:146], v[137:138]
	s_waitcnt lgkmcnt(0)
	v_add_f64 v[143:144], v[135:136], v[139:140]
	v_add_f64 v[145:146], v[137:138], v[141:142]
	ds_read_b128 v[135:138], v179 offset:160
	ds_read_b128 v[139:142], v179 offset:176
	s_waitcnt lgkmcnt(1)
	v_add_f64 v[135:136], v[143:144], v[135:136]
	v_add_f64 v[137:138], v[145:146], v[137:138]
	s_waitcnt lgkmcnt(0)
	v_add_f64 v[143:144], v[135:136], v[139:140]
	v_add_f64 v[145:146], v[137:138], v[141:142]
	ds_read_b128 v[135:138], v179 offset:192
	ds_read_b128 v[139:142], v179 offset:208
	s_waitcnt lgkmcnt(1)
	v_add_f64 v[135:136], v[143:144], v[135:136]
	v_add_f64 v[137:138], v[145:146], v[137:138]
	s_waitcnt lgkmcnt(0)
	v_add_f64 v[143:144], v[135:136], v[139:140]
	v_add_f64 v[145:146], v[137:138], v[141:142]
	ds_read_b128 v[135:138], v179 offset:224
	ds_read_b128 v[139:142], v180
	s_waitcnt lgkmcnt(1)
	v_add_f64 v[135:136], v[143:144], v[135:136]
	v_add_f64 v[137:138], v[145:146], v[137:138]
	s_waitcnt lgkmcnt(0)
	v_add_f64 v[135:136], v[135:136], v[139:140]
	v_add_f64 v[137:138], v[137:138], v[141:142]
	v_lshlrev_b64 v[139:140], 4, v[168:169]
	v_mov_b32_e32 v141, s19
	v_add_co_u32_e32 v139, vcc, s7, v139
	v_addc_co_u32_e32 v140, vcc, v141, v140, vcc
	global_store_dwordx4 v[139:140], v[135:138], off
.LBB22_198:                             ;   in Loop: Header=BB22_148 Depth=1
	s_or_b64 exec, exec, s[4:5]
	v_mul_f64 v[135:136], v[9:10], v[49:50]
	v_mul_f64 v[49:50], v[7:8], v[49:50]
	;; [unrolled: 1-line block ×4, first 2 shown]
	v_add_co_u32_e32 v198, vcc, s12, v198
	s_add_i32 s4, s6, 1
	s_add_i32 s10, s10, s25
	v_fma_f64 v[7:8], v[7:8], v[47:48], -v[135:136]
	v_fma_f64 v[9:10], v[9:10], v[47:48], v[49:50]
	v_mul_f64 v[47:48], v[17:18], v[37:38]
	v_mul_f64 v[37:38], v[15:16], v[37:38]
	v_fma_f64 v[11:12], v[11:12], v[43:44], -v[137:138]
	v_fma_f64 v[13:14], v[13:14], v[43:44], v[45:46]
	v_mul_f64 v[49:50], v[21:22], v[25:26]
	v_mul_f64 v[25:26], v[19:20], v[25:26]
	v_add_f64 v[2:3], v[2:3], v[7:8]
	v_add_f64 v[4:5], v[4:5], v[9:10]
	v_fma_f64 v[15:16], v[15:16], v[35:36], -v[47:48]
	v_fma_f64 v[17:18], v[17:18], v[35:36], v[37:38]
	v_mul_f64 v[7:8], v[33:34], v[77:78]
	v_mul_f64 v[9:10], v[31:32], v[77:78]
	v_fma_f64 v[19:20], v[19:20], v[23:24], -v[49:50]
	v_fma_f64 v[21:22], v[21:22], v[23:24], v[25:26]
	v_add_f64 v[2:3], v[2:3], v[11:12]
	v_add_f64 v[4:5], v[4:5], v[13:14]
	v_mul_f64 v[43:44], v[29:30], v[73:74]
	v_mul_f64 v[45:46], v[27:28], v[73:74]
	v_fma_f64 v[7:8], v[31:32], v[75:76], -v[7:8]
	v_fma_f64 v[9:10], v[33:34], v[75:76], v[9:10]
	v_mul_f64 v[11:12], v[41:42], v[61:62]
	v_mul_f64 v[13:14], v[39:40], v[61:62]
	v_add_f64 v[2:3], v[2:3], v[15:16]
	v_add_f64 v[4:5], v[4:5], v[17:18]
	v_fma_f64 v[27:28], v[27:28], v[71:72], -v[43:44]
	v_fma_f64 v[29:30], v[29:30], v[71:72], v[45:46]
	v_mul_f64 v[35:36], v[53:54], v[57:58]
	v_mul_f64 v[37:38], v[51:52], v[57:58]
	v_fma_f64 v[11:12], v[39:40], v[59:60], -v[11:12]
	v_fma_f64 v[13:14], v[41:42], v[59:60], v[13:14]
	v_add_f64 v[2:3], v[2:3], v[19:20]
	v_add_f64 v[4:5], v[4:5], v[21:22]
	v_mul_f64 v[15:16], v[65:66], v[101:102]
	v_mul_f64 v[17:18], v[63:64], v[101:102]
	v_fma_f64 v[35:36], v[51:52], v[55:56], -v[35:36]
	v_fma_f64 v[37:38], v[53:54], v[55:56], v[37:38]
	v_mul_f64 v[23:24], v[69:70], v[97:98]
	v_mul_f64 v[25:26], v[67:68], v[97:98]
	v_add_f64 v[2:3], v[2:3], v[7:8]
	v_add_f64 v[4:5], v[4:5], v[9:10]
	v_mul_f64 v[19:20], v[81:82], v[93:94]
	v_mul_f64 v[21:22], v[79:80], v[93:94]
	;; [unrolled: 1-line block ×6, first 2 shown]
	v_add_f64 v[2:3], v[2:3], v[27:28]
	v_add_f64 v[4:5], v[4:5], v[29:30]
	v_mul_f64 v[43:44], v[109:110], v[129:130]
	v_mul_f64 v[45:46], v[107:108], v[129:130]
	;; [unrolled: 1-line block ×4, first 2 shown]
	v_fma_f64 v[7:8], v[103:104], v[131:132], -v[7:8]
	v_fma_f64 v[9:10], v[105:106], v[131:132], v[9:10]
	v_add_f64 v[2:3], v[2:3], v[11:12]
	v_add_f64 v[4:5], v[4:5], v[13:14]
	v_fma_f64 v[11:12], v[63:64], v[99:100], -v[15:16]
	v_fma_f64 v[13:14], v[65:66], v[99:100], v[17:18]
	v_fma_f64 v[15:16], v[67:68], v[95:96], -v[23:24]
	v_fma_f64 v[17:18], v[69:70], v[95:96], v[25:26]
	v_mul_f64 v[39:40], v[117:118], v[121:122]
	v_mul_f64 v[41:42], v[115:116], v[121:122]
	v_add_f64 v[2:3], v[2:3], v[35:36]
	v_add_f64 v[4:5], v[4:5], v[37:38]
	v_mov_b32_e32 v35, s13
	v_addc_co_u32_e32 v199, vcc, v199, v35, vcc
	v_add_co_u32_e32 v200, vcc, s12, v200
	v_addc_co_u32_e32 v201, vcc, v201, v35, vcc
	v_add_f64 v[2:3], v[2:3], v[11:12]
	v_add_f64 v[4:5], v[4:5], v[13:14]
	v_fma_f64 v[11:12], v[79:80], v[91:92], -v[19:20]
	v_fma_f64 v[13:14], v[81:82], v[91:92], v[21:22]
	v_add_co_u32_e32 v202, vcc, s12, v202
	v_addc_co_u32_e32 v203, vcc, v203, v35, vcc
	v_add_f64 v[2:3], v[2:3], v[15:16]
	v_add_f64 v[4:5], v[4:5], v[17:18]
	v_fma_f64 v[15:16], v[83:84], v[87:88], -v[31:32]
	v_fma_f64 v[17:18], v[85:86], v[87:88], v[33:34]
	;; [unrolled: 6-line block ×3, first 2 shown]
	v_add_co_u32_e32 v206, vcc, s12, v206
	v_addc_co_u32_e32 v207, vcc, v207, v35, vcc
	v_add_f64 v[2:3], v[2:3], v[15:16]
	v_add_f64 v[4:5], v[4:5], v[17:18]
	v_add_co_u32_e32 v208, vcc, s12, v208
	v_addc_co_u32_e32 v209, vcc, v209, v35, vcc
	v_add_co_u32_e32 v210, vcc, s12, v210
	v_add_f64 v[2:3], v[2:3], v[7:8]
	v_add_f64 v[4:5], v[4:5], v[9:10]
	v_addc_co_u32_e32 v211, vcc, v211, v35, vcc
	v_add_co_u32_e32 v212, vcc, s12, v212
	v_addc_co_u32_e32 v213, vcc, v213, v35, vcc
	v_fma_f64 v[7:8], v[111:112], v[123:124], -v[27:28]
	v_fma_f64 v[9:10], v[113:114], v[123:124], v[29:30]
	v_add_f64 v[2:3], v[2:3], v[11:12]
	v_add_f64 v[4:5], v[4:5], v[13:14]
	v_add_co_u32_e32 v214, vcc, s12, v214
	v_addc_co_u32_e32 v215, vcc, v215, v35, vcc
	v_add_co_u32_e32 v216, vcc, s12, v216
	v_addc_co_u32_e32 v217, vcc, v217, v35, vcc
	v_add_co_u32_e32 v218, vcc, s12, v218
	v_addc_co_u32_e32 v219, vcc, v219, v35, vcc
	v_add_co_u32_e32 v220, vcc, s12, v220
	v_addc_co_u32_e32 v221, vcc, v221, v35, vcc
	v_fma_f64 v[11:12], v[115:116], v[119:120], -v[39:40]
	v_fma_f64 v[13:14], v[117:118], v[119:120], v[41:42]
	v_add_f64 v[2:3], v[2:3], v[7:8]
	v_add_f64 v[4:5], v[4:5], v[9:10]
	v_add_co_u32_e32 v222, vcc, s12, v222
	v_addc_co_u32_e32 v223, vcc, v223, v35, vcc
	v_add_co_u32_e32 v224, vcc, s12, v224
	v_addc_co_u32_e32 v225, vcc, v225, v35, vcc
	;; [unrolled: 2-line block ×4, first 2 shown]
	v_add_f64 v[2:3], v[2:3], v[11:12]
	v_add_f64 v[4:5], v[4:5], v[13:14]
	v_add_co_u32_e32 v230, vcc, s12, v230
	v_addc_co_u32_e32 v231, vcc, v231, v35, vcc
	v_add_co_u32_e32 v232, vcc, s12, v232
	v_addc_co_u32_e32 v233, vcc, v233, v35, vcc
	;; [unrolled: 2-line block ×3, first 2 shown]
	s_add_i32 s5, s6, 2
	v_add_co_u32_e32 v236, vcc, s12, v236
	v_add_u32_e32 v168, 64, v168
	s_cmp_ge_u32 s5, s33
	v_addc_co_u32_e32 v237, vcc, v237, v35, vcc
	s_waitcnt vmcnt(0)
	s_barrier
	s_cbranch_scc1 .LBB22_200
; %bb.199:                              ;   in Loop: Header=BB22_148 Depth=1
	s_mov_b32 s6, s4
	s_cmp_eq_u32 s24, s6
	s_cselect_b32 s22, s38, 0
	s_and_saveexec_b64 s[4:5], s[0:1]
	s_cbranch_execnz .LBB22_144
	s_branch .LBB22_148
.LBB22_200:
	s_movk_i32 s2, 0x430
	v_cmp_gt_i32_e32 vcc, s18, v0
	v_mad_u32_u24 v1, v1, s2, v170
	s_or_b64 s[2:3], s[20:21], vcc
	s_and_b64 s[0:1], s[0:1], s[2:3]
	ds_write_b128 v1, v[2:5]
	s_waitcnt lgkmcnt(0)
	s_barrier
	s_and_saveexec_b64 s[2:3], s[0:1]
	s_cbranch_execz .LBB22_202
; %bb.201:
	ds_read_b128 v[0:3], v170 offset:1072
	ds_read_b128 v[4:7], v170
	v_ashrrev_i32_e32 v168, 31, v167
	s_waitcnt lgkmcnt(0)
	v_add_f64 v[8:9], v[0:1], v[4:5]
	v_add_f64 v[10:11], v[2:3], v[6:7]
	ds_read_b128 v[0:3], v170 offset:2144
	ds_read_b128 v[4:7], v170 offset:3216
	s_waitcnt lgkmcnt(1)
	v_add_f64 v[0:1], v[8:9], v[0:1]
	v_add_f64 v[2:3], v[10:11], v[2:3]
	s_waitcnt lgkmcnt(0)
	v_add_f64 v[0:1], v[0:1], v[4:5]
	v_add_f64 v[2:3], v[2:3], v[6:7]
	v_lshlrev_b64 v[4:5], 4, v[167:168]
	v_mov_b32_e32 v6, s19
	v_add_co_u32_e32 v4, vcc, s7, v4
	v_addc_co_u32_e32 v5, vcc, v6, v5, vcc
	global_store_dwordx4 v[4:5], v[0:3], off
.LBB22_202:
	s_endpgm
	.section	.rodata,"a",@progbits
	.p2align	6, 0x0
	.amdhsa_kernel _ZL26rocblas_hemvn_kernel_upperILb1ELi64ELi4ELi33ELi32ELi16Ei19rocblas_complex_numIdEPKS1_PS1_EviT6_lT7_lT5_lS6_lS7_lS5_lT8_i
		.amdhsa_group_segment_fixed_size 19200
		.amdhsa_private_segment_fixed_size 0
		.amdhsa_kernarg_size 392
		.amdhsa_user_sgpr_count 6
		.amdhsa_user_sgpr_private_segment_buffer 1
		.amdhsa_user_sgpr_dispatch_ptr 0
		.amdhsa_user_sgpr_queue_ptr 0
		.amdhsa_user_sgpr_kernarg_segment_ptr 1
		.amdhsa_user_sgpr_dispatch_id 0
		.amdhsa_user_sgpr_flat_scratch_init 0
		.amdhsa_user_sgpr_private_segment_size 0
		.amdhsa_uses_dynamic_stack 0
		.amdhsa_system_sgpr_private_segment_wavefront_offset 0
		.amdhsa_system_sgpr_workgroup_id_x 1
		.amdhsa_system_sgpr_workgroup_id_y 0
		.amdhsa_system_sgpr_workgroup_id_z 1
		.amdhsa_system_sgpr_workgroup_info 0
		.amdhsa_system_vgpr_workitem_id 1
		.amdhsa_next_free_vgpr 239
		.amdhsa_next_free_sgpr 98
		.amdhsa_reserve_vcc 1
		.amdhsa_reserve_flat_scratch 0
		.amdhsa_float_round_mode_32 0
		.amdhsa_float_round_mode_16_64 0
		.amdhsa_float_denorm_mode_32 3
		.amdhsa_float_denorm_mode_16_64 3
		.amdhsa_dx10_clamp 1
		.amdhsa_ieee_mode 1
		.amdhsa_fp16_overflow 0
		.amdhsa_exception_fp_ieee_invalid_op 0
		.amdhsa_exception_fp_denorm_src 0
		.amdhsa_exception_fp_ieee_div_zero 0
		.amdhsa_exception_fp_ieee_overflow 0
		.amdhsa_exception_fp_ieee_underflow 0
		.amdhsa_exception_fp_ieee_inexact 0
		.amdhsa_exception_int_div_zero 0
	.end_amdhsa_kernel
	.section	.text._ZL26rocblas_hemvn_kernel_upperILb1ELi64ELi4ELi33ELi32ELi16Ei19rocblas_complex_numIdEPKS1_PS1_EviT6_lT7_lT5_lS6_lS7_lS5_lT8_i,"axG",@progbits,_ZL26rocblas_hemvn_kernel_upperILb1ELi64ELi4ELi33ELi32ELi16Ei19rocblas_complex_numIdEPKS1_PS1_EviT6_lT7_lT5_lS6_lS7_lS5_lT8_i,comdat
.Lfunc_end22:
	.size	_ZL26rocblas_hemvn_kernel_upperILb1ELi64ELi4ELi33ELi32ELi16Ei19rocblas_complex_numIdEPKS1_PS1_EviT6_lT7_lT5_lS6_lS7_lS5_lT8_i, .Lfunc_end22-_ZL26rocblas_hemvn_kernel_upperILb1ELi64ELi4ELi33ELi32ELi16Ei19rocblas_complex_numIdEPKS1_PS1_EviT6_lT7_lT5_lS6_lS7_lS5_lT8_i
                                        ; -- End function
	.set _ZL26rocblas_hemvn_kernel_upperILb1ELi64ELi4ELi33ELi32ELi16Ei19rocblas_complex_numIdEPKS1_PS1_EviT6_lT7_lT5_lS6_lS7_lS5_lT8_i.num_vgpr, 239
	.set _ZL26rocblas_hemvn_kernel_upperILb1ELi64ELi4ELi33ELi32ELi16Ei19rocblas_complex_numIdEPKS1_PS1_EviT6_lT7_lT5_lS6_lS7_lS5_lT8_i.num_agpr, 0
	.set _ZL26rocblas_hemvn_kernel_upperILb1ELi64ELi4ELi33ELi32ELi16Ei19rocblas_complex_numIdEPKS1_PS1_EviT6_lT7_lT5_lS6_lS7_lS5_lT8_i.numbered_sgpr, 44
	.set _ZL26rocblas_hemvn_kernel_upperILb1ELi64ELi4ELi33ELi32ELi16Ei19rocblas_complex_numIdEPKS1_PS1_EviT6_lT7_lT5_lS6_lS7_lS5_lT8_i.num_named_barrier, 0
	.set _ZL26rocblas_hemvn_kernel_upperILb1ELi64ELi4ELi33ELi32ELi16Ei19rocblas_complex_numIdEPKS1_PS1_EviT6_lT7_lT5_lS6_lS7_lS5_lT8_i.private_seg_size, 0
	.set _ZL26rocblas_hemvn_kernel_upperILb1ELi64ELi4ELi33ELi32ELi16Ei19rocblas_complex_numIdEPKS1_PS1_EviT6_lT7_lT5_lS6_lS7_lS5_lT8_i.uses_vcc, 1
	.set _ZL26rocblas_hemvn_kernel_upperILb1ELi64ELi4ELi33ELi32ELi16Ei19rocblas_complex_numIdEPKS1_PS1_EviT6_lT7_lT5_lS6_lS7_lS5_lT8_i.uses_flat_scratch, 0
	.set _ZL26rocblas_hemvn_kernel_upperILb1ELi64ELi4ELi33ELi32ELi16Ei19rocblas_complex_numIdEPKS1_PS1_EviT6_lT7_lT5_lS6_lS7_lS5_lT8_i.has_dyn_sized_stack, 0
	.set _ZL26rocblas_hemvn_kernel_upperILb1ELi64ELi4ELi33ELi32ELi16Ei19rocblas_complex_numIdEPKS1_PS1_EviT6_lT7_lT5_lS6_lS7_lS5_lT8_i.has_recursion, 0
	.set _ZL26rocblas_hemvn_kernel_upperILb1ELi64ELi4ELi33ELi32ELi16Ei19rocblas_complex_numIdEPKS1_PS1_EviT6_lT7_lT5_lS6_lS7_lS5_lT8_i.has_indirect_call, 0
	.section	.AMDGPU.csdata,"",@progbits
; Kernel info:
; codeLenInByte = 11500
; TotalNumSgprs: 48
; NumVgprs: 239
; ScratchSize: 0
; MemoryBound: 1
; FloatMode: 240
; IeeeMode: 1
; LDSByteSize: 19200 bytes/workgroup (compile time only)
; SGPRBlocks: 12
; VGPRBlocks: 59
; NumSGPRsForWavesPerEU: 102
; NumVGPRsForWavesPerEU: 239
; Occupancy: 1
; WaveLimiterHint : 1
; COMPUTE_PGM_RSRC2:SCRATCH_EN: 0
; COMPUTE_PGM_RSRC2:USER_SGPR: 6
; COMPUTE_PGM_RSRC2:TRAP_HANDLER: 0
; COMPUTE_PGM_RSRC2:TGID_X_EN: 1
; COMPUTE_PGM_RSRC2:TGID_Y_EN: 0
; COMPUTE_PGM_RSRC2:TGID_Z_EN: 1
; COMPUTE_PGM_RSRC2:TIDIG_COMP_CNT: 1
	.section	.text._ZL36rocblas_hemvn_kernel_upper_block_sumILi64Ei19rocblas_complex_numIdEPS1_S1_EviT1_lS3_lT2_lT0_lPT3_i,"axG",@progbits,_ZL36rocblas_hemvn_kernel_upper_block_sumILi64Ei19rocblas_complex_numIdEPS1_S1_EviT1_lS3_lT2_lT0_lPT3_i,comdat
	.globl	_ZL36rocblas_hemvn_kernel_upper_block_sumILi64Ei19rocblas_complex_numIdEPS1_S1_EviT1_lS3_lT2_lT0_lPT3_i ; -- Begin function _ZL36rocblas_hemvn_kernel_upper_block_sumILi64Ei19rocblas_complex_numIdEPS1_S1_EviT1_lS3_lT2_lT0_lPT3_i
	.p2align	8
	.type	_ZL36rocblas_hemvn_kernel_upper_block_sumILi64Ei19rocblas_complex_numIdEPS1_S1_EviT1_lS3_lT2_lT0_lPT3_i,@function
_ZL36rocblas_hemvn_kernel_upper_block_sumILi64Ei19rocblas_complex_numIdEPS1_S1_EviT1_lS3_lT2_lT0_lPT3_i: ; @_ZL36rocblas_hemvn_kernel_upper_block_sumILi64Ei19rocblas_complex_numIdEPS1_S1_EviT1_lS3_lT2_lT0_lPT3_i
; %bb.0:
	s_load_dwordx4 s[12:15], s[4:5], 0x8
	s_load_dwordx4 s[8:11], s[4:5], 0x20
	s_waitcnt lgkmcnt(0)
	v_cmp_neq_f64_e64 s[0:1], s[12:13], 0
	v_cmp_neq_f64_e64 s[2:3], s[14:15], 0
	s_or_b64 s[16:17], s[0:1], s[2:3]
	s_mov_b64 s[0:1], -1
	s_and_b64 vcc, exec, s[16:17]
	s_cbranch_vccnz .LBB23_2
; %bb.1:
	v_cmp_neq_f64_e64 s[0:1], s[8:9], 1.0
	v_cmp_neq_f64_e64 s[2:3], s[10:11], 0
	s_or_b64 s[0:1], s[0:1], s[2:3]
.LBB23_2:
	s_andn2_b64 vcc, exec, s[0:1]
	s_cbranch_vccnz .LBB23_22
; %bb.3:
	s_load_dwordx4 s[0:3], s[4:5], 0x50
	s_load_dwordx4 s[20:23], s[4:5], 0x38
	s_load_dword s26, s[4:5], 0x48
	s_load_dword s18, s[4:5], 0x0
	s_xor_b64 s[16:17], s[16:17], -1
	v_lshl_or_b32 v4, s6, 6, v0
	s_waitcnt lgkmcnt(0)
	s_mul_i32 s1, s1, s7
	s_mul_hi_u32 s19, s0, s7
	s_add_i32 s1, s19, s1
	s_mul_i32 s0, s0, s7
	s_lshl_b64 s[0:1], s[0:1], 4
	s_add_u32 s19, s20, s0
	s_addc_u32 s20, s21, s1
	s_lshl_b64 s[0:1], s[22:23], 4
	s_add_u32 s24, s19, s0
	s_addc_u32 s25, s20, s1
	s_andn2_b64 vcc, exec, s[16:17]
	v_cmp_gt_i32_e64 s[0:1], s18, v4
	s_cbranch_vccnz .LBB23_8
; %bb.4:
	s_mov_b64 s[20:21], 0
	s_mov_b64 s[16:17], 0
                                        ; implicit-def: $vgpr2_vgpr3
                                        ; implicit-def: $vgpr5_vgpr6
	s_and_saveexec_b64 s[22:23], s[0:1]
	s_cbranch_execz .LBB23_9
; %bb.5:
	v_cmp_neq_f64_e64 s[0:1], s[8:9], 0
	v_cmp_neq_f64_e64 s[16:17], s[10:11], 0
	v_mul_lo_u32 v5, s26, v4
	v_mov_b32_e32 v2, 0
	v_mov_b32_e32 v0, 0
	v_mov_b32_e32 v3, 0
	v_mov_b32_e32 v1, 0
	v_ashrrev_i32_e32 v6, 31, v5
	s_or_b64 s[0:1], s[0:1], s[16:17]
	s_andn2_b64 vcc, exec, s[0:1]
	s_cbranch_vccnz .LBB23_7
; %bb.6:
	v_lshlrev_b64 v[0:1], 4, v[5:6]
	v_mov_b32_e32 v2, s25
	v_add_co_u32_e32 v0, vcc, s24, v0
	v_addc_co_u32_e32 v1, vcc, v2, v1, vcc
	global_load_dwordx4 v[7:10], v[0:1], off
	s_waitcnt vmcnt(0)
	v_mul_f64 v[0:1], s[10:11], v[9:10]
	v_mul_f64 v[2:3], s[8:9], v[9:10]
	v_fma_f64 v[0:1], s[8:9], v[7:8], -v[0:1]
	v_fma_f64 v[2:3], s[10:11], v[7:8], v[2:3]
.LBB23_7:
	s_mov_b64 s[16:17], exec
	s_or_b64 exec, exec, s[22:23]
	s_and_b64 vcc, exec, s[20:21]
	s_cbranch_vccnz .LBB23_10
	s_branch .LBB23_20
.LBB23_8:
	s_mov_b64 s[16:17], 0
                                        ; implicit-def: $vgpr2_vgpr3
                                        ; implicit-def: $vgpr5_vgpr6
	s_cbranch_execnz .LBB23_10
	s_branch .LBB23_20
.LBB23_9:
	s_or_b64 exec, exec, s[22:23]
	s_and_b64 vcc, exec, s[20:21]
	s_cbranch_vccz .LBB23_20
.LBB23_10:
	v_cmp_gt_i32_e32 vcc, s18, v4
                                        ; implicit-def: $vgpr2_vgpr3
                                        ; implicit-def: $vgpr5_vgpr6
	s_and_saveexec_b64 s[0:1], vcc
	s_cbranch_execz .LBB23_19
; %bb.11:
	v_mov_b32_e32 v0, 0
	v_mov_b32_e32 v2, 0
	;; [unrolled: 1-line block ×3, first 2 shown]
	s_cmp_lt_i32 s6, 0
	v_mov_b32_e32 v3, 0
	s_cbranch_scc1 .LBB23_14
; %bb.12:
	s_load_dword s5, s[4:5], 0x68
	s_ashr_i32 s19, s18, 31
	s_add_i32 s4, s6, 1
	s_mul_hi_u32 s6, s18, s7
	s_mul_i32 s20, s19, s7
	s_add_i32 s6, s6, s20
	s_mul_i32 s20, s18, s7
	s_waitcnt lgkmcnt(0)
	s_mul_i32 s6, s6, s5
	s_mul_hi_u32 s7, s20, s5
	s_add_i32 s7, s7, s6
	s_mul_i32 s6, s20, s5
	v_mov_b32_e32 v5, 0
	s_lshl_b64 s[6:7], s[6:7], 4
	v_lshlrev_b64 v[0:1], 4, v[4:5]
	s_add_u32 s2, s2, s6
	s_addc_u32 s3, s3, s7
	v_mov_b32_e32 v2, s3
	v_add_co_u32_e32 v0, vcc, s2, v0
	v_addc_co_u32_e32 v1, vcc, v2, v1, vcc
	v_add_co_u32_e32 v5, vcc, 8, v0
	v_addc_co_u32_e32 v6, vcc, 0, v1, vcc
	s_lshl_b64 s[2:3], s[18:19], 4
	v_mov_b32_e32 v0, 0
	v_mov_b32_e32 v2, 0
	;; [unrolled: 1-line block ×5, first 2 shown]
.LBB23_13:                              ; =>This Inner Loop Header: Depth=1
	global_load_dwordx4 v[8:11], v[5:6], off offset:-8
	s_add_i32 s4, s4, -1
	v_add_co_u32_e32 v5, vcc, s2, v5
	s_cmp_eq_u32 s4, 0
	v_addc_co_u32_e32 v6, vcc, v6, v7, vcc
	s_waitcnt vmcnt(0)
	v_add_f64 v[2:3], v[2:3], v[8:9]
	v_add_f64 v[0:1], v[0:1], v[10:11]
	s_cbranch_scc0 .LBB23_13
.LBB23_14:
	v_mul_f64 v[5:6], s[14:15], v[0:1]
	v_mul_f64 v[7:8], s[12:13], v[0:1]
	v_cmp_neq_f64_e64 s[4:5], s[8:9], 0
	v_cmp_neq_f64_e64 s[6:7], s[10:11], 0
	s_mov_b64 s[2:3], 0
	v_fma_f64 v[0:1], s[12:13], v[2:3], -v[5:6]
	v_fma_f64 v[2:3], s[14:15], v[2:3], v[7:8]
	v_mul_lo_u32 v5, s26, v4
	s_or_b64 s[4:5], s[4:5], s[6:7]
	s_andn2_b64 vcc, exec, s[4:5]
	v_ashrrev_i32_e32 v6, 31, v5
	s_cbranch_vccnz .LBB23_16
; %bb.15:
	s_mov_b64 s[2:3], -1
.LBB23_16:
	s_andn2_b64 vcc, exec, s[2:3]
	s_cbranch_vccnz .LBB23_18
; %bb.17:
	v_lshlrev_b64 v[7:8], 4, v[5:6]
	v_mov_b32_e32 v4, s25
	v_add_co_u32_e32 v7, vcc, s24, v7
	v_addc_co_u32_e32 v8, vcc, v4, v8, vcc
	global_load_dwordx4 v[7:10], v[7:8], off
	s_waitcnt vmcnt(0)
	v_mul_f64 v[11:12], s[10:11], v[9:10]
	v_mul_f64 v[9:10], s[8:9], v[9:10]
	v_fma_f64 v[11:12], s[8:9], v[7:8], -v[11:12]
	v_fma_f64 v[7:8], s[10:11], v[7:8], v[9:10]
	v_add_f64 v[0:1], v[0:1], v[11:12]
	v_add_f64 v[2:3], v[2:3], v[7:8]
.LBB23_18:
	s_or_b64 s[16:17], s[16:17], exec
.LBB23_19:
	s_or_b64 exec, exec, s[0:1]
.LBB23_20:
	s_and_saveexec_b64 s[0:1], s[16:17]
	s_cbranch_execz .LBB23_22
; %bb.21:
	v_lshlrev_b64 v[4:5], 4, v[5:6]
	v_mov_b32_e32 v6, s25
	v_add_co_u32_e32 v4, vcc, s24, v4
	v_addc_co_u32_e32 v5, vcc, v6, v5, vcc
	global_store_dwordx4 v[4:5], v[0:3], off
.LBB23_22:
	s_endpgm
	.section	.rodata,"a",@progbits
	.p2align	6, 0x0
	.amdhsa_kernel _ZL36rocblas_hemvn_kernel_upper_block_sumILi64Ei19rocblas_complex_numIdEPS1_S1_EviT1_lS3_lT2_lT0_lPT3_i
		.amdhsa_group_segment_fixed_size 0
		.amdhsa_private_segment_fixed_size 0
		.amdhsa_kernarg_size 360
		.amdhsa_user_sgpr_count 6
		.amdhsa_user_sgpr_private_segment_buffer 1
		.amdhsa_user_sgpr_dispatch_ptr 0
		.amdhsa_user_sgpr_queue_ptr 0
		.amdhsa_user_sgpr_kernarg_segment_ptr 1
		.amdhsa_user_sgpr_dispatch_id 0
		.amdhsa_user_sgpr_flat_scratch_init 0
		.amdhsa_user_sgpr_private_segment_size 0
		.amdhsa_uses_dynamic_stack 0
		.amdhsa_system_sgpr_private_segment_wavefront_offset 0
		.amdhsa_system_sgpr_workgroup_id_x 1
		.amdhsa_system_sgpr_workgroup_id_y 0
		.amdhsa_system_sgpr_workgroup_id_z 1
		.amdhsa_system_sgpr_workgroup_info 0
		.amdhsa_system_vgpr_workitem_id 0
		.amdhsa_next_free_vgpr 13
		.amdhsa_next_free_sgpr 27
		.amdhsa_reserve_vcc 1
		.amdhsa_reserve_flat_scratch 0
		.amdhsa_float_round_mode_32 0
		.amdhsa_float_round_mode_16_64 0
		.amdhsa_float_denorm_mode_32 3
		.amdhsa_float_denorm_mode_16_64 3
		.amdhsa_dx10_clamp 1
		.amdhsa_ieee_mode 1
		.amdhsa_fp16_overflow 0
		.amdhsa_exception_fp_ieee_invalid_op 0
		.amdhsa_exception_fp_denorm_src 0
		.amdhsa_exception_fp_ieee_div_zero 0
		.amdhsa_exception_fp_ieee_overflow 0
		.amdhsa_exception_fp_ieee_underflow 0
		.amdhsa_exception_fp_ieee_inexact 0
		.amdhsa_exception_int_div_zero 0
	.end_amdhsa_kernel
	.section	.text._ZL36rocblas_hemvn_kernel_upper_block_sumILi64Ei19rocblas_complex_numIdEPS1_S1_EviT1_lS3_lT2_lT0_lPT3_i,"axG",@progbits,_ZL36rocblas_hemvn_kernel_upper_block_sumILi64Ei19rocblas_complex_numIdEPS1_S1_EviT1_lS3_lT2_lT0_lPT3_i,comdat
.Lfunc_end23:
	.size	_ZL36rocblas_hemvn_kernel_upper_block_sumILi64Ei19rocblas_complex_numIdEPS1_S1_EviT1_lS3_lT2_lT0_lPT3_i, .Lfunc_end23-_ZL36rocblas_hemvn_kernel_upper_block_sumILi64Ei19rocblas_complex_numIdEPS1_S1_EviT1_lS3_lT2_lT0_lPT3_i
                                        ; -- End function
	.set _ZL36rocblas_hemvn_kernel_upper_block_sumILi64Ei19rocblas_complex_numIdEPS1_S1_EviT1_lS3_lT2_lT0_lPT3_i.num_vgpr, 13
	.set _ZL36rocblas_hemvn_kernel_upper_block_sumILi64Ei19rocblas_complex_numIdEPS1_S1_EviT1_lS3_lT2_lT0_lPT3_i.num_agpr, 0
	.set _ZL36rocblas_hemvn_kernel_upper_block_sumILi64Ei19rocblas_complex_numIdEPS1_S1_EviT1_lS3_lT2_lT0_lPT3_i.numbered_sgpr, 27
	.set _ZL36rocblas_hemvn_kernel_upper_block_sumILi64Ei19rocblas_complex_numIdEPS1_S1_EviT1_lS3_lT2_lT0_lPT3_i.num_named_barrier, 0
	.set _ZL36rocblas_hemvn_kernel_upper_block_sumILi64Ei19rocblas_complex_numIdEPS1_S1_EviT1_lS3_lT2_lT0_lPT3_i.private_seg_size, 0
	.set _ZL36rocblas_hemvn_kernel_upper_block_sumILi64Ei19rocblas_complex_numIdEPS1_S1_EviT1_lS3_lT2_lT0_lPT3_i.uses_vcc, 1
	.set _ZL36rocblas_hemvn_kernel_upper_block_sumILi64Ei19rocblas_complex_numIdEPS1_S1_EviT1_lS3_lT2_lT0_lPT3_i.uses_flat_scratch, 0
	.set _ZL36rocblas_hemvn_kernel_upper_block_sumILi64Ei19rocblas_complex_numIdEPS1_S1_EviT1_lS3_lT2_lT0_lPT3_i.has_dyn_sized_stack, 0
	.set _ZL36rocblas_hemvn_kernel_upper_block_sumILi64Ei19rocblas_complex_numIdEPS1_S1_EviT1_lS3_lT2_lT0_lPT3_i.has_recursion, 0
	.set _ZL36rocblas_hemvn_kernel_upper_block_sumILi64Ei19rocblas_complex_numIdEPS1_S1_EviT1_lS3_lT2_lT0_lPT3_i.has_indirect_call, 0
	.section	.AMDGPU.csdata,"",@progbits
; Kernel info:
; codeLenInByte = 784
; TotalNumSgprs: 31
; NumVgprs: 13
; ScratchSize: 0
; MemoryBound: 0
; FloatMode: 240
; IeeeMode: 1
; LDSByteSize: 0 bytes/workgroup (compile time only)
; SGPRBlocks: 3
; VGPRBlocks: 3
; NumSGPRsForWavesPerEU: 31
; NumVGPRsForWavesPerEU: 13
; Occupancy: 10
; WaveLimiterHint : 0
; COMPUTE_PGM_RSRC2:SCRATCH_EN: 0
; COMPUTE_PGM_RSRC2:USER_SGPR: 6
; COMPUTE_PGM_RSRC2:TRAP_HANDLER: 0
; COMPUTE_PGM_RSRC2:TGID_X_EN: 1
; COMPUTE_PGM_RSRC2:TGID_Y_EN: 0
; COMPUTE_PGM_RSRC2:TGID_Z_EN: 1
; COMPUTE_PGM_RSRC2:TIDIG_COMP_CNT: 0
	.section	.text._ZL26rocblas_hemvn_kernel_lowerILb1ELi64ELi4ELi33ELi32ELi16ElPK19rocblas_complex_numIdES3_PS1_EviT6_lT7_lT5_lS6_lS7_lS5_lT8_i,"axG",@progbits,_ZL26rocblas_hemvn_kernel_lowerILb1ELi64ELi4ELi33ELi32ELi16ElPK19rocblas_complex_numIdES3_PS1_EviT6_lT7_lT5_lS6_lS7_lS5_lT8_i,comdat
	.globl	_ZL26rocblas_hemvn_kernel_lowerILb1ELi64ELi4ELi33ELi32ELi16ElPK19rocblas_complex_numIdES3_PS1_EviT6_lT7_lT5_lS6_lS7_lS5_lT8_i ; -- Begin function _ZL26rocblas_hemvn_kernel_lowerILb1ELi64ELi4ELi33ELi32ELi16ElPK19rocblas_complex_numIdES3_PS1_EviT6_lT7_lT5_lS6_lS7_lS5_lT8_i
	.p2align	8
	.type	_ZL26rocblas_hemvn_kernel_lowerILb1ELi64ELi4ELi33ELi32ELi16ElPK19rocblas_complex_numIdES3_PS1_EviT6_lT7_lT5_lS6_lS7_lS5_lT8_i,@function
_ZL26rocblas_hemvn_kernel_lowerILb1ELi64ELi4ELi33ELi32ELi16ElPK19rocblas_complex_numIdES3_PS1_EviT6_lT7_lT5_lS6_lS7_lS5_lT8_i: ; @_ZL26rocblas_hemvn_kernel_lowerILb1ELi64ELi4ELi33ELi32ELi16ElPK19rocblas_complex_numIdES3_PS1_EviT6_lT7_lT5_lS6_lS7_lS5_lT8_i
; %bb.0:
	s_load_dwordx2 s[2:3], s[4:5], 0x84
	s_add_u32 s0, s4, 0x78
	s_addc_u32 s1, s5, 0
	s_waitcnt lgkmcnt(0)
	s_lshr_b32 s8, s2, 16
	s_and_b32 s2, s2, 0xffff
	s_and_b32 s3, s3, 0xffff
	s_mul_i32 s2, s8, s2
	s_mul_i32 s2, s2, s3
	s_cmpk_lg_i32 s2, 0x100
	s_cbranch_scc1 .LBB24_151
; %bb.1:
	s_load_dwordx16 s[12:27], s[4:5], 0x8
	s_waitcnt lgkmcnt(0)
	s_mul_i32 s3, s15, s7
	s_mul_hi_u32 s8, s14, s7
	s_mul_i32 s2, s14, s7
	s_add_i32 s3, s8, s3
	s_lshl_b64 s[2:3], s[2:3], 4
	s_add_u32 s2, s12, s2
	s_addc_u32 s3, s13, s3
	s_load_dwordx4 s[8:11], s[2:3], 0x0
	s_load_dwordx2 s[28:29], s[4:5], 0x68
	s_load_dwordx8 s[36:43], s[4:5], 0x48
	s_waitcnt lgkmcnt(0)
	v_cmp_neq_f64_e64 s[2:3], s[8:9], 0
	v_cmp_neq_f64_e64 s[8:9], s[10:11], 0
	s_or_b64 s[2:3], s[2:3], s[8:9]
	s_mov_b64 s[8:9], -1
	s_and_b64 vcc, exec, s[2:3]
	s_cbranch_vccnz .LBB24_3
; %bb.2:
	s_mul_i32 s8, s43, s7
	s_mul_hi_u32 s9, s42, s7
	s_add_i32 s9, s9, s8
	s_mul_i32 s8, s42, s7
	s_lshl_b64 s[8:9], s[8:9], 4
	s_add_u32 s12, s40, s8
	s_addc_u32 s13, s41, s9
	s_load_dwordx4 s[8:11], s[12:13], 0x0
	s_waitcnt lgkmcnt(0)
	v_cmp_neq_f64_e64 s[8:9], s[8:9], 1.0
	v_cmp_neq_f64_e64 s[10:11], s[10:11], 0
	s_or_b64 s[8:9], s[8:9], s[10:11]
.LBB24_3:
	s_andn2_b64 vcc, exec, s[8:9]
	s_cbranch_vccnz .LBB24_151
; %bb.4:
	s_andn2_b64 vcc, exec, s[2:3]
	s_cbranch_vccnz .LBB24_151
; %bb.5:
	s_load_dword s40, s[0:1], 0x0
	s_load_dword s33, s[4:5], 0x0
	s_mul_i32 s0, s39, s7
	s_mul_hi_u32 s1, s38, s7
	s_add_i32 s1, s1, s0
	s_mul_i32 s0, s38, s7
	s_lshl_b64 s[0:1], s[0:1], 4
	s_add_u32 s2, s24, s0
	s_addc_u32 s3, s25, s1
	s_lshl_b64 s[0:1], s[26:27], 4
	s_add_u32 s2, s2, s0
	s_addc_u32 s3, s3, s1
	s_lshl_b32 s26, s6, 6
	s_waitcnt lgkmcnt(0)
	s_ashr_i32 s41, s33, 31
	s_lshr_b32 s0, s41, 26
	v_add_u32_e32 v142, s26, v0
	s_add_i32 s0, s33, s0
	v_ashrrev_i32_e32 v143, 31, v142
	s_and_b32 s5, s0, 0xffffffc0
	v_mul_lo_u32 v4, s36, v143
	v_mul_lo_u32 v5, s37, v142
	v_mad_u64_u32 v[2:3], s[0:1], s36, v142, 0
	s_add_i32 s4, s40, -1
	s_sub_i32 s0, s33, s5
	v_add3_u32 v3, v3, v4, v5
	v_lshlrev_b64 v[2:3], 4, v[2:3]
	s_cmp_eq_u32 s6, s4
	v_mov_b32_e32 v4, s3
	v_add_co_u32_e32 v38, vcc, s2, v2
	s_cselect_b32 s24, s0, 0
	v_addc_co_u32_e32 v39, vcc, v4, v3, vcc
	v_cmp_ne_u32_e64 s[0:1], 0, v1
	v_cmp_eq_u32_e64 s[2:3], 0, v1
	s_and_saveexec_b64 s[4:5], s[2:3]
	s_cbranch_execz .LBB24_10
; %bb.6:
	s_cmp_lg_u32 s24, 0
	s_cselect_b64 s[8:9], -1, 0
	v_cmp_le_i32_e32 vcc, s24, v0
	v_mov_b32_e32 v2, 0x4700
	s_and_b64 s[8:9], s[8:9], vcc
	v_lshl_add_u32 v2, v0, 4, v2
	s_and_saveexec_b64 s[10:11], s[8:9]
	s_xor_b64 s[8:9], exec, s[10:11]
; %bb.7:
	v_mov_b32_e32 v3, 0
	v_mov_b32_e32 v4, v3
	;; [unrolled: 1-line block ×4, first 2 shown]
	ds_write_b128 v2, v[3:6]
                                        ; implicit-def: $vgpr2
; %bb.8:
	s_andn2_saveexec_b64 s[8:9], s[8:9]
	s_cbranch_execz .LBB24_10
; %bb.9:
	global_load_dwordx4 v[3:6], v[38:39], off
	s_waitcnt vmcnt(0)
	ds_write2_b64 v2, v[3:4], v[5:6] offset1:1
.LBB24_10:
	s_or_b64 exec, exec, s[4:5]
	v_lshl_add_u32 v44, v1, 6, v0
	s_mul_i32 s4, s23, s7
	s_mul_hi_u32 s5, s22, s7
	v_and_b32_e32 v10, 31, v0
	v_lshrrev_b32_e32 v13, 5, v44
	s_add_i32 s5, s5, s4
	s_mul_i32 s4, s22, s7
	v_mov_b32_e32 v11, 0
	s_lshl_b64 s[4:5], s[4:5], 4
	v_mad_u64_u32 v[2:3], s[8:9], s20, v13, v[10:11]
	s_add_u32 s10, s16, s4
	s_addc_u32 s11, s17, s5
	s_lshl_b64 s[4:5], s[18:19], 4
	s_add_u32 s8, s10, s4
	s_addc_u32 s9, s11, s5
	v_mad_u64_u32 v[3:4], s[4:5], s21, v13, v[3:4]
	s_ashr_i32 s27, s26, 31
	s_lshl_b64 s[4:5], s[26:27], 4
	s_add_u32 s4, s8, s4
	v_lshlrev_b64 v[40:41], 4, v[2:3]
	s_addc_u32 s5, s9, s5
	v_mov_b32_e32 v2, s5
	v_add_co_u32_e32 v3, vcc, s4, v40
	s_mul_hi_u32 s4, s20, s26
	s_mul_i32 s5, s20, s27
	s_add_i32 s4, s4, s5
	s_mul_i32 s5, s21, s26
	s_add_i32 s5, s4, s5
	s_mul_i32 s4, s20, s26
	v_addc_co_u32_e32 v2, vcc, v2, v41, vcc
	s_lshl_b64 s[22:23], s[4:5], 4
	v_mov_b32_e32 v4, s23
	v_add_co_u32_e32 v6, vcc, s22, v3
	s_cmp_lg_u32 s24, 0
	v_addc_co_u32_e32 v7, vcc, v2, v4, vcc
	s_cselect_b64 s[30:31], -1, 0
	s_cmp_eq_u32 s24, 0
	s_cselect_b64 s[16:17], -1, 0
	s_mov_b64 s[4:5], -1
	s_and_b64 vcc, exec, s[30:31]
	s_cbranch_vccnz .LBB24_12
; %bb.11:
	s_lshl_b64 s[4:5], s[20:21], 7
	v_mov_b32_e32 v22, s5
	v_add_co_u32_e32 v8, vcc, s4, v6
	v_addc_co_u32_e32 v9, vcc, v7, v22, vcc
	v_add_co_u32_e32 v11, vcc, s4, v8
	global_load_dwordx4 v[2:5], v[6:7], off
	v_addc_co_u32_e32 v12, vcc, v9, v22, vcc
	global_load_dwordx4 v[14:17], v[8:9], off
	global_load_dwordx4 v[18:21], v[11:12], off
	v_add_co_u32_e32 v8, vcc, s4, v11
	v_addc_co_u32_e32 v9, vcc, v12, v22, vcc
	global_load_dwordx4 v[22:25], v[8:9], off
	v_mul_u32_u24_e32 v8, 0x210, v13
	v_lshl_add_u32 v8, v10, 4, v8
	s_mov_b64 s[4:5], 0
	v_add_u32_e32 v9, 0x1080, v8
	v_add_u32_e32 v11, 0x2100, v8
	;; [unrolled: 1-line block ×3, first 2 shown]
	s_waitcnt vmcnt(3)
	ds_write2_b64 v8, v[2:3], v[4:5] offset1:1
	s_waitcnt vmcnt(2)
	ds_write2_b64 v9, v[14:15], v[16:17] offset1:1
	s_waitcnt vmcnt(1)
	ds_write2_b64 v11, v[18:19], v[20:21] offset1:1
	s_waitcnt vmcnt(0)
	ds_write2_b64 v12, v[22:23], v[24:25] offset1:1
.LBB24_12:
	s_andn2_b64 vcc, exec, s[4:5]
	v_lshlrev_b32_e32 v14, 4, v10
	s_cbranch_vccnz .LBB24_30
; %bb.13:
	v_lshlrev_b32_e32 v4, 4, v10
	v_sub_co_u32_e32 v2, vcc, v6, v4
	s_ashr_i32 s25, s24, 31
	v_subbrev_co_u32_e32 v3, vcc, 0, v7, vcc
	s_lshl_b64 s[8:9], s[24:25], 4
	v_mov_b32_e32 v5, s9
	v_add_co_u32_e32 v2, vcc, s8, v2
	v_addc_co_u32_e32 v3, vcc, v3, v5, vcc
	v_add_co_u32_e32 v2, vcc, -16, v2
	v_addc_co_u32_e32 v3, vcc, -1, v3, vcc
	v_cmp_gt_i32_e32 vcc, s24, v10
	s_movk_i32 s10, 0x210
	v_cndmask_b32_e32 v3, v3, v7, vcc
	v_cndmask_b32_e32 v2, v2, v6, vcc
	v_cmp_le_i32_e64 s[4:5], s24, v13
	v_mad_u32_u24 v5, v13, s10, v14
	s_and_saveexec_b64 s[10:11], s[4:5]
	s_xor_b64 s[4:5], exec, s[10:11]
; %bb.14:
	v_mov_b32_e32 v15, 0
	v_mov_b32_e32 v16, v15
	;; [unrolled: 1-line block ×4, first 2 shown]
	ds_write_b128 v5, v[15:18]
                                        ; implicit-def: $vgpr5
; %bb.15:
	s_andn2_saveexec_b64 s[4:5], s[4:5]
	s_cbranch_execz .LBB24_17
; %bb.16:
	global_load_dwordx4 v[15:18], v[2:3], off
	s_waitcnt vmcnt(0)
	ds_write2_b64 v5, v[15:16], v[17:18] offset1:1
.LBB24_17:
	s_or_b64 exec, exec, s[4:5]
	v_add_u32_e32 v8, 8, v13
	v_mul_u32_u24_e32 v5, 0x210, v13
	v_cmp_le_i32_e64 s[4:5], s24, v8
	s_and_saveexec_b64 s[10:11], s[4:5]
	s_xor_b64 s[4:5], exec, s[10:11]
	s_cbranch_execz .LBB24_19
; %bb.18:
	v_mov_b32_e32 v15, 0
	v_add_u32_e32 v8, v5, v14
	v_mov_b32_e32 v16, v15
	v_mov_b32_e32 v17, v15
	;; [unrolled: 1-line block ×3, first 2 shown]
	ds_write_b128 v8, v[15:18] offset:4224
.LBB24_19:
	s_andn2_saveexec_b64 s[10:11], s[4:5]
	s_cbranch_execz .LBB24_21
; %bb.20:
	s_lshl_b64 s[4:5], s[20:21], 7
	v_mov_b32_e32 v9, s5
	v_add_co_u32_e64 v8, s[4:5], s4, v2
	v_addc_co_u32_e64 v9, s[4:5], v3, v9, s[4:5]
	global_load_dwordx4 v[15:18], v[8:9], off
	s_movk_i32 s4, 0x1080
	v_add3_u32 v8, v5, v14, s4
	s_waitcnt vmcnt(0)
	ds_write2_b64 v8, v[15:16], v[17:18] offset1:1
.LBB24_21:
	s_or_b64 exec, exec, s[10:11]
	v_add_u32_e32 v8, 16, v13
	v_cmp_le_i32_e64 s[4:5], s24, v8
	s_and_saveexec_b64 s[10:11], s[4:5]
	s_xor_b64 s[4:5], exec, s[10:11]
	s_cbranch_execz .LBB24_23
; %bb.22:
	v_mov_b32_e32 v15, 0
	v_add_u32_e32 v8, v5, v14
	v_mov_b32_e32 v16, v15
	v_mov_b32_e32 v17, v15
	v_mov_b32_e32 v18, v15
	ds_write_b128 v8, v[15:18] offset:8448
.LBB24_23:
	s_andn2_saveexec_b64 s[10:11], s[4:5]
	s_cbranch_execz .LBB24_25
; %bb.24:
	s_lshl_b64 s[4:5], s[20:21], 8
	v_mov_b32_e32 v9, s5
	v_add_co_u32_e64 v8, s[4:5], s4, v2
	v_addc_co_u32_e64 v9, s[4:5], v3, v9, s[4:5]
	global_load_dwordx4 v[15:18], v[8:9], off
	s_movk_i32 s4, 0x2100
	v_add3_u32 v8, v5, v14, s4
	s_waitcnt vmcnt(0)
	ds_write2_b64 v8, v[15:16], v[17:18] offset1:1
.LBB24_25:
	s_or_b64 exec, exec, s[10:11]
	v_add_u32_e32 v8, 24, v13
	v_cmp_le_i32_e64 s[4:5], s24, v8
	s_and_saveexec_b64 s[10:11], s[4:5]
	s_xor_b64 s[4:5], exec, s[10:11]
	s_cbranch_execz .LBB24_27
; %bb.26:
	v_mov_b32_e32 v15, 0
	v_add_u32_e32 v5, v5, v14
	v_mov_b32_e32 v16, v15
	v_mov_b32_e32 v17, v15
	;; [unrolled: 1-line block ×3, first 2 shown]
	ds_write_b128 v5, v[15:18] offset:12672
                                        ; implicit-def: $vgpr5
.LBB24_27:
	s_andn2_saveexec_b64 s[4:5], s[4:5]
	s_cbranch_execz .LBB24_29
; %bb.28:
	v_mov_b32_e32 v8, 0x180
	v_mad_u64_u32 v[8:9], s[10:11], s20, v8, v[2:3]
	s_mul_i32 s10, s21, 0x180
	v_add_u32_e32 v9, s10, v9
	global_load_dwordx4 v[15:18], v[8:9], off
	s_movk_i32 s10, 0x3180
	v_add3_u32 v5, v5, v14, s10
	s_waitcnt vmcnt(0)
	ds_write2_b64 v5, v[15:16], v[17:18] offset1:1
.LBB24_29:
	s_or_b64 exec, exec, s[4:5]
	v_add_co_u32_e64 v2, s[4:5], v2, v4
	v_addc_co_u32_e64 v3, s[4:5], 0, v3, s[4:5]
	v_mov_b32_e32 v4, s9
	v_subrev_co_u32_e64 v2, s[4:5], s8, v2
	v_subb_co_u32_e64 v3, s[4:5], v3, v4, s[4:5]
	v_add_co_u32_e64 v2, s[4:5], 16, v2
	v_addc_co_u32_e64 v3, s[4:5], 0, v3, s[4:5]
	v_cndmask_b32_e32 v7, v3, v7, vcc
	v_cndmask_b32_e32 v6, v2, v6, vcc
.LBB24_30:
	v_lshlrev_b32_e32 v15, 2, v13
	v_mul_u32_u24_e32 v17, 0x210, v10
	v_cmp_ge_u32_e64 s[18:19], v15, v10
	s_mov_b64 s[4:5], 0
	s_waitcnt lgkmcnt(0)
	s_barrier
                                        ; implicit-def: $vgpr9
	s_and_saveexec_b64 s[8:9], s[18:19]
	s_xor_b64 s[8:9], exec, s[8:9]
	s_cbranch_execz .LBB24_34
; %bb.31:
	v_cmp_eq_u32_e32 vcc, v15, v10
                                        ; implicit-def: $vgpr9
	s_and_saveexec_b64 s[10:11], vcc
	s_xor_b64 s[10:11], exec, s[10:11]
; %bb.32:
	s_mov_b64 s[4:5], exec
	v_add_u32_e32 v9, v14, v17
; %bb.33:
	s_or_b64 exec, exec, s[10:11]
	s_and_b64 s[4:5], s[4:5], exec
.LBB24_34:
	s_or_saveexec_b64 s[8:9], s[8:9]
	v_mov_b32_e32 v4, 0
	v_mov_b32_e32 v5, 0
	v_lshl_or_b32 v8, v10, 9, v14
	s_xor_b64 exec, exec, s[8:9]
	s_cbranch_execz .LBB24_36
; %bb.35:
	s_movk_i32 s10, 0x840
	v_mad_u32_u24 v2, v13, s10, v14
	ds_read_b128 v[2:5], v2
	v_lshl_add_u32 v9, v15, 4, v8
	s_or_b64 s[4:5], s[4:5], exec
	s_waitcnt lgkmcnt(0)
	v_xor_b32_e32 v5, 0x80000000, v5
	ds_write_b64 v9, v[2:3]
.LBB24_36:
	s_or_b64 exec, exec, s[8:9]
	s_and_saveexec_b64 s[8:9], s[4:5]
; %bb.37:
	ds_write_b64 v9, v[4:5] offset:8
; %bb.38:
	s_or_b64 exec, exec, s[8:9]
	v_or_b32_e32 v19, 1, v15
	v_cmp_ge_u32_e64 s[8:9], v19, v10
	s_mov_b64 s[4:5], 0
                                        ; implicit-def: $vgpr9
	s_and_saveexec_b64 s[10:11], s[8:9]
	s_xor_b64 s[10:11], exec, s[10:11]
	s_cbranch_execz .LBB24_42
; %bb.39:
	v_cmp_eq_u32_e32 vcc, v19, v10
                                        ; implicit-def: $vgpr9
	s_and_saveexec_b64 s[12:13], vcc
; %bb.40:
	s_mov_b64 s[4:5], exec
	v_add_u32_e32 v9, v14, v17
; %bb.41:
	s_or_b64 exec, exec, s[12:13]
	s_and_b64 s[4:5], s[4:5], exec
.LBB24_42:
	s_or_saveexec_b64 s[10:11], s[10:11]
	v_mov_b32_e32 v4, 0
	v_mov_b32_e32 v5, 0
	s_xor_b64 exec, exec, s[10:11]
	s_cbranch_execz .LBB24_44
; %bb.43:
	s_movk_i32 s12, 0x210
	v_mad_u32_u24 v2, v19, s12, v14
	ds_read_b128 v[2:5], v2
	v_lshl_add_u32 v11, v15, 4, v8
	v_add_u32_e32 v9, 16, v11
	s_or_b64 s[4:5], s[4:5], exec
	s_waitcnt lgkmcnt(0)
	v_xor_b32_e32 v5, 0x80000000, v5
	ds_write_b64 v11, v[2:3] offset:16
.LBB24_44:
	s_or_b64 exec, exec, s[10:11]
	s_and_saveexec_b64 s[10:11], s[4:5]
; %bb.45:
	ds_write_b64 v9, v[4:5] offset:8
; %bb.46:
	s_or_b64 exec, exec, s[10:11]
	v_or_b32_e32 v20, 2, v15
	v_cmp_ge_u32_e64 s[10:11], v20, v10
	s_mov_b64 s[4:5], 0
                                        ; implicit-def: $vgpr9
	s_and_saveexec_b64 s[12:13], s[10:11]
	s_xor_b64 s[12:13], exec, s[12:13]
	s_cbranch_execz .LBB24_50
; %bb.47:
	v_cmp_eq_u32_e32 vcc, v20, v10
                                        ; implicit-def: $vgpr9
	s_and_saveexec_b64 s[14:15], vcc
; %bb.48:
	s_mov_b64 s[4:5], exec
	v_add_u32_e32 v9, v14, v17
; %bb.49:
	s_or_b64 exec, exec, s[14:15]
	s_and_b64 s[4:5], s[4:5], exec
.LBB24_50:
	s_or_saveexec_b64 s[12:13], s[12:13]
	v_mov_b32_e32 v4, 0
	v_mov_b32_e32 v5, 0
	s_xor_b64 exec, exec, s[12:13]
	s_cbranch_execz .LBB24_52
; %bb.51:
	s_movk_i32 s14, 0x210
	v_mad_u32_u24 v2, v20, s14, v14
	ds_read_b128 v[2:5], v2
	v_lshl_add_u32 v11, v15, 4, v8
	v_add_u32_e32 v9, 32, v11
	s_or_b64 s[4:5], s[4:5], exec
	s_waitcnt lgkmcnt(0)
	v_xor_b32_e32 v5, 0x80000000, v5
	ds_write_b64 v11, v[2:3] offset:32
.LBB24_52:
	s_or_b64 exec, exec, s[12:13]
	s_and_saveexec_b64 s[12:13], s[4:5]
; %bb.53:
	ds_write_b64 v9, v[4:5] offset:8
; %bb.54:
	s_or_b64 exec, exec, s[12:13]
	v_or_b32_e32 v21, 3, v15
	v_cmp_ge_u32_e64 s[12:13], v21, v10
	s_mov_b64 s[4:5], 0
                                        ; implicit-def: $vgpr9
	s_and_saveexec_b64 s[14:15], s[12:13]
	s_xor_b64 s[14:15], exec, s[14:15]
	s_cbranch_execz .LBB24_58
; %bb.55:
	v_cmp_eq_u32_e32 vcc, v21, v10
                                        ; implicit-def: $vgpr9
	s_and_saveexec_b64 s[34:35], vcc
; %bb.56:
	s_mov_b64 s[4:5], exec
	v_add_u32_e32 v9, v14, v17
; %bb.57:
	s_or_b64 exec, exec, s[34:35]
	s_and_b64 s[4:5], s[4:5], exec
                                        ; implicit-def: $vgpr8
.LBB24_58:
	s_or_saveexec_b64 s[14:15], s[14:15]
	v_mov_b32_e32 v4, 0
	v_mov_b32_e32 v5, 0
	s_xor_b64 exec, exec, s[14:15]
	s_cbranch_execz .LBB24_60
; %bb.59:
	s_movk_i32 s25, 0x210
	v_mad_u32_u24 v2, v21, s25, v14
	ds_read_b128 v[2:5], v2
	v_lshl_add_u32 v8, v15, 4, v8
	v_add_u32_e32 v9, 48, v8
	s_or_b64 s[4:5], s[4:5], exec
	s_waitcnt lgkmcnt(0)
	v_xor_b32_e32 v5, 0x80000000, v5
	ds_write_b64 v8, v[2:3] offset:48
.LBB24_60:
	s_or_b64 exec, exec, s[14:15]
	s_and_saveexec_b64 s[14:15], s[4:5]
; %bb.61:
	ds_write_b64 v9, v[4:5] offset:8
; %bb.62:
	s_or_b64 exec, exec, s[14:15]
	s_movk_i32 s4, 0x840
	v_lshlrev_b32_e32 v8, 4, v15
	s_waitcnt lgkmcnt(0)
	s_barrier
	v_mad_u32_u24 v9, v13, s4, v14
	ds_read_b128 v[2:5], v8 offset:18176
	ds_read_b128 v[22:25], v9
	ds_read_b128 v[26:29], v8 offset:18192
	s_movk_i32 s25, 0x210
	v_mad_u32_u24 v9, v19, s25, v14
	ds_read_b128 v[30:33], v9
	ds_read_b128 v[34:37], v8 offset:18208
	s_waitcnt lgkmcnt(3)
	v_mul_f64 v[11:12], v[4:5], v[24:25]
	v_mul_f64 v[24:25], v[2:3], v[24:25]
	ds_read_b128 v[45:48], v9 offset:528
	s_waitcnt lgkmcnt(2)
	v_mul_f64 v[42:43], v[28:29], v[32:33]
	v_mul_f64 v[32:33], v[26:27], v[32:33]
	v_cmp_gt_u32_e64 s[4:5], 32, v44
	v_fma_f64 v[11:12], v[2:3], v[22:23], -v[11:12]
	v_fma_f64 v[49:50], v[4:5], v[22:23], v[24:25]
	ds_read_b128 v[2:5], v8 offset:18224
	ds_read_b128 v[22:25], v9 offset:1056
	v_fma_f64 v[26:27], v[26:27], v[30:31], -v[42:43]
	s_waitcnt lgkmcnt(2)
	v_mul_f64 v[42:43], v[36:37], v[47:48]
	v_fma_f64 v[28:29], v[28:29], v[30:31], v[32:33]
	v_mul_f64 v[30:31], v[34:35], v[47:48]
	s_waitcnt lgkmcnt(0)
	v_mul_f64 v[47:48], v[4:5], v[24:25]
	v_add_f64 v[11:12], v[11:12], 0
	v_add_f64 v[32:33], v[49:50], 0
	v_mul_f64 v[24:25], v[2:3], v[24:25]
	v_mul_u32_u24_e32 v9, 33, v10
	v_fma_f64 v[34:35], v[34:35], v[45:46], -v[42:43]
	s_barrier
	v_add_f64 v[11:12], v[11:12], v[26:27]
	v_fma_f64 v[26:27], v[36:37], v[45:46], v[30:31]
	v_add_f64 v[28:29], v[32:33], v[28:29]
	v_fma_f64 v[30:31], v[2:3], v[22:23], -v[47:48]
	v_fma_f64 v[4:5], v[4:5], v[22:23], v[24:25]
	v_mov_b32_e32 v2, 0
	v_lshlrev_b32_e32 v45, 4, v9
	v_mov_b32_e32 v3, 0
	v_add_f64 v[11:12], v[11:12], v[34:35]
	v_lshl_add_u32 v46, v13, 4, v45
	v_add_f64 v[24:25], v[28:29], v[26:27]
	v_add_f64 v[22:23], v[11:12], v[30:31]
	;; [unrolled: 1-line block ×3, first 2 shown]
	v_mov_b32_e32 v4, 0
	v_mov_b32_e32 v5, 0
	ds_write_b128 v46, v[22:25]
	s_waitcnt lgkmcnt(0)
	s_barrier
	s_and_saveexec_b64 s[14:15], s[4:5]
	s_cbranch_execz .LBB24_64
; %bb.63:
	ds_read_b128 v[2:5], v45
	ds_read_b128 v[22:25], v45 offset:16
	s_waitcnt lgkmcnt(0)
	v_add_f64 v[11:12], v[22:23], v[2:3]
	v_add_f64 v[26:27], v[24:25], v[4:5]
	ds_read_b128 v[2:5], v45 offset:32
	ds_read_b128 v[22:25], v45 offset:48
	s_waitcnt lgkmcnt(1)
	v_add_f64 v[2:3], v[11:12], v[2:3]
	v_add_f64 v[4:5], v[26:27], v[4:5]
	s_waitcnt lgkmcnt(0)
	v_add_f64 v[11:12], v[2:3], v[22:23]
	v_add_f64 v[26:27], v[4:5], v[24:25]
	ds_read_b128 v[2:5], v45 offset:64
	ds_read_b128 v[22:25], v45 offset:80
	s_waitcnt lgkmcnt(1)
	v_add_f64 v[2:3], v[11:12], v[2:3]
	v_add_f64 v[4:5], v[26:27], v[4:5]
	;; [unrolled: 8-line block ×3, first 2 shown]
	s_waitcnt lgkmcnt(0)
	v_add_f64 v[2:3], v[2:3], v[22:23]
	v_add_f64 v[4:5], v[4:5], v[24:25]
.LBB24_64:
	s_or_b64 exec, exec, s[14:15]
	s_lshl_b64 s[14:15], s[20:21], 9
	v_mov_b32_e32 v9, s15
	v_add_co_u32_e32 v6, vcc, s14, v6
	v_addc_co_u32_e32 v7, vcc, v7, v9, vcc
	v_add_co_u32_e32 v11, vcc, 0x200, v6
	v_addc_co_u32_e32 v12, vcc, 0, v7, vcc
	v_cndmask_b32_e64 v9, 0, 1, s[16:17]
	v_mad_u32_u24 v16, v13, s25, v14
	v_cmp_ne_u32_e64 s[14:15], 1, v9
	s_andn2_b64 vcc, exec, s[16:17]
	s_mov_b64 s[16:17], -1
	s_barrier
	s_cbranch_vccnz .LBB24_66
; %bb.65:
	s_lshl_b64 s[16:17], s[20:21], 7
	v_mov_b32_e32 v9, s17
	v_add_co_u32_e32 v34, vcc, s16, v6
	v_addc_co_u32_e32 v35, vcc, v7, v9, vcc
	v_add_co_u32_e32 v36, vcc, s16, v34
	global_load_dwordx4 v[22:25], v[11:12], off
	v_addc_co_u32_e32 v37, vcc, v35, v9, vcc
	global_load_dwordx4 v[26:29], v[34:35], off offset:512
	global_load_dwordx4 v[30:33], v[36:37], off offset:512
	v_add_co_u32_e32 v34, vcc, s16, v36
	v_addc_co_u32_e32 v35, vcc, v37, v9, vcc
	global_load_dwordx4 v[34:37], v[34:35], off offset:512
	s_mov_b64 s[16:17], 0
	v_add_u32_e32 v9, 0x1080, v16
	v_add_u32_e32 v18, 0x2100, v16
	;; [unrolled: 1-line block ×3, first 2 shown]
	s_waitcnt vmcnt(3)
	ds_write2_b64 v16, v[22:23], v[24:25] offset1:1
	s_waitcnt vmcnt(2)
	ds_write2_b64 v9, v[26:27], v[28:29] offset1:1
	;; [unrolled: 2-line block ×4, first 2 shown]
.LBB24_66:
	s_andn2_b64 vcc, exec, s[16:17]
	s_cbranch_vccnz .LBB24_84
; %bb.67:
	v_lshlrev_b32_e32 v9, 4, v10
	v_sub_co_u32_e32 v6, vcc, v6, v9
	s_ashr_i32 s25, s24, 31
	v_subbrev_co_u32_e32 v7, vcc, 0, v7, vcc
	s_lshl_b64 s[34:35], s[24:25], 4
	v_mov_b32_e32 v22, s35
	v_add_co_u32_e32 v6, vcc, s34, v6
	v_addc_co_u32_e32 v7, vcc, v7, v22, vcc
	v_or_b32_e32 v18, 32, v10
	v_add_co_u32_e32 v6, vcc, -16, v6
	v_addc_co_u32_e32 v7, vcc, -1, v7, vcc
	v_cmp_gt_i32_e64 s[16:17], s24, v18
	s_sub_i32 s25, s24, 32
	v_cndmask_b32_e64 v7, v7, v12, s[16:17]
	v_cndmask_b32_e64 v6, v6, v11, s[16:17]
	v_cmp_le_i32_e32 vcc, s25, v13
	s_and_saveexec_b64 s[38:39], vcc
	s_xor_b64 s[38:39], exec, s[38:39]
; %bb.68:
	v_mov_b32_e32 v22, 0
	v_mov_b32_e32 v23, v22
	;; [unrolled: 1-line block ×4, first 2 shown]
	ds_write_b128 v16, v[22:25]
; %bb.69:
	s_andn2_saveexec_b64 s[38:39], s[38:39]
	s_cbranch_execz .LBB24_71
; %bb.70:
	global_load_dwordx4 v[22:25], v[6:7], off
	s_waitcnt vmcnt(0)
	ds_write2_b64 v16, v[22:23], v[24:25] offset1:1
.LBB24_71:
	s_or_b64 exec, exec, s[38:39]
	v_add_u32_e32 v22, 8, v13
	v_mul_u32_u24_e32 v18, 0x210, v13
	v_cmp_le_i32_e32 vcc, s25, v22
	s_and_saveexec_b64 s[38:39], vcc
	s_xor_b64 s[38:39], exec, s[38:39]
	s_cbranch_execz .LBB24_73
; %bb.72:
	v_mov_b32_e32 v22, 0
	v_add_u32_e32 v26, v18, v14
	v_mov_b32_e32 v23, v22
	v_mov_b32_e32 v24, v22
	;; [unrolled: 1-line block ×3, first 2 shown]
	ds_write_b128 v26, v[22:25] offset:4224
.LBB24_73:
	s_andn2_saveexec_b64 s[38:39], s[38:39]
	s_cbranch_execz .LBB24_75
; %bb.74:
	s_lshl_b64 s[42:43], s[20:21], 7
	v_mov_b32_e32 v23, s43
	v_add_co_u32_e32 v22, vcc, s42, v6
	v_addc_co_u32_e32 v23, vcc, v7, v23, vcc
	global_load_dwordx4 v[22:25], v[22:23], off
	s_movk_i32 s42, 0x1080
	v_add3_u32 v26, v18, v14, s42
	s_waitcnt vmcnt(0)
	ds_write2_b64 v26, v[22:23], v[24:25] offset1:1
.LBB24_75:
	s_or_b64 exec, exec, s[38:39]
	v_add_u32_e32 v22, 16, v13
	v_cmp_le_i32_e32 vcc, s25, v22
	s_and_saveexec_b64 s[38:39], vcc
	s_xor_b64 s[38:39], exec, s[38:39]
	s_cbranch_execz .LBB24_77
; %bb.76:
	v_mov_b32_e32 v22, 0
	v_add_u32_e32 v26, v18, v14
	v_mov_b32_e32 v23, v22
	v_mov_b32_e32 v24, v22
	;; [unrolled: 1-line block ×3, first 2 shown]
	ds_write_b128 v26, v[22:25] offset:8448
.LBB24_77:
	s_andn2_saveexec_b64 s[38:39], s[38:39]
	s_cbranch_execz .LBB24_79
; %bb.78:
	s_lshl_b64 s[42:43], s[20:21], 8
	v_mov_b32_e32 v23, s43
	v_add_co_u32_e32 v22, vcc, s42, v6
	v_addc_co_u32_e32 v23, vcc, v7, v23, vcc
	global_load_dwordx4 v[22:25], v[22:23], off
	s_movk_i32 s42, 0x2100
	v_add3_u32 v26, v18, v14, s42
	s_waitcnt vmcnt(0)
	ds_write2_b64 v26, v[22:23], v[24:25] offset1:1
.LBB24_79:
	s_or_b64 exec, exec, s[38:39]
	v_add_u32_e32 v22, 24, v13
	v_cmp_le_i32_e32 vcc, s25, v22
	s_and_saveexec_b64 s[38:39], vcc
	s_xor_b64 s[38:39], exec, s[38:39]
	s_cbranch_execz .LBB24_81
; %bb.80:
	v_mov_b32_e32 v22, 0
	v_add_u32_e32 v18, v18, v14
	v_mov_b32_e32 v23, v22
	v_mov_b32_e32 v24, v22
	;; [unrolled: 1-line block ×3, first 2 shown]
	ds_write_b128 v18, v[22:25] offset:12672
                                        ; implicit-def: $vgpr18
.LBB24_81:
	s_andn2_saveexec_b64 s[38:39], s[38:39]
	s_cbranch_execz .LBB24_83
; %bb.82:
	v_mov_b32_e32 v22, 0x180
	v_mad_u64_u32 v[22:23], s[42:43], s20, v22, v[6:7]
	s_mul_i32 s25, s21, 0x180
	v_add_u32_e32 v23, s25, v23
	global_load_dwordx4 v[22:25], v[22:23], off
	s_movk_i32 s25, 0x3180
	v_add3_u32 v18, v18, v14, s25
	s_waitcnt vmcnt(0)
	ds_write2_b64 v18, v[22:23], v[24:25] offset1:1
.LBB24_83:
	s_or_b64 exec, exec, s[38:39]
	v_add_co_u32_e32 v6, vcc, v6, v9
	v_addc_co_u32_e32 v7, vcc, 0, v7, vcc
	v_mov_b32_e32 v9, s35
	v_subrev_co_u32_e32 v6, vcc, s34, v6
	v_subb_co_u32_e32 v7, vcc, v7, v9, vcc
	v_add_co_u32_e32 v6, vcc, 0x210, v6
	v_addc_co_u32_e32 v7, vcc, 0, v7, vcc
	v_cndmask_b32_e64 v12, v7, v12, s[16:17]
	v_cndmask_b32_e64 v11, v6, v11, s[16:17]
.LBB24_84:
	v_mul_u32_u24_e32 v6, 0x840, v13
	v_add_u32_e32 v18, 0x4700, v8
	v_mul_u32_u24_e32 v23, 0x210, v19
	s_lshl_b64 s[16:17], s[20:21], 5
	s_mov_b64 s[34:35], 0
	s_waitcnt lgkmcnt(0)
	s_barrier
                                        ; implicit-def: $vgpr24
	s_and_saveexec_b64 s[38:39], s[18:19]
	s_xor_b64 s[18:19], exec, s[38:39]
	s_cbranch_execz .LBB24_88
; %bb.85:
	v_cmp_eq_u32_e32 vcc, v15, v10
                                        ; implicit-def: $vgpr24
	s_and_saveexec_b64 s[38:39], vcc
	s_xor_b64 s[38:39], exec, s[38:39]
; %bb.86:
	s_mov_b64 s[34:35], exec
	v_add_u32_e32 v24, v14, v17
; %bb.87:
	s_or_b64 exec, exec, s[38:39]
	s_and_b64 s[34:35], s[34:35], exec
.LBB24_88:
	s_or_saveexec_b64 s[18:19], s[18:19]
	v_mov_b32_e32 v8, 0
	v_mov_b32_e32 v9, 0
	v_add_u32_e32 v22, v14, v6
	s_xor_b64 exec, exec, s[18:19]
	s_cbranch_execz .LBB24_90
; %bb.89:
	ds_read_b128 v[6:9], v22
	v_lshl_add_u32 v24, v15, 4, v45
	s_or_b64 s[34:35], s[34:35], exec
	s_waitcnt lgkmcnt(0)
	v_xor_b32_e32 v9, 0x80000000, v9
	ds_write_b64 v24, v[6:7]
.LBB24_90:
	s_or_b64 exec, exec, s[18:19]
	s_and_saveexec_b64 s[18:19], s[34:35]
; %bb.91:
	ds_write_b64 v24, v[8:9] offset:8
; %bb.92:
	s_or_b64 exec, exec, s[18:19]
	s_mov_b64 s[18:19], 0
                                        ; implicit-def: $vgpr24
	s_and_saveexec_b64 s[34:35], s[8:9]
	s_xor_b64 s[8:9], exec, s[34:35]
	s_cbranch_execz .LBB24_96
; %bb.93:
	v_cmp_eq_u32_e32 vcc, v19, v10
                                        ; implicit-def: $vgpr24
	s_and_saveexec_b64 s[34:35], vcc
; %bb.94:
	s_mov_b64 s[18:19], exec
	v_add_u32_e32 v24, v14, v17
; %bb.95:
	s_or_b64 exec, exec, s[34:35]
	s_and_b64 s[18:19], s[18:19], exec
.LBB24_96:
	s_or_saveexec_b64 s[8:9], s[8:9]
	v_mov_b32_e32 v8, 0
	v_mov_b32_e32 v9, 0
	v_add_u32_e32 v19, v14, v23
	s_xor_b64 exec, exec, s[8:9]
	s_cbranch_execz .LBB24_98
; %bb.97:
	ds_read_b128 v[6:9], v19
	v_lshl_add_u32 v23, v15, 4, v45
	v_add_u32_e32 v24, 16, v23
	s_or_b64 s[18:19], s[18:19], exec
	s_waitcnt lgkmcnt(0)
	v_xor_b32_e32 v9, 0x80000000, v9
	ds_write_b64 v23, v[6:7] offset:16
.LBB24_98:
	s_or_b64 exec, exec, s[8:9]
	s_and_saveexec_b64 s[8:9], s[18:19]
; %bb.99:
	ds_write_b64 v24, v[8:9] offset:8
; %bb.100:
	s_or_b64 exec, exec, s[8:9]
	s_mov_b64 s[8:9], 0
                                        ; implicit-def: $vgpr23
	s_and_saveexec_b64 s[18:19], s[10:11]
	s_xor_b64 s[10:11], exec, s[18:19]
	s_cbranch_execz .LBB24_104
; %bb.101:
	v_cmp_eq_u32_e32 vcc, v20, v10
                                        ; implicit-def: $vgpr23
	s_and_saveexec_b64 s[18:19], vcc
; %bb.102:
	s_mov_b64 s[8:9], exec
	v_add_u32_e32 v23, v14, v17
; %bb.103:
	s_or_b64 exec, exec, s[18:19]
	s_and_b64 s[8:9], s[8:9], exec
.LBB24_104:
	s_or_saveexec_b64 s[10:11], s[10:11]
	v_mov_b32_e32 v8, 0
	v_mov_b32_e32 v9, 0
	s_xor_b64 exec, exec, s[10:11]
	s_cbranch_execz .LBB24_106
; %bb.105:
	ds_read_b128 v[6:9], v19 offset:528
	v_lshl_add_u32 v20, v15, 4, v45
	v_add_u32_e32 v23, 32, v20
	s_or_b64 s[8:9], s[8:9], exec
	s_waitcnt lgkmcnt(0)
	v_xor_b32_e32 v9, 0x80000000, v9
	ds_write_b64 v20, v[6:7] offset:32
.LBB24_106:
	s_or_b64 exec, exec, s[10:11]
	s_and_saveexec_b64 s[10:11], s[8:9]
; %bb.107:
	ds_write_b64 v23, v[8:9] offset:8
; %bb.108:
	s_or_b64 exec, exec, s[10:11]
	s_mov_b64 s[8:9], 0
                                        ; implicit-def: $vgpr20
	s_and_saveexec_b64 s[10:11], s[12:13]
	s_xor_b64 s[10:11], exec, s[10:11]
	s_cbranch_execz .LBB24_112
; %bb.109:
	v_cmp_eq_u32_e32 vcc, v21, v10
                                        ; implicit-def: $vgpr20
	s_and_saveexec_b64 s[12:13], vcc
; %bb.110:
	s_mov_b64 s[8:9], exec
	v_add_u32_e32 v20, v14, v17
; %bb.111:
	s_or_b64 exec, exec, s[12:13]
	s_and_b64 s[8:9], s[8:9], exec
.LBB24_112:
	s_or_saveexec_b64 s[10:11], s[10:11]
	v_mov_b32_e32 v8, 0
	v_mov_b32_e32 v9, 0
	s_xor_b64 exec, exec, s[10:11]
	s_cbranch_execz .LBB24_114
; %bb.113:
	ds_read_b128 v[6:9], v19 offset:1056
	v_lshl_add_u32 v17, v15, 4, v45
	v_add_u32_e32 v20, 48, v17
	s_or_b64 s[8:9], s[8:9], exec
	s_waitcnt lgkmcnt(0)
	v_xor_b32_e32 v9, 0x80000000, v9
	ds_write_b64 v17, v[6:7] offset:48
.LBB24_114:
	s_or_b64 exec, exec, s[10:11]
	s_and_saveexec_b64 s[10:11], s[8:9]
; %bb.115:
	ds_write_b64 v20, v[8:9] offset:8
; %bb.116:
	s_or_b64 exec, exec, s[10:11]
	s_waitcnt lgkmcnt(0)
	s_barrier
	ds_read_b128 v[6:9], v22
	ds_read_b128 v[20:23], v18 offset:512
	ds_read_b128 v[24:27], v18 offset:528
	;; [unrolled: 1-line block ×3, first 2 shown]
	ds_read_b128 v[32:35], v19
	ds_read_b128 v[47:50], v18 offset:544
	ds_read_b128 v[51:54], v19 offset:528
	v_cmp_eq_u32_e64 s[10:11], 1, v13
	s_waitcnt lgkmcnt(5)
	v_mul_f64 v[36:37], v[22:23], v[8:9]
	v_mul_f64 v[8:9], v[20:21], v[8:9]
	s_waitcnt lgkmcnt(2)
	v_mul_f64 v[42:43], v[26:27], v[34:35]
	v_mul_f64 v[34:35], v[24:25], v[34:35]
	v_fma_f64 v[19:20], v[20:21], v[6:7], -v[36:37]
	v_fma_f64 v[21:22], v[22:23], v[6:7], v[8:9]
	s_waitcnt lgkmcnt(0)
	v_mul_f64 v[36:37], v[49:50], v[53:54]
	v_mul_f64 v[53:54], v[47:48], v[53:54]
	v_fma_f64 v[23:24], v[24:25], v[32:33], -v[42:43]
	v_fma_f64 v[25:26], v[26:27], v[32:33], v[34:35]
	ds_read_b128 v[6:9], v18 offset:560
	s_waitcnt lgkmcnt(0)
	v_add_f64 v[19:20], v[19:20], 0
	v_add_f64 v[21:22], v[21:22], 0
	v_fma_f64 v[34:35], v[47:48], v[51:52], -v[36:37]
	v_mul_f64 v[32:33], v[8:9], v[30:31]
	v_mul_f64 v[30:31], v[6:7], v[30:31]
	v_fma_f64 v[36:37], v[49:50], v[51:52], v[53:54]
	s_barrier
	v_add_f64 v[19:20], v[19:20], v[23:24]
	v_add_f64 v[21:22], v[21:22], v[25:26]
	v_fma_f64 v[6:7], v[6:7], v[28:29], -v[32:33]
	v_fma_f64 v[8:9], v[8:9], v[28:29], v[30:31]
	v_add_f64 v[19:20], v[19:20], v[34:35]
	v_add_f64 v[21:22], v[21:22], v[36:37]
	;; [unrolled: 1-line block ×4, first 2 shown]
	ds_write_b128 v46, v[6:9]
	s_waitcnt lgkmcnt(0)
	s_barrier
	s_and_saveexec_b64 s[8:9], s[10:11]
	s_cbranch_execz .LBB24_118
; %bb.117:
	ds_read_b128 v[2:5], v45
	ds_read_b128 v[6:9], v45 offset:16
	s_waitcnt lgkmcnt(0)
	v_add_f64 v[19:20], v[6:7], v[2:3]
	v_add_f64 v[21:22], v[8:9], v[4:5]
	ds_read_b128 v[2:5], v45 offset:32
	ds_read_b128 v[6:9], v45 offset:48
	s_waitcnt lgkmcnt(1)
	v_add_f64 v[2:3], v[19:20], v[2:3]
	v_add_f64 v[4:5], v[21:22], v[4:5]
	s_waitcnt lgkmcnt(0)
	v_add_f64 v[19:20], v[2:3], v[6:7]
	v_add_f64 v[21:22], v[4:5], v[8:9]
	ds_read_b128 v[2:5], v45 offset:64
	ds_read_b128 v[6:9], v45 offset:80
	s_waitcnt lgkmcnt(1)
	v_add_f64 v[2:3], v[19:20], v[2:3]
	v_add_f64 v[4:5], v[21:22], v[4:5]
	;; [unrolled: 8-line block ×3, first 2 shown]
	s_waitcnt lgkmcnt(0)
	v_add_f64 v[2:3], v[2:3], v[6:7]
	v_add_f64 v[4:5], v[4:5], v[8:9]
.LBB24_118:
	s_or_b64 exec, exec, s[8:9]
	s_lshl_b64 s[8:9], s[16:17], 4
	v_mov_b32_e32 v6, s9
	v_subrev_co_u32_e64 v42, s[8:9], s8, v11
	s_and_b64 vcc, exec, s[14:15]
	v_subb_co_u32_e64 v43, s[8:9], v12, v6, s[8:9]
	s_barrier
	s_cbranch_vccnz .LBB24_120
; %bb.119:
	s_lshl_b64 s[8:9], s[20:21], 7
	v_mov_b32_e32 v11, s9
	v_add_co_u32_e32 v6, vcc, s8, v42
	v_addc_co_u32_e32 v7, vcc, v43, v11, vcc
	v_add_co_u32_e32 v8, vcc, s8, v6
	global_load_dwordx4 v[19:22], v[42:43], off
	v_addc_co_u32_e32 v9, vcc, v7, v11, vcc
	global_load_dwordx4 v[23:26], v[6:7], off
	global_load_dwordx4 v[27:30], v[8:9], off
	v_add_co_u32_e32 v6, vcc, s8, v8
	v_addc_co_u32_e32 v7, vcc, v9, v11, vcc
	global_load_dwordx4 v[31:34], v[6:7], off
	v_add_u32_e32 v8, 8, v13
	s_movk_i32 s8, 0x210
	v_mov_b32_e32 v6, 0x1080
	v_mov_b32_e32 v12, 0x2100
	v_add_u32_e32 v11, 16, v13
	v_add_u32_e32 v9, 24, v13
	v_mul_u32_u24_e32 v7, 0x210, v8
	v_mad_u32_u24 v17, v8, s8, v14
	v_mad_u32_u24 v6, v8, s8, v6
	;; [unrolled: 1-line block ×3, first 2 shown]
	v_add_u32_e32 v35, v14, v6
	v_add_u32_e32 v36, v14, v12
	s_waitcnt vmcnt(3)
	ds_write2_b64 v16, v[19:20], v[21:22] offset1:1
	s_waitcnt vmcnt(2)
	ds_write2_b64 v17, v[23:24], v[25:26] offset1:1
	;; [unrolled: 2-line block ×4, first 2 shown]
	s_cbranch_execz .LBB24_121
	s_branch .LBB24_138
.LBB24_120:
                                        ; implicit-def: $vgpr8
                                        ; implicit-def: $vgpr7
                                        ; implicit-def: $vgpr11
                                        ; implicit-def: $vgpr6
                                        ; implicit-def: $vgpr9
                                        ; implicit-def: $vgpr12
.LBB24_121:
	v_or_b32_e32 v6, 32, v10
	v_lshlrev_b32_e32 v10, 4, v10
	v_sub_co_u32_e32 v7, vcc, v42, v10
	s_ashr_i32 s25, s24, 31
	v_subbrev_co_u32_e32 v8, vcc, 0, v43, vcc
	s_lshl_b64 s[12:13], s[24:25], 4
	v_mov_b32_e32 v9, s13
	v_add_co_u32_e32 v7, vcc, s12, v7
	v_addc_co_u32_e32 v8, vcc, v8, v9, vcc
	v_add_co_u32_e32 v9, vcc, 0xfffffdf0, v7
	v_addc_co_u32_e32 v7, vcc, -1, v8, vcc
	v_cmp_gt_i32_e64 s[8:9], s24, v6
	v_cndmask_b32_e64 v7, v7, v43, s[8:9]
	v_cndmask_b32_e64 v6, v9, v42, s[8:9]
	v_cmp_le_i32_e32 vcc, s24, v13
	s_and_saveexec_b64 s[14:15], vcc
	s_xor_b64 s[14:15], exec, s[14:15]
; %bb.122:
	v_mov_b32_e32 v19, 0
	v_mov_b32_e32 v20, v19
	;; [unrolled: 1-line block ×4, first 2 shown]
	ds_write_b128 v16, v[19:22]
; %bb.123:
	s_andn2_saveexec_b64 s[14:15], s[14:15]
	s_cbranch_execz .LBB24_125
; %bb.124:
	global_load_dwordx4 v[19:22], v[6:7], off
	s_waitcnt vmcnt(0)
	ds_write2_b64 v16, v[19:20], v[21:22] offset1:1
.LBB24_125:
	s_or_b64 exec, exec, s[14:15]
	v_add_u32_e32 v8, 8, v13
	v_cmp_le_i32_e32 vcc, s24, v8
	s_and_saveexec_b64 s[14:15], vcc
	s_xor_b64 s[14:15], exec, s[14:15]
	s_cbranch_execz .LBB24_127
; %bb.126:
	s_movk_i32 s16, 0x210
	v_mov_b32_e32 v19, 0
	v_mad_u32_u24 v9, v8, s16, v14
	v_mov_b32_e32 v20, v19
	v_mov_b32_e32 v21, v19
	;; [unrolled: 1-line block ×3, first 2 shown]
	ds_write_b128 v9, v[19:22]
.LBB24_127:
	s_andn2_saveexec_b64 s[14:15], s[14:15]
	s_cbranch_execz .LBB24_129
; %bb.128:
	s_lshl_b64 s[16:17], s[20:21], 7
	v_mov_b32_e32 v9, s17
	v_add_co_u32_e32 v11, vcc, s16, v6
	v_addc_co_u32_e32 v12, vcc, v7, v9, vcc
	global_load_dwordx4 v[19:22], v[11:12], off
	s_movk_i32 s16, 0x210
	v_mad_u32_u24 v9, v8, s16, v14
	s_waitcnt vmcnt(0)
	ds_write2_b64 v9, v[19:20], v[21:22] offset1:1
.LBB24_129:
	s_or_b64 exec, exec, s[14:15]
	v_add_u32_e32 v11, 16, v13
	v_cmp_le_i32_e32 vcc, s24, v11
	s_and_saveexec_b64 s[14:15], vcc
	s_xor_b64 s[14:15], exec, s[14:15]
	s_cbranch_execz .LBB24_131
; %bb.130:
	s_movk_i32 s16, 0x210
	v_mov_b32_e32 v19, 0
	v_mad_u32_u24 v9, v11, s16, v14
	v_mov_b32_e32 v20, v19
	v_mov_b32_e32 v21, v19
	;; [unrolled: 1-line block ×3, first 2 shown]
	ds_write_b128 v9, v[19:22]
.LBB24_131:
	s_andn2_saveexec_b64 s[14:15], s[14:15]
	s_cbranch_execz .LBB24_133
; %bb.132:
	s_lshl_b64 s[16:17], s[20:21], 8
	v_mov_b32_e32 v9, s17
	v_add_co_u32_e32 v19, vcc, s16, v6
	v_addc_co_u32_e32 v20, vcc, v7, v9, vcc
	global_load_dwordx4 v[19:22], v[19:20], off
	s_movk_i32 s16, 0x210
	v_mad_u32_u24 v9, v11, s16, v14
	s_waitcnt vmcnt(0)
	ds_write2_b64 v9, v[19:20], v[21:22] offset1:1
.LBB24_133:
	s_or_b64 exec, exec, s[14:15]
	v_add_u32_e32 v9, 24, v13
	v_cmp_le_i32_e32 vcc, s24, v9
                                        ; implicit-def: $vgpr12
	s_and_saveexec_b64 s[14:15], vcc
	s_xor_b64 s[14:15], exec, s[14:15]
	s_cbranch_execz .LBB24_135
; %bb.134:
	s_movk_i32 s16, 0x210
	v_mov_b32_e32 v19, 0
	v_mul_u32_u24_e32 v12, 0x210, v9
	v_mad_u32_u24 v17, v9, s16, v14
	v_mov_b32_e32 v20, v19
	v_mov_b32_e32 v21, v19
	v_mov_b32_e32 v22, v19
	ds_write_b128 v17, v[19:22]
.LBB24_135:
	s_andn2_saveexec_b64 s[14:15], s[14:15]
	s_cbranch_execz .LBB24_137
; %bb.136:
	v_mov_b32_e32 v12, 0x180
	v_mad_u64_u32 v[19:20], s[16:17], s20, v12, v[6:7]
	s_mul_i32 s16, s21, 0x180
	v_mul_u32_u24_e32 v12, 0x210, v9
	v_add_u32_e32 v20, s16, v20
	global_load_dwordx4 v[19:22], v[19:20], off
	s_movk_i32 s16, 0x210
	v_mad_u32_u24 v17, v9, s16, v14
	s_waitcnt vmcnt(0)
	ds_write2_b64 v17, v[19:20], v[21:22] offset1:1
.LBB24_137:
	s_or_b64 exec, exec, s[14:15]
	v_add_co_u32_e32 v6, vcc, v6, v10
	v_addc_co_u32_e32 v7, vcc, 0, v7, vcc
	v_mov_b32_e32 v10, s13
	v_subrev_co_u32_e32 v6, vcc, s12, v6
	v_subb_co_u32_e32 v7, vcc, v7, v10, vcc
	v_add_co_u32_e32 v6, vcc, 0x210, v6
	s_movk_i32 s12, 0x210
	v_addc_co_u32_e32 v7, vcc, 0, v7, vcc
	v_cndmask_b32_e64 v42, v6, v42, s[8:9]
	v_mov_b32_e32 v6, 0x1080
	v_cndmask_b32_e64 v43, v7, v43, s[8:9]
	v_mul_u32_u24_e32 v7, 0x210, v8
	v_mad_u32_u24 v6, v8, s12, v6
.LBB24_138:
	v_lshlrev_b32_e32 v10, 4, v13
	s_waitcnt lgkmcnt(0)
	s_barrier
	ds_read_b128 v[19:22], v10 offset:18176
	ds_read_b128 v[23:26], v16
	v_add_u32_e32 v7, v14, v7
	v_lshlrev_b32_e32 v8, 4, v8
	v_lshlrev_b32_e32 v10, 4, v11
	ds_read_b128 v[27:30], v8 offset:18176
	ds_read_b128 v[31:34], v7
	s_waitcnt lgkmcnt(2)
	v_mul_f64 v[7:8], v[21:22], v[25:26]
	v_add_u32_e32 v6, v14, v6
	ds_read_b128 v[47:50], v10 offset:18176
	ds_read_b128 v[51:54], v6
	v_mul_f64 v[10:11], v[19:20], v[25:26]
	s_waitcnt lgkmcnt(2)
	v_mul_f64 v[16:17], v[29:30], v[33:34]
	v_mul_f64 v[25:26], v[27:28], v[33:34]
	v_fma_f64 v[6:7], v[19:20], v[23:24], -v[7:8]
	s_waitcnt lgkmcnt(0)
	v_mul_f64 v[19:20], v[49:50], v[53:54]
	v_fma_f64 v[21:22], v[21:22], v[23:24], v[10:11]
	v_fma_f64 v[16:17], v[27:28], v[31:32], -v[16:17]
	v_fma_f64 v[25:26], v[29:30], v[31:32], v[25:26]
	v_mul_f64 v[27:28], v[47:48], v[53:54]
	v_add_u32_e32 v10, v14, v12
	v_add_f64 v[23:24], v[6:7], 0
	v_lshlrev_b32_e32 v6, 4, v9
	ds_read_b128 v[6:9], v6 offset:18176
	ds_read2_b64 v[10:13], v10 offset1:1
	v_add_f64 v[21:22], v[21:22], 0
	v_fma_f64 v[19:20], v[47:48], v[51:52], -v[19:20]
	v_lshl_add_u32 v14, v15, 4, v45
	v_fma_f64 v[27:28], v[49:50], v[51:52], v[27:28]
	v_add_f64 v[16:17], v[23:24], v[16:17]
	s_waitcnt lgkmcnt(0)
	v_mul_f64 v[23:24], v[8:9], v[12:13]
	v_mul_f64 v[12:13], v[6:7], v[12:13]
	v_add_f64 v[21:22], v[21:22], v[25:26]
	v_add_f64 v[16:17], v[16:17], v[19:20]
	v_fma_f64 v[34:35], v[6:7], v[10:11], -v[23:24]
	v_fma_f64 v[36:37], v[8:9], v[10:11], v[12:13]
	v_add_f64 v[19:20], v[21:22], v[27:28]
	ds_read_b128 v[30:33], v18 offset:512
	ds_read_b128 v[22:25], v18 offset:528
	;; [unrolled: 1-line block ×4, first 2 shown]
	v_add_f64 v[47:48], v[16:17], v[34:35]
	v_add_f64 v[49:50], v[19:20], v[36:37]
	ds_read_b128 v[34:37], v14
	ds_read_b128 v[26:29], v14 offset:16
	ds_read_b128 v[18:21], v14 offset:32
	ds_read_b128 v[14:17], v14 offset:48
	s_waitcnt lgkmcnt(0)
	s_barrier
	ds_write_b128 v46, v[47:50]
	s_waitcnt lgkmcnt(0)
	s_barrier
	s_and_saveexec_b64 s[8:9], s[10:11]
	s_cbranch_execz .LBB24_140
; %bb.139:
	ds_read_b128 v[47:50], v45
	ds_read_b128 v[51:54], v45 offset:16
	s_waitcnt lgkmcnt(1)
	v_add_f64 v[2:3], v[2:3], v[47:48]
	v_add_f64 v[4:5], v[4:5], v[49:50]
	s_waitcnt lgkmcnt(0)
	v_add_f64 v[51:52], v[2:3], v[51:52]
	v_add_f64 v[53:54], v[4:5], v[53:54]
	ds_read_b128 v[2:5], v45 offset:32
	ds_read_b128 v[47:50], v45 offset:48
	s_waitcnt lgkmcnt(1)
	v_add_f64 v[2:3], v[51:52], v[2:3]
	v_add_f64 v[4:5], v[53:54], v[4:5]
	s_waitcnt lgkmcnt(0)
	v_add_f64 v[51:52], v[2:3], v[47:48]
	v_add_f64 v[53:54], v[4:5], v[49:50]
	ds_read_b128 v[2:5], v45 offset:64
	;; [unrolled: 8-line block ×3, first 2 shown]
	ds_read_b128 v[47:50], v45 offset:112
	s_waitcnt lgkmcnt(1)
	v_add_f64 v[2:3], v[51:52], v[2:3]
	v_add_f64 v[4:5], v[53:54], v[4:5]
	s_waitcnt lgkmcnt(0)
	v_add_f64 v[2:3], v[2:3], v[47:48]
	v_add_f64 v[4:5], v[4:5], v[49:50]
.LBB24_140:
	s_or_b64 exec, exec, s[8:9]
	v_mul_f64 v[47:48], v[36:37], v[32:33]
	v_mul_f64 v[36:37], v[36:37], v[30:31]
	;; [unrolled: 1-line block ×4, first 2 shown]
	s_barrier
	v_fma_f64 v[30:31], v[34:35], v[30:31], v[47:48]
	v_fma_f64 v[32:33], v[34:35], v[32:33], -v[36:37]
	v_mul_f64 v[34:35], v[20:21], v[12:13]
	v_mul_f64 v[20:21], v[20:21], v[10:11]
	v_fma_f64 v[22:23], v[26:27], v[22:23], v[49:50]
	v_fma_f64 v[24:25], v[26:27], v[24:25], -v[28:29]
	v_add_f64 v[26:27], v[30:31], 0
	v_add_f64 v[28:29], v[32:33], 0
	v_mul_f64 v[30:31], v[16:17], v[8:9]
	v_mul_f64 v[16:17], v[16:17], v[6:7]
	v_fma_f64 v[10:11], v[18:19], v[10:11], v[34:35]
	v_fma_f64 v[12:13], v[18:19], v[12:13], -v[20:21]
	v_add_f64 v[18:19], v[26:27], v[22:23]
	v_add_f64 v[20:21], v[28:29], v[24:25]
	v_fma_f64 v[6:7], v[14:15], v[6:7], v[30:31]
	v_fma_f64 v[8:9], v[14:15], v[8:9], -v[16:17]
	v_add_f64 v[10:11], v[18:19], v[10:11]
	v_add_f64 v[12:13], v[20:21], v[12:13]
	;; [unrolled: 1-line block ×4, first 2 shown]
	ds_write_b128 v46, v[6:9]
	s_waitcnt lgkmcnt(0)
	s_barrier
	s_and_saveexec_b64 s[8:9], s[4:5]
	s_cbranch_execz .LBB24_142
; %bb.141:
	ds_read_b128 v[6:9], v45
	ds_read_b128 v[10:13], v45 offset:16
	s_waitcnt lgkmcnt(1)
	v_add_f64 v[2:3], v[2:3], v[6:7]
	v_add_f64 v[4:5], v[4:5], v[8:9]
	s_waitcnt lgkmcnt(0)
	v_add_f64 v[10:11], v[2:3], v[10:11]
	v_add_f64 v[12:13], v[4:5], v[12:13]
	ds_read_b128 v[2:5], v45 offset:32
	ds_read_b128 v[6:9], v45 offset:48
	s_waitcnt lgkmcnt(1)
	v_add_f64 v[2:3], v[10:11], v[2:3]
	v_add_f64 v[4:5], v[12:13], v[4:5]
	s_waitcnt lgkmcnt(0)
	v_add_f64 v[10:11], v[2:3], v[6:7]
	v_add_f64 v[12:13], v[4:5], v[8:9]
	ds_read_b128 v[2:5], v45 offset:64
	;; [unrolled: 8-line block ×3, first 2 shown]
	ds_read_b128 v[6:9], v45 offset:112
	s_waitcnt lgkmcnt(1)
	v_add_f64 v[2:3], v[10:11], v[2:3]
	v_add_f64 v[4:5], v[12:13], v[4:5]
	s_waitcnt lgkmcnt(0)
	v_add_f64 v[2:3], v[2:3], v[6:7]
	v_add_f64 v[4:5], v[4:5], v[8:9]
.LBB24_142:
	s_or_b64 exec, exec, s[8:9]
	s_mul_hi_u32 s4, s33, s7
	s_mul_i32 s41, s41, s7
	s_add_i32 s4, s4, s41
	s_mul_i32 s7, s33, s7
	s_mul_i32 s4, s4, s40
	s_mul_hi_u32 s5, s7, s40
	s_add_i32 s5, s5, s4
	s_mul_i32 s4, s7, s40
	s_lshl_b64 s[4:5], s[4:5], 4
	s_add_u32 s7, s28, s4
	s_mul_i32 s4, s33, s6
	s_addc_u32 s8, s29, s5
	s_ashr_i32 s5, s4, 31
	s_lshl_b64 s[4:5], s[4:5], 4
	s_add_u32 s7, s7, s4
	v_cmp_le_i32_e32 vcc, s24, v0
	s_addc_u32 s14, s8, s5
	s_and_b64 vcc, s[30:31], vcc
	s_cmp_lt_i32 s6, 1
	v_lshlrev_b32_e32 v148, 4, v0
	s_barrier
	s_cbranch_scc1 .LBB24_149
; %bb.143:
	s_mul_i32 s4, s36, s27
	s_mul_hi_u32 s5, s36, s26
	s_add_i32 s4, s5, s4
	s_mul_i32 s5, s37, s26
	s_add_i32 s5, s4, s5
	s_mul_i32 s4, s36, s26
	s_lshl_b64 s[4:5], s[4:5], 4
	v_mov_b32_e32 v6, s5
	v_subrev_co_u32_e64 v149, s[4:5], s4, v38
	v_lshlrev_b32_e32 v10, 2, v1
	v_subb_co_u32_e64 v150, s[4:5], v39, v6, s[4:5]
	v_mad_u64_u32 v[6:7], s[4:5], s20, v10, 0
	v_mov_b32_e32 v8, s23
	v_subrev_co_u32_e64 v11, s[4:5], s22, v42
	v_subb_co_u32_e64 v13, s[4:5], v43, v8, s[4:5]
	v_mad_u64_u32 v[7:8], s[4:5], s21, v10, v[7:8]
	v_sub_co_u32_e64 v8, s[4:5], v11, v40
	v_lshlrev_b64 v[6:7], 4, v[6:7]
	v_subb_co_u32_e64 v10, s[4:5], v13, v41, s[4:5]
	v_add_co_u32_e64 v6, s[4:5], v8, v6
	v_addc_co_u32_e64 v7, s[4:5], v10, v7, s[4:5]
	s_ashr_i32 s25, s24, 31
	s_lshl_b64 s[4:5], s[24:25], 4
	v_mov_b32_e32 v8, s5
	v_add_co_u32_e64 v10, s[4:5], s4, v6
	v_addc_co_u32_e64 v8, s[4:5], v7, v8, s[4:5]
	s_movk_i32 s4, 0xfdf0
	v_add_co_u32_e64 v10, s[4:5], s4, v10
	v_addc_co_u32_e64 v8, s[4:5], -1, v8, s[4:5]
	v_add_co_u32_e64 v6, s[4:5], v6, v148
	v_addc_co_u32_e64 v7, s[4:5], 0, v7, s[4:5]
	s_movk_i32 s4, 0xfe00
	v_add_co_u32_e64 v6, s[4:5], s4, v6
	v_addc_co_u32_e64 v7, s[4:5], -1, v7, s[4:5]
	v_cndmask_b32_e32 v11, v7, v8, vcc
	v_and_b32_e32 v7, 48, v0
	v_lshrrev_b32_e32 v9, 4, v44
	v_and_b32_e32 v12, 15, v0
	v_cndmask_b32_e32 v10, v6, v10, vcc
	v_mov_b32_e32 v6, 0x4300
	s_movk_i32 s8, 0x430
	v_lshlrev_b32_e32 v7, 4, v7
	v_lshl_add_u32 v152, v1, 6, v6
	v_lshlrev_b32_e32 v6, 6, v9
	v_mad_u32_u24 v156, v12, s8, v7
	v_or_b32_e32 v7, 0xf0, v148
	v_mad_u32_u24 v155, v12, s8, v6
	v_mad_u32_u24 v157, v12, s8, v7
	s_mul_i32 s8, s21, 0xd0
	s_mul_hi_u32 s9, s20, 0xd0
	s_movk_i32 s4, 0x10c0
	v_mul_i32_i24_e32 v6, 0xffffffd0, v9
	s_lshl_b64 s[10:11], s[20:21], 4
	s_add_i32 s15, s9, s8
	v_mov_b32_e32 v145, 0
	v_add_u32_e32 v151, 0x4300, v148
	v_add_u32_e32 v153, 0x4700, v148
	v_mad_u32_u24 v154, v1, s4, v148
	v_cmp_gt_u32_e64 s[4:5], 64, v44
	s_mul_i32 s16, s20, 0xd0
	s_mov_b32 s17, 0
	v_mov_b32_e32 v158, s11
	v_mov_b32_e32 v159, s15
	v_add_u32_e32 v160, v155, v6
	s_branch .LBB24_145
.LBB24_144:                             ;   in Loop: Header=BB24_145 Depth=1
	s_or_b64 exec, exec, s[12:13]
	v_mul_f64 v[86:87], v[8:9], v[36:37]
	v_mul_f64 v[36:37], v[6:7], v[36:37]
	;; [unrolled: 1-line block ×4, first 2 shown]
	s_add_i32 s17, s17, 64
	s_add_i32 s6, s6, -1
	s_cmp_eq_u32 s6, 0
	v_fma_f64 v[6:7], v[6:7], v[34:35], -v[86:87]
	v_fma_f64 v[8:9], v[8:9], v[34:35], v[36:37]
	v_mul_f64 v[34:35], v[16:17], v[28:29]
	v_mul_f64 v[28:29], v[14:15], v[28:29]
	v_fma_f64 v[18:19], v[18:19], v[30:31], -v[88:89]
	v_fma_f64 v[20:21], v[20:21], v[30:31], v[32:33]
	s_waitcnt vmcnt(0)
	s_barrier
	v_add_f64 v[2:3], v[2:3], v[6:7]
	v_add_f64 v[4:5], v[4:5], v[8:9]
	v_mul_f64 v[6:7], v[12:13], v[24:25]
	v_mul_f64 v[8:9], v[10:11], v[24:25]
	v_fma_f64 v[14:15], v[14:15], v[26:27], -v[34:35]
	v_fma_f64 v[16:17], v[16:17], v[26:27], v[28:29]
	v_add_f64 v[2:3], v[2:3], v[18:19]
	v_add_f64 v[4:5], v[4:5], v[20:21]
	v_mul_f64 v[18:19], v[48:49], v[84:85]
	v_mul_f64 v[20:21], v[46:47], v[84:85]
	v_fma_f64 v[6:7], v[10:11], v[22:23], -v[6:7]
	v_fma_f64 v[8:9], v[12:13], v[22:23], v[8:9]
	v_mul_f64 v[10:11], v[52:53], v[80:81]
	v_mul_f64 v[12:13], v[50:51], v[80:81]
	v_add_f64 v[2:3], v[2:3], v[14:15]
	v_add_f64 v[4:5], v[4:5], v[16:17]
	v_fma_f64 v[14:15], v[46:47], v[82:83], -v[18:19]
	v_fma_f64 v[16:17], v[48:49], v[82:83], v[20:21]
	v_fma_f64 v[10:11], v[50:51], v[78:79], -v[10:11]
	v_fma_f64 v[12:13], v[52:53], v[78:79], v[12:13]
	v_add_f64 v[2:3], v[2:3], v[6:7]
	v_add_f64 v[4:5], v[4:5], v[8:9]
	v_mul_f64 v[6:7], v[44:45], v[76:77]
	v_mul_f64 v[8:9], v[42:43], v[76:77]
	v_add_f64 v[2:3], v[2:3], v[14:15]
	v_add_f64 v[4:5], v[4:5], v[16:17]
	v_mul_f64 v[14:15], v[40:41], v[72:73]
	v_mul_f64 v[16:17], v[38:39], v[72:73]
	v_fma_f64 v[6:7], v[42:43], v[74:75], -v[6:7]
	v_fma_f64 v[8:9], v[44:45], v[74:75], v[8:9]
	v_add_f64 v[2:3], v[2:3], v[10:11]
	v_add_f64 v[4:5], v[4:5], v[12:13]
	v_mul_f64 v[10:11], v[64:65], v[124:125]
	v_mul_f64 v[12:13], v[62:63], v[124:125]
	v_fma_f64 v[14:15], v[38:39], v[70:71], -v[14:15]
	v_fma_f64 v[16:17], v[40:41], v[70:71], v[16:17]
	;; [unrolled: 6-line block ×9, first 2 shown]
	v_add_f64 v[2:3], v[2:3], v[14:15]
	v_add_f64 v[4:5], v[4:5], v[16:17]
	v_fma_f64 v[6:7], v[106:107], v[126:127], -v[6:7]
	v_fma_f64 v[8:9], v[108:109], v[126:127], v[8:9]
	v_add_f64 v[2:3], v[2:3], v[10:11]
	v_add_f64 v[4:5], v[4:5], v[12:13]
	v_add_co_u32_e64 v10, s[8:9], s16, v146
	v_add_f64 v[2:3], v[2:3], v[6:7]
	v_add_f64 v[4:5], v[4:5], v[8:9]
	v_mov_b32_e32 v6, s15
	v_addc_co_u32_e64 v11, s[8:9], v147, v6, s[8:9]
	s_cbranch_scc1 .LBB24_149
.LBB24_145:                             ; =>This Inner Loop Header: Depth=1
	s_and_saveexec_b64 s[12:13], s[2:3]
	s_cbranch_execz .LBB24_147
; %bb.146:                              ;   in Loop: Header=BB24_145 Depth=1
	s_mul_i32 s8, s37, s17
	s_mul_hi_u32 s9, s36, s17
	s_add_i32 s9, s9, s8
	s_mul_i32 s8, s36, s17
	s_lshl_b64 s[8:9], s[8:9], 4
	v_mov_b32_e32 v7, s9
	v_add_co_u32_e64 v6, s[8:9], s8, v149
	v_addc_co_u32_e64 v7, s[8:9], v150, v7, s[8:9]
	global_load_dwordx4 v[6:9], v[6:7], off
	s_waitcnt vmcnt(0)
	ds_write2_b64 v151, v[6:7], v[8:9] offset1:1
.LBB24_147:                             ;   in Loop: Header=BB24_145 Depth=1
	s_or_b64 exec, exec, s[12:13]
	s_waitcnt lgkmcnt(0)
	s_barrier
	global_load_dwordx4 v[6:9], v[10:11], off
	v_add_co_u32_e64 v10, s[8:9], s10, v10
	v_addc_co_u32_e64 v11, s[8:9], v11, v158, s[8:9]
	v_add_co_u32_e64 v12, s[8:9], s10, v10
	v_addc_co_u32_e64 v13, s[8:9], v11, v158, s[8:9]
	v_add_co_u32_e64 v42, s[8:9], s10, v12
	global_load_dwordx4 v[18:21], v[10:11], off
	global_load_dwordx4 v[14:17], v[12:13], off
	v_addc_co_u32_e64 v43, s[8:9], v13, v158, s[8:9]
	global_load_dwordx4 v[10:13], v[42:43], off
	ds_read_b128 v[38:41], v153
	ds_read_b128 v[34:37], v152
	ds_read_b128 v[30:33], v152 offset:16
	ds_read_b128 v[26:29], v152 offset:32
	;; [unrolled: 1-line block ×3, first 2 shown]
	v_add_co_u32_e64 v54, s[8:9], s16, v42
	v_addc_co_u32_e64 v55, s[8:9], v43, v159, s[8:9]
	v_add_co_u32_e64 v56, s[8:9], s10, v54
	v_addc_co_u32_e64 v57, s[8:9], v55, v158, s[8:9]
	s_waitcnt vmcnt(3) lgkmcnt(4)
	v_mul_f64 v[42:43], v[8:9], v[40:41]
	v_mul_f64 v[44:45], v[8:9], v[38:39]
	v_fma_f64 v[42:43], v[6:7], v[38:39], v[42:43]
	v_fma_f64 v[44:45], v[6:7], v[40:41], -v[44:45]
	s_waitcnt vmcnt(2)
	v_mul_f64 v[46:47], v[20:21], v[40:41]
	v_mul_f64 v[48:49], v[20:21], v[38:39]
	s_waitcnt vmcnt(1)
	v_mul_f64 v[50:51], v[16:17], v[40:41]
	v_mul_f64 v[52:53], v[16:17], v[38:39]
	;; [unrolled: 3-line block ×3, first 2 shown]
	v_fma_f64 v[46:47], v[18:19], v[38:39], v[46:47]
	v_fma_f64 v[48:49], v[18:19], v[40:41], -v[48:49]
	v_fma_f64 v[50:51], v[14:15], v[38:39], v[50:51]
	v_fma_f64 v[52:53], v[14:15], v[40:41], -v[52:53]
	;; [unrolled: 2-line block ×3, first 2 shown]
	v_add_co_u32_e64 v58, s[8:9], s10, v56
	v_addc_co_u32_e64 v59, s[8:9], v57, v158, s[8:9]
	ds_write_b128 v154, v[42:45]
	ds_write_b128 v154, v[46:49] offset:1072
	ds_write_b128 v154, v[50:53] offset:2144
	;; [unrolled: 1-line block ×3, first 2 shown]
	s_waitcnt lgkmcnt(0)
	s_barrier
	ds_read_b128 v[126:129], v155
	ds_read_b128 v[130:133], v155 offset:16
	ds_read_b128 v[90:93], v155 offset:32
	;; [unrolled: 1-line block ×3, first 2 shown]
	s_waitcnt lgkmcnt(0)
	s_barrier
	global_load_dwordx4 v[46:49], v[54:55], off
	global_load_dwordx4 v[50:53], v[56:57], off
	;; [unrolled: 1-line block ×3, first 2 shown]
	v_add_co_u32_e64 v54, s[8:9], s10, v58
	v_addc_co_u32_e64 v55, s[8:9], v59, v158, s[8:9]
	global_load_dwordx4 v[38:41], v[54:55], off
	v_add_co_u32_e64 v94, s[8:9], s16, v54
	v_addc_co_u32_e64 v95, s[8:9], v55, v159, s[8:9]
	ds_read_b128 v[54:57], v153
	v_add_co_u32_e64 v96, s[8:9], s10, v94
	v_addc_co_u32_e64 v97, s[8:9], v95, v158, s[8:9]
	v_add_co_u32_e64 v98, s[8:9], s10, v96
	v_addc_co_u32_e64 v99, s[8:9], v97, v158, s[8:9]
	s_waitcnt vmcnt(3) lgkmcnt(0)
	v_mul_f64 v[58:59], v[48:49], v[56:57]
	v_mul_f64 v[60:61], v[48:49], v[54:55]
	s_waitcnt vmcnt(2)
	v_mul_f64 v[62:63], v[52:53], v[56:57]
	v_mul_f64 v[64:65], v[52:53], v[54:55]
	s_waitcnt vmcnt(1)
	;; [unrolled: 3-line block ×3, first 2 shown]
	v_mul_f64 v[70:71], v[40:41], v[56:57]
	v_mul_f64 v[72:73], v[40:41], v[54:55]
	v_fma_f64 v[58:59], v[46:47], v[54:55], v[58:59]
	v_fma_f64 v[60:61], v[46:47], v[56:57], -v[60:61]
	v_fma_f64 v[62:63], v[50:51], v[54:55], v[62:63]
	v_fma_f64 v[64:65], v[50:51], v[56:57], -v[64:65]
	;; [unrolled: 2-line block ×4, first 2 shown]
	ds_read_b128 v[82:85], v152 offset:256
	ds_read_b128 v[78:81], v152 offset:272
	;; [unrolled: 1-line block ×4, first 2 shown]
	ds_write_b128 v154, v[58:61]
	ds_write_b128 v154, v[62:65] offset:1072
	ds_write_b128 v154, v[66:69] offset:2144
	;; [unrolled: 1-line block ×3, first 2 shown]
	s_waitcnt lgkmcnt(0)
	s_barrier
	ds_read_b128 v[161:164], v155
	ds_read_b128 v[165:168], v155 offset:16
	ds_read_b128 v[169:172], v155 offset:32
	;; [unrolled: 1-line block ×3, first 2 shown]
	s_waitcnt lgkmcnt(0)
	s_barrier
	global_load_dwordx4 v[62:65], v[94:95], off
	global_load_dwordx4 v[58:61], v[96:97], off
	;; [unrolled: 1-line block ×3, first 2 shown]
	v_add_co_u32_e64 v94, s[8:9], s10, v98
	v_addc_co_u32_e64 v95, s[8:9], v99, v158, s[8:9]
	global_load_dwordx4 v[66:69], v[94:95], off
	v_add_co_u32_e64 v134, s[8:9], s16, v94
	v_addc_co_u32_e64 v135, s[8:9], v95, v159, s[8:9]
	ds_read_b128 v[94:97], v153
	v_add_co_u32_e64 v136, s[8:9], s10, v134
	v_addc_co_u32_e64 v137, s[8:9], v135, v158, s[8:9]
	v_add_co_u32_e64 v138, s[8:9], s10, v136
	v_addc_co_u32_e64 v139, s[8:9], v137, v158, s[8:9]
	v_add_co_u32_e64 v146, s[8:9], s10, v138
	v_addc_co_u32_e64 v147, s[8:9], v139, v158, s[8:9]
	v_add_f64 v[213:214], v[161:162], 0
	v_add_f64 v[165:166], v[213:214], v[165:166]
	;; [unrolled: 1-line block ×3, first 2 shown]
	s_waitcnt vmcnt(3) lgkmcnt(0)
	v_mul_f64 v[98:99], v[64:65], v[96:97]
	v_mul_f64 v[100:101], v[64:65], v[94:95]
	s_waitcnt vmcnt(2)
	v_mul_f64 v[102:103], v[60:61], v[96:97]
	v_mul_f64 v[104:105], v[60:61], v[94:95]
	s_waitcnt vmcnt(1)
	;; [unrolled: 3-line block ×3, first 2 shown]
	v_mul_f64 v[110:111], v[68:69], v[96:97]
	v_mul_f64 v[112:113], v[68:69], v[94:95]
	v_fma_f64 v[98:99], v[62:63], v[94:95], v[98:99]
	v_fma_f64 v[100:101], v[62:63], v[96:97], -v[100:101]
	v_fma_f64 v[102:103], v[58:59], v[94:95], v[102:103]
	v_fma_f64 v[104:105], v[58:59], v[96:97], -v[104:105]
	;; [unrolled: 2-line block ×4, first 2 shown]
	ds_read_b128 v[122:125], v152 offset:512
	ds_read_b128 v[118:121], v152 offset:528
	;; [unrolled: 1-line block ×4, first 2 shown]
	ds_write_b128 v154, v[98:101]
	ds_write_b128 v154, v[102:105] offset:1072
	ds_write_b128 v154, v[106:109] offset:2144
	;; [unrolled: 1-line block ×3, first 2 shown]
	s_waitcnt lgkmcnt(0)
	s_barrier
	ds_read_b128 v[177:180], v155
	ds_read_b128 v[181:184], v155 offset:16
	ds_read_b128 v[185:188], v155 offset:32
	;; [unrolled: 1-line block ×3, first 2 shown]
	s_waitcnt lgkmcnt(0)
	s_barrier
	global_load_dwordx4 v[98:101], v[134:135], off
	global_load_dwordx4 v[94:97], v[136:137], off
	;; [unrolled: 1-line block ×4, first 2 shown]
	v_add_f64 v[134:135], v[126:127], 0
	v_add_f64 v[136:137], v[128:129], 0
	ds_read_b128 v[126:129], v153
	v_add_f64 v[177:178], v[177:178], 0
	v_add_f64 v[179:180], v[179:180], 0
	;; [unrolled: 1-line block ×9, first 2 shown]
	s_waitcnt vmcnt(3) lgkmcnt(0)
	v_mul_f64 v[130:131], v[100:101], v[128:129]
	v_mul_f64 v[132:133], v[100:101], v[126:127]
	s_waitcnt vmcnt(2)
	v_mul_f64 v[134:135], v[96:97], v[128:129]
	v_mul_f64 v[136:137], v[96:97], v[126:127]
	s_waitcnt vmcnt(1)
	;; [unrolled: 3-line block ×3, first 2 shown]
	v_mul_f64 v[161:162], v[108:109], v[128:129]
	v_mul_f64 v[207:208], v[108:109], v[126:127]
	v_fma_f64 v[193:194], v[98:99], v[126:127], v[130:131]
	v_fma_f64 v[195:196], v[98:99], v[128:129], -v[132:133]
	v_fma_f64 v[197:198], v[94:95], v[126:127], v[134:135]
	v_fma_f64 v[199:200], v[94:95], v[128:129], -v[136:137]
	;; [unrolled: 2-line block ×4, first 2 shown]
	ds_read_b128 v[138:141], v152 offset:768
	ds_read_b128 v[134:137], v152 offset:784
	;; [unrolled: 1-line block ×4, first 2 shown]
	ds_write_b128 v154, v[193:196]
	ds_write_b128 v154, v[197:200] offset:1072
	ds_write_b128 v154, v[201:204] offset:2144
	ds_write_b128 v154, v[205:208] offset:3216
	s_waitcnt lgkmcnt(0)
	s_barrier
	ds_read_b128 v[193:196], v155
	v_add_f64 v[197:198], v[163:164], 0
	ds_read_b128 v[161:164], v155 offset:16
	v_add_f64 v[199:200], v[209:210], v[90:91]
	ds_read_b128 v[90:93], v155 offset:32
	s_waitcnt lgkmcnt(2)
	v_add_f64 v[193:194], v[193:194], 0
	v_add_f64 v[195:196], v[195:196], 0
	;; [unrolled: 1-line block ×4, first 2 shown]
	s_waitcnt lgkmcnt(1)
	v_add_f64 v[183:184], v[193:194], v[161:162]
	v_add_f64 v[193:194], v[195:196], v[163:164]
	ds_read_b128 v[161:164], v155 offset:48
	s_waitcnt lgkmcnt(0)
	v_add_f64 v[167:168], v[167:168], v[171:172]
	v_add_f64 v[171:172], v[179:180], v[187:188]
	s_barrier
	v_add_f64 v[177:178], v[183:184], v[90:91]
	v_add_f64 v[179:180], v[193:194], v[92:93]
	;; [unrolled: 1-line block ×8, first 2 shown]
	ds_write_b128 v160, v[86:89]
	ds_write_b128 v160, v[90:93] offset:256
	ds_write_b128 v160, v[165:168] offset:512
	;; [unrolled: 1-line block ×3, first 2 shown]
	s_waitcnt lgkmcnt(0)
	s_barrier
	s_and_saveexec_b64 s[12:13], s[4:5]
	s_cbranch_execz .LBB24_144
; %bb.148:                              ;   in Loop: Header=BB24_145 Depth=1
	ds_read_b128 v[86:89], v156
	ds_read_b128 v[90:93], v156 offset:16
	v_add_u32_e32 v144, s17, v0
	s_waitcnt lgkmcnt(0)
	v_add_f64 v[161:162], v[90:91], v[86:87]
	v_add_f64 v[163:164], v[92:93], v[88:89]
	ds_read_b128 v[86:89], v156 offset:32
	ds_read_b128 v[90:93], v156 offset:48
	s_waitcnt lgkmcnt(1)
	v_add_f64 v[86:87], v[161:162], v[86:87]
	v_add_f64 v[88:89], v[163:164], v[88:89]
	s_waitcnt lgkmcnt(0)
	v_add_f64 v[161:162], v[86:87], v[90:91]
	v_add_f64 v[163:164], v[88:89], v[92:93]
	ds_read_b128 v[86:89], v156 offset:64
	ds_read_b128 v[90:93], v156 offset:80
	s_waitcnt lgkmcnt(1)
	v_add_f64 v[86:87], v[161:162], v[86:87]
	v_add_f64 v[88:89], v[163:164], v[88:89]
	;; [unrolled: 8-line block ×6, first 2 shown]
	s_waitcnt lgkmcnt(0)
	v_add_f64 v[161:162], v[86:87], v[90:91]
	v_add_f64 v[163:164], v[88:89], v[92:93]
	ds_read_b128 v[86:89], v156 offset:224
	ds_read_b128 v[90:93], v157
	s_waitcnt lgkmcnt(1)
	v_add_f64 v[86:87], v[161:162], v[86:87]
	v_add_f64 v[88:89], v[163:164], v[88:89]
	s_waitcnt lgkmcnt(0)
	v_add_f64 v[86:87], v[86:87], v[90:91]
	v_add_f64 v[88:89], v[88:89], v[92:93]
	v_lshlrev_b64 v[90:91], 4, v[144:145]
	v_mov_b32_e32 v92, s14
	v_add_co_u32_e64 v90, s[8:9], s7, v90
	v_addc_co_u32_e64 v91, s[8:9], v92, v91, s[8:9]
	global_store_dwordx4 v[90:91], v[86:89], off
	s_branch .LBB24_144
.LBB24_149:
	s_movk_i32 s2, 0x430
	v_mad_u32_u24 v0, v1, s2, v148
	s_nor_b64 s[0:1], s[0:1], vcc
	ds_write_b128 v0, v[2:5]
	s_waitcnt lgkmcnt(0)
	s_barrier
	s_and_saveexec_b64 s[2:3], s[0:1]
	s_cbranch_execz .LBB24_151
; %bb.150:
	ds_read_b128 v[0:3], v148 offset:1072
	ds_read_b128 v[4:7], v148
	s_waitcnt lgkmcnt(0)
	v_add_f64 v[8:9], v[0:1], v[4:5]
	v_add_f64 v[10:11], v[2:3], v[6:7]
	ds_read_b128 v[0:3], v148 offset:2144
	ds_read_b128 v[4:7], v148 offset:3216
	s_waitcnt lgkmcnt(1)
	v_add_f64 v[0:1], v[8:9], v[0:1]
	v_add_f64 v[2:3], v[10:11], v[2:3]
	s_waitcnt lgkmcnt(0)
	v_add_f64 v[0:1], v[0:1], v[4:5]
	v_add_f64 v[2:3], v[2:3], v[6:7]
	v_lshlrev_b64 v[4:5], 4, v[142:143]
	v_mov_b32_e32 v6, s14
	v_add_co_u32_e32 v4, vcc, s7, v4
	v_addc_co_u32_e32 v5, vcc, v6, v5, vcc
	global_store_dwordx4 v[4:5], v[0:3], off
.LBB24_151:
	s_endpgm
	.section	.rodata,"a",@progbits
	.p2align	6, 0x0
	.amdhsa_kernel _ZL26rocblas_hemvn_kernel_lowerILb1ELi64ELi4ELi33ELi32ELi16ElPK19rocblas_complex_numIdES3_PS1_EviT6_lT7_lT5_lS6_lS7_lS5_lT8_i
		.amdhsa_group_segment_fixed_size 19200
		.amdhsa_private_segment_fixed_size 0
		.amdhsa_kernarg_size 376
		.amdhsa_user_sgpr_count 6
		.amdhsa_user_sgpr_private_segment_buffer 1
		.amdhsa_user_sgpr_dispatch_ptr 0
		.amdhsa_user_sgpr_queue_ptr 0
		.amdhsa_user_sgpr_kernarg_segment_ptr 1
		.amdhsa_user_sgpr_dispatch_id 0
		.amdhsa_user_sgpr_flat_scratch_init 0
		.amdhsa_user_sgpr_private_segment_size 0
		.amdhsa_uses_dynamic_stack 0
		.amdhsa_system_sgpr_private_segment_wavefront_offset 0
		.amdhsa_system_sgpr_workgroup_id_x 1
		.amdhsa_system_sgpr_workgroup_id_y 0
		.amdhsa_system_sgpr_workgroup_id_z 1
		.amdhsa_system_sgpr_workgroup_info 0
		.amdhsa_system_vgpr_workitem_id 1
		.amdhsa_next_free_vgpr 215
		.amdhsa_next_free_sgpr 98
		.amdhsa_reserve_vcc 1
		.amdhsa_reserve_flat_scratch 0
		.amdhsa_float_round_mode_32 0
		.amdhsa_float_round_mode_16_64 0
		.amdhsa_float_denorm_mode_32 3
		.amdhsa_float_denorm_mode_16_64 3
		.amdhsa_dx10_clamp 1
		.amdhsa_ieee_mode 1
		.amdhsa_fp16_overflow 0
		.amdhsa_exception_fp_ieee_invalid_op 0
		.amdhsa_exception_fp_denorm_src 0
		.amdhsa_exception_fp_ieee_div_zero 0
		.amdhsa_exception_fp_ieee_overflow 0
		.amdhsa_exception_fp_ieee_underflow 0
		.amdhsa_exception_fp_ieee_inexact 0
		.amdhsa_exception_int_div_zero 0
	.end_amdhsa_kernel
	.section	.text._ZL26rocblas_hemvn_kernel_lowerILb1ELi64ELi4ELi33ELi32ELi16ElPK19rocblas_complex_numIdES3_PS1_EviT6_lT7_lT5_lS6_lS7_lS5_lT8_i,"axG",@progbits,_ZL26rocblas_hemvn_kernel_lowerILb1ELi64ELi4ELi33ELi32ELi16ElPK19rocblas_complex_numIdES3_PS1_EviT6_lT7_lT5_lS6_lS7_lS5_lT8_i,comdat
.Lfunc_end24:
	.size	_ZL26rocblas_hemvn_kernel_lowerILb1ELi64ELi4ELi33ELi32ELi16ElPK19rocblas_complex_numIdES3_PS1_EviT6_lT7_lT5_lS6_lS7_lS5_lT8_i, .Lfunc_end24-_ZL26rocblas_hemvn_kernel_lowerILb1ELi64ELi4ELi33ELi32ELi16ElPK19rocblas_complex_numIdES3_PS1_EviT6_lT7_lT5_lS6_lS7_lS5_lT8_i
                                        ; -- End function
	.set _ZL26rocblas_hemvn_kernel_lowerILb1ELi64ELi4ELi33ELi32ELi16ElPK19rocblas_complex_numIdES3_PS1_EviT6_lT7_lT5_lS6_lS7_lS5_lT8_i.num_vgpr, 215
	.set _ZL26rocblas_hemvn_kernel_lowerILb1ELi64ELi4ELi33ELi32ELi16ElPK19rocblas_complex_numIdES3_PS1_EviT6_lT7_lT5_lS6_lS7_lS5_lT8_i.num_agpr, 0
	.set _ZL26rocblas_hemvn_kernel_lowerILb1ELi64ELi4ELi33ELi32ELi16ElPK19rocblas_complex_numIdES3_PS1_EviT6_lT7_lT5_lS6_lS7_lS5_lT8_i.numbered_sgpr, 44
	.set _ZL26rocblas_hemvn_kernel_lowerILb1ELi64ELi4ELi33ELi32ELi16ElPK19rocblas_complex_numIdES3_PS1_EviT6_lT7_lT5_lS6_lS7_lS5_lT8_i.num_named_barrier, 0
	.set _ZL26rocblas_hemvn_kernel_lowerILb1ELi64ELi4ELi33ELi32ELi16ElPK19rocblas_complex_numIdES3_PS1_EviT6_lT7_lT5_lS6_lS7_lS5_lT8_i.private_seg_size, 0
	.set _ZL26rocblas_hemvn_kernel_lowerILb1ELi64ELi4ELi33ELi32ELi16ElPK19rocblas_complex_numIdES3_PS1_EviT6_lT7_lT5_lS6_lS7_lS5_lT8_i.uses_vcc, 1
	.set _ZL26rocblas_hemvn_kernel_lowerILb1ELi64ELi4ELi33ELi32ELi16ElPK19rocblas_complex_numIdES3_PS1_EviT6_lT7_lT5_lS6_lS7_lS5_lT8_i.uses_flat_scratch, 0
	.set _ZL26rocblas_hemvn_kernel_lowerILb1ELi64ELi4ELi33ELi32ELi16ElPK19rocblas_complex_numIdES3_PS1_EviT6_lT7_lT5_lS6_lS7_lS5_lT8_i.has_dyn_sized_stack, 0
	.set _ZL26rocblas_hemvn_kernel_lowerILb1ELi64ELi4ELi33ELi32ELi16ElPK19rocblas_complex_numIdES3_PS1_EviT6_lT7_lT5_lS6_lS7_lS5_lT8_i.has_recursion, 0
	.set _ZL26rocblas_hemvn_kernel_lowerILb1ELi64ELi4ELi33ELi32ELi16ElPK19rocblas_complex_numIdES3_PS1_EviT6_lT7_lT5_lS6_lS7_lS5_lT8_i.has_indirect_call, 0
	.section	.AMDGPU.csdata,"",@progbits
; Kernel info:
; codeLenInByte = 10100
; TotalNumSgprs: 48
; NumVgprs: 215
; ScratchSize: 0
; MemoryBound: 0
; FloatMode: 240
; IeeeMode: 1
; LDSByteSize: 19200 bytes/workgroup (compile time only)
; SGPRBlocks: 12
; VGPRBlocks: 53
; NumSGPRsForWavesPerEU: 102
; NumVGPRsForWavesPerEU: 215
; Occupancy: 1
; WaveLimiterHint : 0
; COMPUTE_PGM_RSRC2:SCRATCH_EN: 0
; COMPUTE_PGM_RSRC2:USER_SGPR: 6
; COMPUTE_PGM_RSRC2:TRAP_HANDLER: 0
; COMPUTE_PGM_RSRC2:TGID_X_EN: 1
; COMPUTE_PGM_RSRC2:TGID_Y_EN: 0
; COMPUTE_PGM_RSRC2:TGID_Z_EN: 1
; COMPUTE_PGM_RSRC2:TIDIG_COMP_CNT: 1
	.section	.text._ZL36rocblas_hemvn_kernel_lower_block_sumILi64ElPK19rocblas_complex_numIdEPS1_S1_EviT1_lS5_lT2_lT0_lPT3_i,"axG",@progbits,_ZL36rocblas_hemvn_kernel_lower_block_sumILi64ElPK19rocblas_complex_numIdEPS1_S1_EviT1_lS5_lT2_lT0_lPT3_i,comdat
	.globl	_ZL36rocblas_hemvn_kernel_lower_block_sumILi64ElPK19rocblas_complex_numIdEPS1_S1_EviT1_lS5_lT2_lT0_lPT3_i ; -- Begin function _ZL36rocblas_hemvn_kernel_lower_block_sumILi64ElPK19rocblas_complex_numIdEPS1_S1_EviT1_lS5_lT2_lT0_lPT3_i
	.p2align	8
	.type	_ZL36rocblas_hemvn_kernel_lower_block_sumILi64ElPK19rocblas_complex_numIdEPS1_S1_EviT1_lS5_lT2_lT0_lPT3_i,@function
_ZL36rocblas_hemvn_kernel_lower_block_sumILi64ElPK19rocblas_complex_numIdEPS1_S1_EviT1_lS5_lT2_lT0_lPT3_i: ; @_ZL36rocblas_hemvn_kernel_lower_block_sumILi64ElPK19rocblas_complex_numIdEPS1_S1_EviT1_lS5_lT2_lT0_lPT3_i
; %bb.0:
	s_load_dwordx8 s[12:19], s[4:5], 0x8
	s_waitcnt lgkmcnt(0)
	s_mul_i32 s0, s15, s7
	s_mul_hi_u32 s1, s14, s7
	s_add_i32 s1, s1, s0
	s_mul_i32 s0, s14, s7
	s_lshl_b64 s[0:1], s[0:1], 4
	s_add_u32 s0, s12, s0
	s_addc_u32 s1, s13, s1
	s_load_dwordx4 s[12:15], s[0:1], 0x0
	s_mul_i32 s9, s19, s7
	s_mul_hi_u32 s10, s18, s7
	s_mul_i32 s8, s18, s7
	s_add_i32 s9, s10, s9
	s_waitcnt lgkmcnt(0)
	v_cmp_neq_f64_e64 s[0:1], s[12:13], 0
	v_cmp_neq_f64_e64 s[2:3], s[14:15], 0
	s_lshl_b64 s[8:9], s[8:9], 4
	s_add_u32 s16, s16, s8
	s_addc_u32 s17, s17, s9
	s_load_dwordx4 s[8:11], s[16:17], 0x0
	s_or_b64 s[16:17], s[0:1], s[2:3]
	s_mov_b64 s[0:1], -1
	s_and_b64 vcc, exec, s[16:17]
	s_cbranch_vccnz .LBB25_2
; %bb.1:
	s_waitcnt lgkmcnt(0)
	v_cmp_neq_f64_e64 s[0:1], s[8:9], 1.0
	v_cmp_neq_f64_e64 s[2:3], s[10:11], 0
	s_or_b64 s[0:1], s[0:1], s[2:3]
.LBB25_2:
	s_andn2_b64 vcc, exec, s[0:1]
	s_cbranch_vccnz .LBB25_22
; %bb.3:
	s_load_dwordx2 s[20:21], s[4:5], 0x40
	s_load_dwordx4 s[0:3], s[4:5], 0x30
	s_load_dwordx2 s[22:23], s[4:5], 0x28
	s_load_dword s18, s[4:5], 0x0
	s_xor_b64 s[16:17], s[16:17], -1
	v_lshl_or_b32 v6, s6, 6, v0
	s_waitcnt lgkmcnt(0)
	s_mul_i32 s19, s21, s7
	s_mul_hi_u32 s21, s20, s7
	s_add_i32 s21, s21, s19
	s_mul_i32 s20, s20, s7
	s_lshl_b64 s[20:21], s[20:21], 4
	s_add_u32 s19, s22, s20
	s_addc_u32 s20, s23, s21
	s_lshl_b64 s[0:1], s[0:1], 4
	s_add_u32 s24, s19, s0
	s_addc_u32 s25, s20, s1
	s_andn2_b64 vcc, exec, s[16:17]
	v_cmp_gt_i32_e64 s[0:1], s18, v6
	s_cbranch_vccnz .LBB25_8
; %bb.4:
	s_mov_b64 s[20:21], 0
	s_mov_b64 s[16:17], 0
                                        ; implicit-def: $vgpr2_vgpr3
                                        ; implicit-def: $vgpr4_vgpr5
	s_and_saveexec_b64 s[22:23], s[0:1]
	s_cbranch_execz .LBB25_9
; %bb.5:
	v_cmp_neq_f64_e64 s[0:1], s[8:9], 0
	v_cmp_neq_f64_e64 s[16:17], s[10:11], 0
	v_ashrrev_i32_e32 v0, 31, v6
	v_mul_lo_u32 v7, s3, v6
	v_mad_u64_u32 v[4:5], s[26:27], s2, v6, 0
	v_mul_lo_u32 v8, s2, v0
	v_mov_b32_e32 v2, 0
	v_mov_b32_e32 v0, 0
	s_or_b64 s[0:1], s[0:1], s[16:17]
	v_mov_b32_e32 v3, 0
	s_andn2_b64 vcc, exec, s[0:1]
	v_mov_b32_e32 v1, 0
	v_add3_u32 v5, v5, v8, v7
	s_cbranch_vccnz .LBB25_7
; %bb.6:
	v_lshlrev_b64 v[0:1], 4, v[4:5]
	v_mov_b32_e32 v2, s25
	v_add_co_u32_e32 v0, vcc, s24, v0
	v_addc_co_u32_e32 v1, vcc, v2, v1, vcc
	global_load_dwordx4 v[7:10], v[0:1], off
	s_waitcnt vmcnt(0)
	v_mul_f64 v[0:1], s[10:11], v[9:10]
	v_mul_f64 v[2:3], s[8:9], v[9:10]
	v_fma_f64 v[0:1], s[8:9], v[7:8], -v[0:1]
	v_fma_f64 v[2:3], s[10:11], v[7:8], v[2:3]
.LBB25_7:
	s_mov_b64 s[16:17], exec
	s_or_b64 exec, exec, s[22:23]
	s_and_b64 vcc, exec, s[20:21]
	s_cbranch_vccnz .LBB25_10
	s_branch .LBB25_20
.LBB25_8:
	s_mov_b64 s[16:17], 0
                                        ; implicit-def: $vgpr2_vgpr3
                                        ; implicit-def: $vgpr4_vgpr5
	s_cbranch_execnz .LBB25_10
	s_branch .LBB25_20
.LBB25_9:
	s_or_b64 exec, exec, s[22:23]
	s_and_b64 vcc, exec, s[20:21]
	s_cbranch_vccz .LBB25_20
.LBB25_10:
	v_cmp_gt_i32_e32 vcc, s18, v6
                                        ; implicit-def: $vgpr2_vgpr3
                                        ; implicit-def: $vgpr4_vgpr5
	s_and_saveexec_b64 s[0:1], vcc
	s_cbranch_execz .LBB25_19
; %bb.11:
	s_load_dword s20, s[4:5], 0x58
	v_mov_b32_e32 v0, 0
	v_mov_b32_e32 v2, 0
	;; [unrolled: 1-line block ×4, first 2 shown]
	s_waitcnt lgkmcnt(0)
	s_cmp_ge_i32 s6, s20
	s_cbranch_scc1 .LBB25_14
; %bb.12:
	s_ashr_i32 s19, s18, 31
	s_mul_i32 s21, s18, s6
	s_load_dwordx2 s[4:5], s[4:5], 0x48
	v_add_u32_e32 v0, s21, v6
	s_mul_hi_u32 s21, s18, s7
	s_mul_i32 s22, s19, s7
	s_add_i32 s21, s21, s22
	s_mul_i32 s7, s18, s7
	s_mul_i32 s21, s21, s20
	s_mul_hi_u32 s22, s7, s20
	s_add_i32 s23, s22, s21
	s_mul_i32 s22, s7, s20
	v_ashrrev_i32_e32 v1, 31, v0
	s_lshl_b64 s[22:23], s[22:23], 4
	v_lshlrev_b64 v[0:1], 4, v[0:1]
	s_waitcnt lgkmcnt(0)
	s_add_u32 s4, s4, s22
	s_addc_u32 s5, s5, s23
	v_mov_b32_e32 v2, s5
	v_add_co_u32_e32 v0, vcc, s4, v0
	v_addc_co_u32_e32 v1, vcc, v2, v1, vcc
	v_add_co_u32_e32 v4, vcc, 8, v0
	v_addc_co_u32_e32 v5, vcc, 0, v1, vcc
	s_lshl_b64 s[4:5], s[18:19], 4
	v_mov_b32_e32 v0, 0
	v_mov_b32_e32 v2, 0
	;; [unrolled: 1-line block ×5, first 2 shown]
.LBB25_13:                              ; =>This Inner Loop Header: Depth=1
	global_load_dwordx4 v[8:11], v[4:5], off offset:-8
	s_add_i32 s6, s6, 1
	v_add_co_u32_e32 v4, vcc, s4, v4
	s_cmp_ge_i32 s6, s20
	v_addc_co_u32_e32 v5, vcc, v5, v7, vcc
	s_waitcnt vmcnt(0)
	v_add_f64 v[2:3], v[2:3], v[8:9]
	v_add_f64 v[0:1], v[0:1], v[10:11]
	s_cbranch_scc0 .LBB25_13
.LBB25_14:
	v_mul_f64 v[4:5], s[14:15], v[0:1]
	v_mul_f64 v[7:8], s[12:13], v[0:1]
	v_cmp_neq_f64_e64 s[4:5], s[8:9], 0
	v_cmp_neq_f64_e64 s[6:7], s[10:11], 0
	v_fma_f64 v[0:1], s[12:13], v[2:3], -v[4:5]
	v_fma_f64 v[2:3], s[14:15], v[2:3], v[7:8]
	v_ashrrev_i32_e32 v4, 31, v6
	v_mul_lo_u32 v7, s3, v6
	v_mul_lo_u32 v8, s2, v4
	s_or_b64 s[4:5], s[4:5], s[6:7]
	s_andn2_b64 vcc, exec, s[4:5]
	s_mov_b64 s[4:5], 0
	s_cbranch_vccz .LBB25_16
; %bb.15:
	v_mad_u64_u32 v[4:5], s[6:7], s2, v6, 0
	v_add3_u32 v5, v5, v8, v7
	s_andn2_b64 vcc, exec, s[4:5]
	s_cbranch_vccz .LBB25_17
	s_branch .LBB25_18
.LBB25_16:
                                        ; implicit-def: $vgpr4_vgpr5
.LBB25_17:
	v_mad_u64_u32 v[4:5], s[2:3], s2, v6, 0
	v_mov_b32_e32 v9, s25
	v_add3_u32 v5, v5, v8, v7
	v_lshlrev_b64 v[6:7], 4, v[4:5]
	v_add_co_u32_e32 v6, vcc, s24, v6
	v_addc_co_u32_e32 v7, vcc, v9, v7, vcc
	global_load_dwordx4 v[6:9], v[6:7], off
	s_waitcnt vmcnt(0)
	v_mul_f64 v[10:11], s[10:11], v[8:9]
	v_mul_f64 v[8:9], s[8:9], v[8:9]
	v_fma_f64 v[10:11], s[8:9], v[6:7], -v[10:11]
	v_fma_f64 v[6:7], s[10:11], v[6:7], v[8:9]
	v_add_f64 v[0:1], v[0:1], v[10:11]
	v_add_f64 v[2:3], v[2:3], v[6:7]
.LBB25_18:
	s_or_b64 s[16:17], s[16:17], exec
.LBB25_19:
	s_or_b64 exec, exec, s[0:1]
.LBB25_20:
	s_and_saveexec_b64 s[0:1], s[16:17]
	s_cbranch_execz .LBB25_22
; %bb.21:
	v_lshlrev_b64 v[4:5], 4, v[4:5]
	v_mov_b32_e32 v6, s25
	v_add_co_u32_e32 v4, vcc, s24, v4
	v_addc_co_u32_e32 v5, vcc, v6, v5, vcc
	global_store_dwordx4 v[4:5], v[0:3], off
.LBB25_22:
	s_endpgm
	.section	.rodata,"a",@progbits
	.p2align	6, 0x0
	.amdhsa_kernel _ZL36rocblas_hemvn_kernel_lower_block_sumILi64ElPK19rocblas_complex_numIdEPS1_S1_EviT1_lS5_lT2_lT0_lPT3_i
		.amdhsa_group_segment_fixed_size 0
		.amdhsa_private_segment_fixed_size 0
		.amdhsa_kernarg_size 344
		.amdhsa_user_sgpr_count 6
		.amdhsa_user_sgpr_private_segment_buffer 1
		.amdhsa_user_sgpr_dispatch_ptr 0
		.amdhsa_user_sgpr_queue_ptr 0
		.amdhsa_user_sgpr_kernarg_segment_ptr 1
		.amdhsa_user_sgpr_dispatch_id 0
		.amdhsa_user_sgpr_flat_scratch_init 0
		.amdhsa_user_sgpr_private_segment_size 0
		.amdhsa_uses_dynamic_stack 0
		.amdhsa_system_sgpr_private_segment_wavefront_offset 0
		.amdhsa_system_sgpr_workgroup_id_x 1
		.amdhsa_system_sgpr_workgroup_id_y 0
		.amdhsa_system_sgpr_workgroup_id_z 1
		.amdhsa_system_sgpr_workgroup_info 0
		.amdhsa_system_vgpr_workitem_id 0
		.amdhsa_next_free_vgpr 12
		.amdhsa_next_free_sgpr 28
		.amdhsa_reserve_vcc 1
		.amdhsa_reserve_flat_scratch 0
		.amdhsa_float_round_mode_32 0
		.amdhsa_float_round_mode_16_64 0
		.amdhsa_float_denorm_mode_32 3
		.amdhsa_float_denorm_mode_16_64 3
		.amdhsa_dx10_clamp 1
		.amdhsa_ieee_mode 1
		.amdhsa_fp16_overflow 0
		.amdhsa_exception_fp_ieee_invalid_op 0
		.amdhsa_exception_fp_denorm_src 0
		.amdhsa_exception_fp_ieee_div_zero 0
		.amdhsa_exception_fp_ieee_overflow 0
		.amdhsa_exception_fp_ieee_underflow 0
		.amdhsa_exception_fp_ieee_inexact 0
		.amdhsa_exception_int_div_zero 0
	.end_amdhsa_kernel
	.section	.text._ZL36rocblas_hemvn_kernel_lower_block_sumILi64ElPK19rocblas_complex_numIdEPS1_S1_EviT1_lS5_lT2_lT0_lPT3_i,"axG",@progbits,_ZL36rocblas_hemvn_kernel_lower_block_sumILi64ElPK19rocblas_complex_numIdEPS1_S1_EviT1_lS5_lT2_lT0_lPT3_i,comdat
.Lfunc_end25:
	.size	_ZL36rocblas_hemvn_kernel_lower_block_sumILi64ElPK19rocblas_complex_numIdEPS1_S1_EviT1_lS5_lT2_lT0_lPT3_i, .Lfunc_end25-_ZL36rocblas_hemvn_kernel_lower_block_sumILi64ElPK19rocblas_complex_numIdEPS1_S1_EviT1_lS5_lT2_lT0_lPT3_i
                                        ; -- End function
	.set _ZL36rocblas_hemvn_kernel_lower_block_sumILi64ElPK19rocblas_complex_numIdEPS1_S1_EviT1_lS5_lT2_lT0_lPT3_i.num_vgpr, 12
	.set _ZL36rocblas_hemvn_kernel_lower_block_sumILi64ElPK19rocblas_complex_numIdEPS1_S1_EviT1_lS5_lT2_lT0_lPT3_i.num_agpr, 0
	.set _ZL36rocblas_hemvn_kernel_lower_block_sumILi64ElPK19rocblas_complex_numIdEPS1_S1_EviT1_lS5_lT2_lT0_lPT3_i.numbered_sgpr, 28
	.set _ZL36rocblas_hemvn_kernel_lower_block_sumILi64ElPK19rocblas_complex_numIdEPS1_S1_EviT1_lS5_lT2_lT0_lPT3_i.num_named_barrier, 0
	.set _ZL36rocblas_hemvn_kernel_lower_block_sumILi64ElPK19rocblas_complex_numIdEPS1_S1_EviT1_lS5_lT2_lT0_lPT3_i.private_seg_size, 0
	.set _ZL36rocblas_hemvn_kernel_lower_block_sumILi64ElPK19rocblas_complex_numIdEPS1_S1_EviT1_lS5_lT2_lT0_lPT3_i.uses_vcc, 1
	.set _ZL36rocblas_hemvn_kernel_lower_block_sumILi64ElPK19rocblas_complex_numIdEPS1_S1_EviT1_lS5_lT2_lT0_lPT3_i.uses_flat_scratch, 0
	.set _ZL36rocblas_hemvn_kernel_lower_block_sumILi64ElPK19rocblas_complex_numIdEPS1_S1_EviT1_lS5_lT2_lT0_lPT3_i.has_dyn_sized_stack, 0
	.set _ZL36rocblas_hemvn_kernel_lower_block_sumILi64ElPK19rocblas_complex_numIdEPS1_S1_EviT1_lS5_lT2_lT0_lPT3_i.has_recursion, 0
	.set _ZL36rocblas_hemvn_kernel_lower_block_sumILi64ElPK19rocblas_complex_numIdEPS1_S1_EviT1_lS5_lT2_lT0_lPT3_i.has_indirect_call, 0
	.section	.AMDGPU.csdata,"",@progbits
; Kernel info:
; codeLenInByte = 936
; TotalNumSgprs: 32
; NumVgprs: 12
; ScratchSize: 0
; MemoryBound: 0
; FloatMode: 240
; IeeeMode: 1
; LDSByteSize: 0 bytes/workgroup (compile time only)
; SGPRBlocks: 3
; VGPRBlocks: 2
; NumSGPRsForWavesPerEU: 32
; NumVGPRsForWavesPerEU: 12
; Occupancy: 10
; WaveLimiterHint : 0
; COMPUTE_PGM_RSRC2:SCRATCH_EN: 0
; COMPUTE_PGM_RSRC2:USER_SGPR: 6
; COMPUTE_PGM_RSRC2:TRAP_HANDLER: 0
; COMPUTE_PGM_RSRC2:TGID_X_EN: 1
; COMPUTE_PGM_RSRC2:TGID_Y_EN: 0
; COMPUTE_PGM_RSRC2:TGID_Z_EN: 1
; COMPUTE_PGM_RSRC2:TIDIG_COMP_CNT: 0
	.section	.text._ZL26rocblas_hemvn_kernel_lowerILb1ELi64ELi4ELi33ELi32ELi16EiPK19rocblas_complex_numIdES3_PS1_EviT6_lT7_lT5_lS6_lS7_lS5_lT8_i,"axG",@progbits,_ZL26rocblas_hemvn_kernel_lowerILb1ELi64ELi4ELi33ELi32ELi16EiPK19rocblas_complex_numIdES3_PS1_EviT6_lT7_lT5_lS6_lS7_lS5_lT8_i,comdat
	.globl	_ZL26rocblas_hemvn_kernel_lowerILb1ELi64ELi4ELi33ELi32ELi16EiPK19rocblas_complex_numIdES3_PS1_EviT6_lT7_lT5_lS6_lS7_lS5_lT8_i ; -- Begin function _ZL26rocblas_hemvn_kernel_lowerILb1ELi64ELi4ELi33ELi32ELi16EiPK19rocblas_complex_numIdES3_PS1_EviT6_lT7_lT5_lS6_lS7_lS5_lT8_i
	.p2align	8
	.type	_ZL26rocblas_hemvn_kernel_lowerILb1ELi64ELi4ELi33ELi32ELi16EiPK19rocblas_complex_numIdES3_PS1_EviT6_lT7_lT5_lS6_lS7_lS5_lT8_i,@function
_ZL26rocblas_hemvn_kernel_lowerILb1ELi64ELi4ELi33ELi32ELi16EiPK19rocblas_complex_numIdES3_PS1_EviT6_lT7_lT5_lS6_lS7_lS5_lT8_i: ; @_ZL26rocblas_hemvn_kernel_lowerILb1ELi64ELi4ELi33ELi32ELi16EiPK19rocblas_complex_numIdES3_PS1_EviT6_lT7_lT5_lS6_lS7_lS5_lT8_i
; %bb.0:
	s_load_dwordx2 s[2:3], s[4:5], 0x84
	s_add_u32 s0, s4, 0x78
	s_addc_u32 s1, s5, 0
	s_waitcnt lgkmcnt(0)
	s_lshr_b32 s8, s2, 16
	s_and_b32 s2, s2, 0xffff
	s_and_b32 s3, s3, 0xffff
	s_mul_i32 s2, s8, s2
	s_mul_i32 s2, s2, s3
	s_cmpk_lg_i32 s2, 0x100
	s_cbranch_scc1 .LBB26_151
; %bb.1:
	s_load_dwordx8 s[8:15], s[4:5], 0x8
	s_load_dwordx8 s[16:23], s[4:5], 0x50
	v_mov_b32_e32 v2, v1
	s_waitcnt lgkmcnt(0)
	s_mul_i32 s3, s11, s7
	s_mul_hi_u32 s11, s10, s7
	s_mul_i32 s2, s10, s7
	s_add_i32 s3, s11, s3
	s_lshl_b64 s[2:3], s[2:3], 4
	s_add_u32 s2, s8, s2
	s_addc_u32 s3, s9, s3
	s_load_dwordx4 s[8:11], s[2:3], 0x0
	s_waitcnt lgkmcnt(0)
	v_cmp_neq_f64_e64 s[2:3], s[8:9], 0
	v_cmp_neq_f64_e64 s[8:9], s[10:11], 0
	s_or_b64 s[2:3], s[2:3], s[8:9]
	s_mov_b64 s[8:9], -1
	s_and_b64 vcc, exec, s[2:3]
	s_cbranch_vccnz .LBB26_3
; %bb.2:
	s_mul_i32 s8, s21, s7
	s_mul_hi_u32 s9, s20, s7
	s_add_i32 s9, s9, s8
	s_mul_i32 s8, s20, s7
	s_lshl_b64 s[8:9], s[8:9], 4
	s_add_u32 s18, s18, s8
	s_addc_u32 s19, s19, s9
	s_load_dwordx4 s[8:11], s[18:19], 0x0
	s_waitcnt lgkmcnt(0)
	v_cmp_neq_f64_e64 s[8:9], s[8:9], 1.0
	v_cmp_neq_f64_e64 s[10:11], s[10:11], 0
	s_or_b64 s[8:9], s[8:9], s[10:11]
.LBB26_3:
	s_andn2_b64 vcc, exec, s[8:9]
	s_cbranch_vccnz .LBB26_151
; %bb.4:
	s_andn2_b64 vcc, exec, s[2:3]
	s_cbranch_vccnz .LBB26_151
; %bb.5:
	s_load_dword s41, s[0:1], 0x0
	s_load_dword s40, s[4:5], 0x0
	s_load_dwordx4 s[8:11], s[4:5], 0x30
	s_load_dwordx2 s[2:3], s[4:5], 0x40
	s_load_dword s33, s[4:5], 0x48
	s_mul_i32 s0, s17, s7
	s_mul_hi_u32 s1, s16, s7
	s_add_i32 s1, s1, s0
	s_mul_i32 s0, s16, s7
	s_lshl_b64 s[0:1], s[0:1], 4
	s_waitcnt lgkmcnt(0)
	s_add_u32 s10, s10, s0
	s_addc_u32 s11, s11, s1
	s_lshl_b64 s[0:1], s[2:3], 4
	s_add_u32 s0, s10, s0
	s_addc_u32 s1, s11, s1
	s_lshl_b32 s24, s6, 6
	v_add_u32_e32 v143, s24, v0
	v_mul_lo_u32 v3, s33, v143
	s_ashr_i32 s42, s40, 31
	s_lshr_b32 s3, s42, 26
	s_add_i32 s3, s40, s3
	v_ashrrev_i32_e32 v4, 31, v3
	s_andn2_b32 s3, s3, 63
	v_lshlrev_b64 v[3:4], 4, v[3:4]
	s_add_i32 s2, s41, -1
	s_sub_i32 s3, s40, s3
	s_cmp_eq_u32 s6, s2
	v_mov_b32_e32 v1, s1
	v_add_co_u32_e32 v39, vcc, s0, v3
	s_cselect_b32 s20, s3, 0
	v_addc_co_u32_e32 v40, vcc, v1, v4, vcc
	v_cmp_ne_u32_e64 s[0:1], 0, v2
	v_cmp_eq_u32_e64 s[2:3], 0, v2
	s_and_saveexec_b64 s[10:11], s[2:3]
	s_cbranch_execz .LBB26_10
; %bb.6:
	s_cmp_lg_u32 s20, 0
	s_cselect_b64 s[16:17], -1, 0
	v_cmp_le_i32_e32 vcc, s20, v0
	v_mov_b32_e32 v1, 0x4700
	s_and_b64 s[16:17], s[16:17], vcc
	v_lshl_add_u32 v1, v0, 4, v1
	s_and_saveexec_b64 s[18:19], s[16:17]
	s_xor_b64 s[16:17], exec, s[18:19]
; %bb.7:
	v_mov_b32_e32 v3, 0
	v_mov_b32_e32 v4, v3
	;; [unrolled: 1-line block ×4, first 2 shown]
	ds_write_b128 v1, v[3:6]
                                        ; implicit-def: $vgpr1
; %bb.8:
	s_andn2_saveexec_b64 s[16:17], s[16:17]
	s_cbranch_execz .LBB26_10
; %bb.9:
	global_load_dwordx4 v[3:6], v[39:40], off
	s_waitcnt vmcnt(0)
	ds_write2_b64 v1, v[3:4], v[5:6] offset1:1
.LBB26_10:
	s_or_b64 exec, exec, s[10:11]
	s_load_dword s26, s[4:5], 0x28
	v_lshl_add_u32 v45, v2, 6, v0
	s_mul_i32 s9, s9, s7
	s_mul_hi_u32 s10, s8, s7
	v_and_b32_e32 v1, 31, v0
	v_lshrrev_b32_e32 v13, 5, v45
	s_add_i32 s9, s10, s9
	s_mul_i32 s8, s8, s7
	s_lshl_b64 s[8:9], s[8:9], 4
	s_waitcnt lgkmcnt(0)
	v_mad_u64_u32 v[3:4], s[4:5], s26, v13, v[1:2]
	s_add_u32 s10, s12, s8
	s_addc_u32 s11, s13, s9
	s_lshl_b64 s[8:9], s[14:15], 4
	s_add_u32 s8, s10, s8
	s_addc_u32 s9, s11, s9
	s_ashr_i32 s25, s24, 31
	v_ashrrev_i32_e32 v4, 31, v3
	s_lshl_b64 s[4:5], s[24:25], 4
	v_lshlrev_b64 v[41:42], 4, v[3:4]
	s_add_u32 s4, s8, s4
	s_addc_u32 s5, s9, s5
	v_add_co_u32_e32 v4, vcc, s4, v41
	s_mul_i32 s4, s26, s24
	v_mov_b32_e32 v3, s5
	s_ashr_i32 s5, s4, 31
	v_addc_co_u32_e32 v3, vcc, v3, v42, vcc
	s_lshl_b64 s[28:29], s[4:5], 4
	v_mov_b32_e32 v5, s29
	v_add_co_u32_e32 v7, vcc, s28, v4
	s_cmp_lg_u32 s20, 0
	v_addc_co_u32_e32 v8, vcc, v3, v5, vcc
	s_cselect_b64 s[30:31], -1, 0
	s_cmp_eq_u32 s20, 0
	s_cselect_b64 s[16:17], -1, 0
	s_mov_b64 s[4:5], -1
	s_and_b64 vcc, exec, s[30:31]
	s_cbranch_vccnz .LBB26_12
; %bb.11:
	s_lshl_b32 s4, s26, 3
	s_ashr_i32 s5, s4, 31
	s_lshl_b64 s[4:5], s[4:5], 4
	v_mov_b32_e32 v9, s5
	v_add_co_u32_e32 v18, vcc, s4, v7
	s_ashr_i32 s27, s26, 31
	v_addc_co_u32_e32 v19, vcc, v8, v9, vcc
	s_lshl_b64 s[4:5], s[26:27], 7
	v_mov_b32_e32 v22, s5
	v_add_co_u32_e32 v20, vcc, s4, v18
	global_load_dwordx4 v[3:6], v[7:8], off
	v_addc_co_u32_e32 v21, vcc, v19, v22, vcc
	global_load_dwordx4 v[9:12], v[18:19], off
	global_load_dwordx4 v[14:17], v[20:21], off
	v_add_co_u32_e32 v18, vcc, s4, v20
	v_addc_co_u32_e32 v19, vcc, v21, v22, vcc
	global_load_dwordx4 v[18:21], v[18:19], off
	v_mul_u32_u24_e32 v22, 0x210, v13
	v_lshl_add_u32 v22, v1, 4, v22
	s_mov_b64 s[4:5], 0
	v_add_u32_e32 v23, 0x1080, v22
	v_add_u32_e32 v24, 0x2100, v22
	;; [unrolled: 1-line block ×3, first 2 shown]
	s_waitcnt vmcnt(3)
	ds_write2_b64 v22, v[3:4], v[5:6] offset1:1
	s_waitcnt vmcnt(2)
	ds_write2_b64 v23, v[9:10], v[11:12] offset1:1
	;; [unrolled: 2-line block ×4, first 2 shown]
.LBB26_12:
	s_andn2_b64 vcc, exec, s[4:5]
	v_lshlrev_b32_e32 v14, 4, v1
	s_cbranch_vccnz .LBB26_30
; %bb.13:
	v_sub_co_u32_e32 v3, vcc, v7, v14
	s_ashr_i32 s21, s20, 31
	v_subbrev_co_u32_e32 v4, vcc, 0, v8, vcc
	s_lshl_b64 s[8:9], s[20:21], 4
	v_mov_b32_e32 v5, s9
	v_add_co_u32_e32 v3, vcc, s8, v3
	v_addc_co_u32_e32 v4, vcc, v4, v5, vcc
	v_add_co_u32_e32 v3, vcc, -16, v3
	v_addc_co_u32_e32 v4, vcc, -1, v4, vcc
	v_cmp_gt_i32_e32 vcc, s20, v1
	s_movk_i32 s10, 0x210
	v_cndmask_b32_e32 v4, v4, v8, vcc
	v_cndmask_b32_e32 v3, v3, v7, vcc
	v_cmp_le_i32_e64 s[4:5], s20, v13
	v_mad_u32_u24 v5, v13, s10, v14
	s_and_saveexec_b64 s[10:11], s[4:5]
	s_xor_b64 s[4:5], exec, s[10:11]
; %bb.14:
	v_mov_b32_e32 v9, 0
	v_mov_b32_e32 v10, v9
	;; [unrolled: 1-line block ×4, first 2 shown]
	ds_write_b128 v5, v[9:12]
                                        ; implicit-def: $vgpr5
; %bb.15:
	s_andn2_saveexec_b64 s[4:5], s[4:5]
	s_cbranch_execz .LBB26_17
; %bb.16:
	global_load_dwordx4 v[9:12], v[3:4], off
	s_waitcnt vmcnt(0)
	ds_write2_b64 v5, v[9:10], v[11:12] offset1:1
.LBB26_17:
	s_or_b64 exec, exec, s[4:5]
	v_add_u32_e32 v6, 8, v13
	v_mul_u32_u24_e32 v5, 0x210, v13
	v_cmp_le_i32_e64 s[4:5], s20, v6
	s_and_saveexec_b64 s[10:11], s[4:5]
	s_xor_b64 s[4:5], exec, s[10:11]
	s_cbranch_execz .LBB26_19
; %bb.18:
	v_mov_b32_e32 v9, 0
	v_add_u32_e32 v6, v5, v14
	v_mov_b32_e32 v10, v9
	v_mov_b32_e32 v11, v9
	;; [unrolled: 1-line block ×3, first 2 shown]
	ds_write_b128 v6, v[9:12] offset:4224
.LBB26_19:
	s_andn2_saveexec_b64 s[10:11], s[4:5]
	s_cbranch_execz .LBB26_21
; %bb.20:
	s_lshl_b32 s4, s26, 3
	s_ashr_i32 s5, s4, 31
	s_lshl_b64 s[4:5], s[4:5], 4
	v_mov_b32_e32 v6, s5
	v_add_co_u32_e64 v9, s[4:5], s4, v3
	v_addc_co_u32_e64 v10, s[4:5], v4, v6, s[4:5]
	global_load_dwordx4 v[9:12], v[9:10], off
	s_movk_i32 s4, 0x1080
	v_add3_u32 v6, v5, v14, s4
	s_waitcnt vmcnt(0)
	ds_write2_b64 v6, v[9:10], v[11:12] offset1:1
.LBB26_21:
	s_or_b64 exec, exec, s[10:11]
	v_add_u32_e32 v6, 16, v13
	v_cmp_le_i32_e64 s[4:5], s20, v6
	s_and_saveexec_b64 s[10:11], s[4:5]
	s_xor_b64 s[4:5], exec, s[10:11]
	s_cbranch_execz .LBB26_23
; %bb.22:
	v_mov_b32_e32 v9, 0
	v_add_u32_e32 v6, v5, v14
	v_mov_b32_e32 v10, v9
	v_mov_b32_e32 v11, v9
	;; [unrolled: 1-line block ×3, first 2 shown]
	ds_write_b128 v6, v[9:12] offset:8448
.LBB26_23:
	s_andn2_saveexec_b64 s[10:11], s[4:5]
	s_cbranch_execz .LBB26_25
; %bb.24:
	s_lshl_b32 s4, s26, 4
	s_ashr_i32 s5, s4, 31
	s_lshl_b64 s[4:5], s[4:5], 4
	v_mov_b32_e32 v6, s5
	v_add_co_u32_e64 v9, s[4:5], s4, v3
	v_addc_co_u32_e64 v10, s[4:5], v4, v6, s[4:5]
	global_load_dwordx4 v[9:12], v[9:10], off
	s_movk_i32 s4, 0x2100
	v_add3_u32 v6, v5, v14, s4
	s_waitcnt vmcnt(0)
	ds_write2_b64 v6, v[9:10], v[11:12] offset1:1
.LBB26_25:
	s_or_b64 exec, exec, s[10:11]
	v_add_u32_e32 v6, 24, v13
	v_cmp_le_i32_e64 s[4:5], s20, v6
	s_and_saveexec_b64 s[10:11], s[4:5]
	s_xor_b64 s[4:5], exec, s[10:11]
	s_cbranch_execz .LBB26_27
; %bb.26:
	v_mov_b32_e32 v9, 0
	v_add_u32_e32 v5, v5, v14
	v_mov_b32_e32 v10, v9
	v_mov_b32_e32 v11, v9
	;; [unrolled: 1-line block ×3, first 2 shown]
	ds_write_b128 v5, v[9:12] offset:12672
                                        ; implicit-def: $vgpr5
.LBB26_27:
	s_andn2_saveexec_b64 s[10:11], s[4:5]
	s_cbranch_execz .LBB26_29
; %bb.28:
	s_mul_i32 s4, s26, 24
	s_ashr_i32 s5, s4, 31
	s_lshl_b64 s[4:5], s[4:5], 4
	v_mov_b32_e32 v6, s5
	v_add_co_u32_e64 v9, s[4:5], s4, v3
	v_addc_co_u32_e64 v10, s[4:5], v4, v6, s[4:5]
	global_load_dwordx4 v[9:12], v[9:10], off
	s_movk_i32 s4, 0x3180
	v_add3_u32 v5, v5, v14, s4
	s_waitcnt vmcnt(0)
	ds_write2_b64 v5, v[9:10], v[11:12] offset1:1
.LBB26_29:
	s_or_b64 exec, exec, s[10:11]
	v_add_co_u32_e64 v3, s[4:5], v3, v14
	v_addc_co_u32_e64 v4, s[4:5], 0, v4, s[4:5]
	v_mov_b32_e32 v5, s9
	v_subrev_co_u32_e64 v3, s[4:5], s8, v3
	v_subb_co_u32_e64 v4, s[4:5], v4, v5, s[4:5]
	v_add_co_u32_e64 v3, s[4:5], 16, v3
	v_addc_co_u32_e64 v4, s[4:5], 0, v4, s[4:5]
	v_cndmask_b32_e32 v8, v4, v8, vcc
	v_cndmask_b32_e32 v7, v3, v7, vcc
.LBB26_30:
	v_lshlrev_b32_e32 v15, 2, v13
	v_mul_u32_u24_e32 v16, 0x210, v1
	v_cmp_ge_u32_e64 s[18:19], v15, v1
	s_mov_b64 s[4:5], 0
	s_waitcnt lgkmcnt(0)
	s_barrier
                                        ; implicit-def: $vgpr10
	s_and_saveexec_b64 s[8:9], s[18:19]
	s_xor_b64 s[8:9], exec, s[8:9]
	s_cbranch_execz .LBB26_34
; %bb.31:
	v_cmp_eq_u32_e32 vcc, v15, v1
                                        ; implicit-def: $vgpr10
	s_and_saveexec_b64 s[10:11], vcc
	s_xor_b64 s[10:11], exec, s[10:11]
; %bb.32:
	s_mov_b64 s[4:5], exec
	v_add_u32_e32 v10, v14, v16
; %bb.33:
	s_or_b64 exec, exec, s[10:11]
	s_and_b64 s[4:5], s[4:5], exec
.LBB26_34:
	s_or_saveexec_b64 s[8:9], s[8:9]
	v_mov_b32_e32 v5, 0
	v_mov_b32_e32 v6, 0
	v_lshl_or_b32 v9, v1, 9, v14
	s_xor_b64 exec, exec, s[8:9]
	s_cbranch_execz .LBB26_36
; %bb.35:
	s_movk_i32 s10, 0x840
	v_mad_u32_u24 v3, v13, s10, v14
	ds_read_b128 v[3:6], v3
	v_lshl_add_u32 v10, v15, 4, v9
	s_or_b64 s[4:5], s[4:5], exec
	s_waitcnt lgkmcnt(0)
	v_xor_b32_e32 v6, 0x80000000, v6
	ds_write_b64 v10, v[3:4]
.LBB26_36:
	s_or_b64 exec, exec, s[8:9]
	s_and_saveexec_b64 s[8:9], s[4:5]
; %bb.37:
	ds_write_b64 v10, v[5:6] offset:8
; %bb.38:
	s_or_b64 exec, exec, s[8:9]
	v_or_b32_e32 v18, 1, v15
	v_cmp_ge_u32_e64 s[8:9], v18, v1
	s_mov_b64 s[4:5], 0
                                        ; implicit-def: $vgpr10
	s_and_saveexec_b64 s[10:11], s[8:9]
	s_xor_b64 s[10:11], exec, s[10:11]
	s_cbranch_execz .LBB26_42
; %bb.39:
	v_cmp_eq_u32_e32 vcc, v18, v1
                                        ; implicit-def: $vgpr10
	s_and_saveexec_b64 s[12:13], vcc
; %bb.40:
	s_mov_b64 s[4:5], exec
	v_add_u32_e32 v10, v14, v16
; %bb.41:
	s_or_b64 exec, exec, s[12:13]
	s_and_b64 s[4:5], s[4:5], exec
.LBB26_42:
	s_or_saveexec_b64 s[10:11], s[10:11]
	v_mov_b32_e32 v5, 0
	v_mov_b32_e32 v6, 0
	s_xor_b64 exec, exec, s[10:11]
	s_cbranch_execz .LBB26_44
; %bb.43:
	s_movk_i32 s12, 0x210
	v_mad_u32_u24 v3, v18, s12, v14
	ds_read_b128 v[3:6], v3
	v_lshl_add_u32 v11, v15, 4, v9
	v_add_u32_e32 v10, 16, v11
	s_or_b64 s[4:5], s[4:5], exec
	s_waitcnt lgkmcnt(0)
	v_xor_b32_e32 v6, 0x80000000, v6
	ds_write_b64 v11, v[3:4] offset:16
.LBB26_44:
	s_or_b64 exec, exec, s[10:11]
	s_and_saveexec_b64 s[10:11], s[4:5]
; %bb.45:
	ds_write_b64 v10, v[5:6] offset:8
; %bb.46:
	s_or_b64 exec, exec, s[10:11]
	v_or_b32_e32 v19, 2, v15
	v_cmp_ge_u32_e64 s[10:11], v19, v1
	s_mov_b64 s[4:5], 0
                                        ; implicit-def: $vgpr10
	s_and_saveexec_b64 s[12:13], s[10:11]
	s_xor_b64 s[12:13], exec, s[12:13]
	s_cbranch_execz .LBB26_50
; %bb.47:
	v_cmp_eq_u32_e32 vcc, v19, v1
                                        ; implicit-def: $vgpr10
	s_and_saveexec_b64 s[14:15], vcc
; %bb.48:
	s_mov_b64 s[4:5], exec
	v_add_u32_e32 v10, v14, v16
; %bb.49:
	s_or_b64 exec, exec, s[14:15]
	s_and_b64 s[4:5], s[4:5], exec
.LBB26_50:
	s_or_saveexec_b64 s[12:13], s[12:13]
	v_mov_b32_e32 v5, 0
	v_mov_b32_e32 v6, 0
	s_xor_b64 exec, exec, s[12:13]
	s_cbranch_execz .LBB26_52
; %bb.51:
	s_movk_i32 s14, 0x210
	v_mad_u32_u24 v3, v19, s14, v14
	ds_read_b128 v[3:6], v3
	v_lshl_add_u32 v11, v15, 4, v9
	v_add_u32_e32 v10, 32, v11
	s_or_b64 s[4:5], s[4:5], exec
	s_waitcnt lgkmcnt(0)
	v_xor_b32_e32 v6, 0x80000000, v6
	ds_write_b64 v11, v[3:4] offset:32
.LBB26_52:
	s_or_b64 exec, exec, s[12:13]
	s_and_saveexec_b64 s[12:13], s[4:5]
; %bb.53:
	ds_write_b64 v10, v[5:6] offset:8
; %bb.54:
	s_or_b64 exec, exec, s[12:13]
	v_or_b32_e32 v20, 3, v15
	v_cmp_ge_u32_e64 s[12:13], v20, v1
	s_mov_b64 s[4:5], 0
                                        ; implicit-def: $vgpr10
	s_and_saveexec_b64 s[14:15], s[12:13]
	s_xor_b64 s[14:15], exec, s[14:15]
	s_cbranch_execz .LBB26_58
; %bb.55:
	v_cmp_eq_u32_e32 vcc, v20, v1
                                        ; implicit-def: $vgpr10
	s_and_saveexec_b64 s[34:35], vcc
; %bb.56:
	s_mov_b64 s[4:5], exec
	v_add_u32_e32 v10, v14, v16
; %bb.57:
	s_or_b64 exec, exec, s[34:35]
	s_and_b64 s[4:5], s[4:5], exec
                                        ; implicit-def: $vgpr9
.LBB26_58:
	s_or_saveexec_b64 s[14:15], s[14:15]
	v_mov_b32_e32 v5, 0
	v_mov_b32_e32 v6, 0
	s_xor_b64 exec, exec, s[14:15]
	s_cbranch_execz .LBB26_60
; %bb.59:
	s_movk_i32 s21, 0x210
	v_mad_u32_u24 v3, v20, s21, v14
	ds_read_b128 v[3:6], v3
	v_lshl_add_u32 v9, v15, 4, v9
	v_add_u32_e32 v10, 48, v9
	s_or_b64 s[4:5], s[4:5], exec
	s_waitcnt lgkmcnt(0)
	v_xor_b32_e32 v6, 0x80000000, v6
	ds_write_b64 v9, v[3:4] offset:48
.LBB26_60:
	s_or_b64 exec, exec, s[14:15]
	s_and_saveexec_b64 s[14:15], s[4:5]
; %bb.61:
	ds_write_b64 v10, v[5:6] offset:8
; %bb.62:
	s_or_b64 exec, exec, s[14:15]
	s_movk_i32 s4, 0x840
	v_lshlrev_b32_e32 v9, 4, v15
	s_waitcnt lgkmcnt(0)
	s_barrier
	v_mad_u32_u24 v10, v13, s4, v14
	ds_read_b128 v[3:6], v9 offset:18176
	ds_read_b128 v[21:24], v10
	ds_read_b128 v[25:28], v9 offset:18192
	s_movk_i32 s4, 0x210
	v_mad_u32_u24 v12, v18, s4, v14
	ds_read_b128 v[29:32], v12
	ds_read_b128 v[33:36], v9 offset:18208
	s_waitcnt lgkmcnt(3)
	v_mul_f64 v[10:11], v[5:6], v[23:24]
	v_mul_f64 v[23:24], v[3:4], v[23:24]
	ds_read_b128 v[46:49], v12 offset:528
	s_waitcnt lgkmcnt(2)
	v_mul_f64 v[37:38], v[27:28], v[31:32]
	v_mul_f64 v[31:32], v[25:26], v[31:32]
	v_cmp_gt_u32_e64 s[4:5], 32, v45
	v_fma_f64 v[10:11], v[3:4], v[21:22], -v[10:11]
	v_fma_f64 v[43:44], v[5:6], v[21:22], v[23:24]
	ds_read_b128 v[3:6], v9 offset:18224
	ds_read_b128 v[21:24], v12 offset:1056
	v_fma_f64 v[25:26], v[25:26], v[29:30], -v[37:38]
	s_waitcnt lgkmcnt(2)
	v_mul_f64 v[37:38], v[35:36], v[48:49]
	v_fma_f64 v[27:28], v[27:28], v[29:30], v[31:32]
	v_mul_f64 v[29:30], v[33:34], v[48:49]
	s_waitcnt lgkmcnt(0)
	v_add_f64 v[10:11], v[10:11], 0
	v_add_f64 v[31:32], v[43:44], 0
	v_mul_f64 v[43:44], v[5:6], v[23:24]
	v_mul_f64 v[23:24], v[3:4], v[23:24]
	v_fma_f64 v[33:34], v[33:34], v[46:47], -v[37:38]
	s_barrier
	v_add_f64 v[10:11], v[10:11], v[25:26]
	v_fma_f64 v[25:26], v[35:36], v[46:47], v[29:30]
	v_add_f64 v[27:28], v[31:32], v[27:28]
	v_fma_f64 v[29:30], v[3:4], v[21:22], -v[43:44]
	v_fma_f64 v[5:6], v[5:6], v[21:22], v[23:24]
	v_mov_b32_e32 v3, 0
	v_mov_b32_e32 v4, 0
	v_add_f64 v[10:11], v[10:11], v[33:34]
	v_add_f64 v[23:24], v[27:28], v[25:26]
	;; [unrolled: 1-line block ×3, first 2 shown]
	v_mul_u32_u24_e32 v10, 33, v1
	v_add_f64 v[23:24], v[23:24], v[5:6]
	v_mov_b32_e32 v5, 0
	v_lshlrev_b32_e32 v46, 4, v10
	v_mov_b32_e32 v6, 0
	v_lshl_add_u32 v47, v13, 4, v46
	ds_write_b128 v47, v[21:24]
	s_waitcnt lgkmcnt(0)
	s_barrier
	s_and_saveexec_b64 s[14:15], s[4:5]
	s_cbranch_execz .LBB26_64
; %bb.63:
	ds_read_b128 v[3:6], v46
	ds_read_b128 v[21:24], v46 offset:16
	s_waitcnt lgkmcnt(0)
	v_add_f64 v[10:11], v[21:22], v[3:4]
	v_add_f64 v[25:26], v[23:24], v[5:6]
	ds_read_b128 v[3:6], v46 offset:32
	ds_read_b128 v[21:24], v46 offset:48
	s_waitcnt lgkmcnt(1)
	v_add_f64 v[3:4], v[10:11], v[3:4]
	v_add_f64 v[5:6], v[25:26], v[5:6]
	s_waitcnt lgkmcnt(0)
	v_add_f64 v[10:11], v[3:4], v[21:22]
	v_add_f64 v[25:26], v[5:6], v[23:24]
	ds_read_b128 v[3:6], v46 offset:64
	ds_read_b128 v[21:24], v46 offset:80
	s_waitcnt lgkmcnt(1)
	v_add_f64 v[3:4], v[10:11], v[3:4]
	v_add_f64 v[5:6], v[25:26], v[5:6]
	;; [unrolled: 8-line block ×3, first 2 shown]
	s_waitcnt lgkmcnt(0)
	v_add_f64 v[3:4], v[3:4], v[21:22]
	v_add_f64 v[5:6], v[5:6], v[23:24]
.LBB26_64:
	s_or_b64 exec, exec, s[14:15]
	s_lshl_b32 s14, s26, 5
	s_ashr_i32 s15, s14, 31
	s_lshl_b64 s[34:35], s[14:15], 4
	v_mov_b32_e32 v10, s35
	v_add_co_u32_e32 v7, vcc, s34, v7
	v_addc_co_u32_e32 v8, vcc, v8, v10, vcc
	v_add_co_u32_e32 v11, vcc, 0x200, v7
	v_addc_co_u32_e32 v12, vcc, 0, v8, vcc
	v_cndmask_b32_e64 v10, 0, 1, s[16:17]
	v_cmp_ne_u32_e64 s[14:15], 1, v10
	s_andn2_b64 vcc, exec, s[16:17]
	s_mov_b64 s[16:17], -1
	s_barrier
	s_cbranch_vccnz .LBB26_66
; %bb.65:
	s_lshl_b32 s16, s26, 3
	s_ashr_i32 s17, s16, 31
	s_lshl_b64 s[16:17], s[16:17], 4
	v_mov_b32_e32 v10, s17
	v_add_co_u32_e32 v33, vcc, s16, v7
	s_ashr_i32 s27, s26, 31
	v_addc_co_u32_e32 v34, vcc, v8, v10, vcc
	s_lshl_b64 s[16:17], s[26:27], 7
	v_mov_b32_e32 v10, s17
	v_add_co_u32_e32 v35, vcc, s16, v33
	global_load_dwordx4 v[21:24], v[11:12], off
	v_addc_co_u32_e32 v36, vcc, v34, v10, vcc
	global_load_dwordx4 v[25:28], v[33:34], off offset:512
	global_load_dwordx4 v[29:32], v[35:36], off offset:512
	v_add_co_u32_e32 v33, vcc, s16, v35
	v_addc_co_u32_e32 v34, vcc, v36, v10, vcc
	global_load_dwordx4 v[33:36], v[33:34], off offset:512
	s_movk_i32 s16, 0x210
	v_mad_u32_u24 v10, v13, s16, v14
	s_mov_b64 s[16:17], 0
	v_add_u32_e32 v17, 0x1080, v10
	v_add_u32_e32 v37, 0x2100, v10
	;; [unrolled: 1-line block ×3, first 2 shown]
	s_waitcnt vmcnt(3)
	ds_write2_b64 v10, v[21:22], v[23:24] offset1:1
	s_waitcnt vmcnt(2)
	ds_write2_b64 v17, v[25:26], v[27:28] offset1:1
	;; [unrolled: 2-line block ×4, first 2 shown]
.LBB26_66:
	s_andn2_b64 vcc, exec, s[16:17]
	s_cbranch_vccnz .LBB26_84
; %bb.67:
	v_sub_co_u32_e32 v7, vcc, v7, v14
	s_ashr_i32 s21, s20, 31
	v_subbrev_co_u32_e32 v8, vcc, 0, v8, vcc
	s_lshl_b64 s[36:37], s[20:21], 4
	v_mov_b32_e32 v17, s37
	v_add_co_u32_e32 v7, vcc, s36, v7
	v_addc_co_u32_e32 v8, vcc, v8, v17, vcc
	v_or_b32_e32 v10, 32, v1
	v_add_co_u32_e32 v7, vcc, -16, v7
	v_addc_co_u32_e32 v8, vcc, -1, v8, vcc
	v_cmp_gt_i32_e64 s[16:17], s20, v10
	s_sub_i32 s21, s20, 32
	s_movk_i32 s25, 0x210
	v_cndmask_b32_e64 v8, v8, v12, s[16:17]
	v_cndmask_b32_e64 v7, v7, v11, s[16:17]
	v_cmp_le_i32_e32 vcc, s21, v13
	v_mad_u32_u24 v10, v13, s25, v14
	s_and_saveexec_b64 s[38:39], vcc
	s_xor_b64 s[38:39], exec, s[38:39]
; %bb.68:
	v_mov_b32_e32 v21, 0
	v_mov_b32_e32 v22, v21
	;; [unrolled: 1-line block ×4, first 2 shown]
	ds_write_b128 v10, v[21:24]
                                        ; implicit-def: $vgpr10
; %bb.69:
	s_andn2_saveexec_b64 s[38:39], s[38:39]
	s_cbranch_execz .LBB26_71
; %bb.70:
	global_load_dwordx4 v[21:24], v[7:8], off
	s_waitcnt vmcnt(0)
	ds_write2_b64 v10, v[21:22], v[23:24] offset1:1
.LBB26_71:
	s_or_b64 exec, exec, s[38:39]
	v_add_u32_e32 v17, 8, v13
	v_mul_u32_u24_e32 v10, 0x210, v13
	v_cmp_le_i32_e32 vcc, s21, v17
	s_and_saveexec_b64 s[38:39], vcc
	s_xor_b64 s[38:39], exec, s[38:39]
	s_cbranch_execz .LBB26_73
; %bb.72:
	v_mov_b32_e32 v21, 0
	v_add_u32_e32 v17, v10, v14
	v_mov_b32_e32 v22, v21
	v_mov_b32_e32 v23, v21
	;; [unrolled: 1-line block ×3, first 2 shown]
	ds_write_b128 v17, v[21:24] offset:4224
.LBB26_73:
	s_andn2_saveexec_b64 s[38:39], s[38:39]
	s_cbranch_execz .LBB26_75
; %bb.74:
	s_lshl_b32 s44, s26, 3
	s_ashr_i32 s45, s44, 31
	s_lshl_b64 s[44:45], s[44:45], 4
	v_mov_b32_e32 v17, s45
	v_add_co_u32_e32 v21, vcc, s44, v7
	v_addc_co_u32_e32 v22, vcc, v8, v17, vcc
	global_load_dwordx4 v[21:24], v[21:22], off
	s_movk_i32 s25, 0x1080
	v_add3_u32 v17, v10, v14, s25
	s_waitcnt vmcnt(0)
	ds_write2_b64 v17, v[21:22], v[23:24] offset1:1
.LBB26_75:
	s_or_b64 exec, exec, s[38:39]
	v_add_u32_e32 v17, 16, v13
	v_cmp_le_i32_e32 vcc, s21, v17
	s_and_saveexec_b64 s[38:39], vcc
	s_xor_b64 s[38:39], exec, s[38:39]
	s_cbranch_execz .LBB26_77
; %bb.76:
	v_mov_b32_e32 v21, 0
	v_add_u32_e32 v17, v10, v14
	v_mov_b32_e32 v22, v21
	v_mov_b32_e32 v23, v21
	;; [unrolled: 1-line block ×3, first 2 shown]
	ds_write_b128 v17, v[21:24] offset:8448
.LBB26_77:
	s_andn2_saveexec_b64 s[38:39], s[38:39]
	s_cbranch_execz .LBB26_79
; %bb.78:
	s_lshl_b32 s44, s26, 4
	s_ashr_i32 s45, s44, 31
	s_lshl_b64 s[44:45], s[44:45], 4
	v_mov_b32_e32 v17, s45
	v_add_co_u32_e32 v21, vcc, s44, v7
	v_addc_co_u32_e32 v22, vcc, v8, v17, vcc
	global_load_dwordx4 v[21:24], v[21:22], off
	s_movk_i32 s25, 0x2100
	v_add3_u32 v17, v10, v14, s25
	s_waitcnt vmcnt(0)
	ds_write2_b64 v17, v[21:22], v[23:24] offset1:1
.LBB26_79:
	s_or_b64 exec, exec, s[38:39]
	v_add_u32_e32 v17, 24, v13
	v_cmp_le_i32_e32 vcc, s21, v17
	s_and_saveexec_b64 s[38:39], vcc
	s_xor_b64 s[38:39], exec, s[38:39]
	s_cbranch_execz .LBB26_81
; %bb.80:
	v_mov_b32_e32 v21, 0
	v_add_u32_e32 v10, v10, v14
	v_mov_b32_e32 v22, v21
	v_mov_b32_e32 v23, v21
	;; [unrolled: 1-line block ×3, first 2 shown]
	ds_write_b128 v10, v[21:24] offset:12672
                                        ; implicit-def: $vgpr10
.LBB26_81:
	s_andn2_saveexec_b64 s[38:39], s[38:39]
	s_cbranch_execz .LBB26_83
; %bb.82:
	s_mul_i32 s44, s26, 24
	s_ashr_i32 s45, s44, 31
	s_lshl_b64 s[44:45], s[44:45], 4
	v_mov_b32_e32 v17, s45
	v_add_co_u32_e32 v21, vcc, s44, v7
	v_addc_co_u32_e32 v22, vcc, v8, v17, vcc
	global_load_dwordx4 v[21:24], v[21:22], off
	s_movk_i32 s21, 0x3180
	v_add3_u32 v10, v10, v14, s21
	s_waitcnt vmcnt(0)
	ds_write2_b64 v10, v[21:22], v[23:24] offset1:1
.LBB26_83:
	s_or_b64 exec, exec, s[38:39]
	v_add_co_u32_e32 v7, vcc, v7, v14
	v_addc_co_u32_e32 v8, vcc, 0, v8, vcc
	v_mov_b32_e32 v10, s37
	v_subrev_co_u32_e32 v7, vcc, s36, v7
	v_subb_co_u32_e32 v8, vcc, v8, v10, vcc
	v_add_co_u32_e32 v7, vcc, 0x210, v7
	v_addc_co_u32_e32 v8, vcc, 0, v8, vcc
	v_cndmask_b32_e64 v12, v8, v12, s[16:17]
	v_cndmask_b32_e64 v11, v7, v11, s[16:17]
.LBB26_84:
	v_mul_u32_u24_e32 v7, 0x840, v13
	v_add_u32_e32 v17, 0x4700, v9
	v_mul_u32_u24_e32 v22, 0x210, v18
	s_mov_b64 s[16:17], 0
	s_waitcnt lgkmcnt(0)
	s_barrier
                                        ; implicit-def: $vgpr23
	s_and_saveexec_b64 s[36:37], s[18:19]
	s_xor_b64 s[18:19], exec, s[36:37]
	s_cbranch_execz .LBB26_88
; %bb.85:
	v_cmp_eq_u32_e32 vcc, v15, v1
                                        ; implicit-def: $vgpr23
	s_and_saveexec_b64 s[36:37], vcc
	s_xor_b64 s[36:37], exec, s[36:37]
; %bb.86:
	s_mov_b64 s[16:17], exec
	v_add_u32_e32 v23, v14, v16
; %bb.87:
	s_or_b64 exec, exec, s[36:37]
	s_and_b64 s[16:17], s[16:17], exec
.LBB26_88:
	s_or_saveexec_b64 s[18:19], s[18:19]
	v_mov_b32_e32 v9, 0
	v_mov_b32_e32 v10, 0
	v_add_u32_e32 v21, v14, v7
	s_xor_b64 exec, exec, s[18:19]
	s_cbranch_execz .LBB26_90
; %bb.89:
	ds_read_b128 v[7:10], v21
	v_lshl_add_u32 v23, v15, 4, v46
	s_or_b64 s[16:17], s[16:17], exec
	s_waitcnt lgkmcnt(0)
	v_xor_b32_e32 v10, 0x80000000, v10
	ds_write_b64 v23, v[7:8]
.LBB26_90:
	s_or_b64 exec, exec, s[18:19]
	s_and_saveexec_b64 s[18:19], s[16:17]
; %bb.91:
	ds_write_b64 v23, v[9:10] offset:8
; %bb.92:
	s_or_b64 exec, exec, s[18:19]
	s_mov_b64 s[16:17], 0
                                        ; implicit-def: $vgpr23
	s_and_saveexec_b64 s[18:19], s[8:9]
	s_xor_b64 s[8:9], exec, s[18:19]
	s_cbranch_execz .LBB26_96
; %bb.93:
	v_cmp_eq_u32_e32 vcc, v18, v1
                                        ; implicit-def: $vgpr23
	s_and_saveexec_b64 s[18:19], vcc
; %bb.94:
	s_mov_b64 s[16:17], exec
	v_add_u32_e32 v23, v14, v16
; %bb.95:
	s_or_b64 exec, exec, s[18:19]
	s_and_b64 s[16:17], s[16:17], exec
.LBB26_96:
	s_or_saveexec_b64 s[8:9], s[8:9]
	v_mov_b32_e32 v9, 0
	v_mov_b32_e32 v10, 0
	v_add_u32_e32 v18, v14, v22
	s_xor_b64 exec, exec, s[8:9]
	s_cbranch_execz .LBB26_98
; %bb.97:
	ds_read_b128 v[7:10], v18
	v_lshl_add_u32 v22, v15, 4, v46
	v_add_u32_e32 v23, 16, v22
	s_or_b64 s[16:17], s[16:17], exec
	s_waitcnt lgkmcnt(0)
	v_xor_b32_e32 v10, 0x80000000, v10
	ds_write_b64 v22, v[7:8] offset:16
.LBB26_98:
	s_or_b64 exec, exec, s[8:9]
	s_and_saveexec_b64 s[8:9], s[16:17]
; %bb.99:
	ds_write_b64 v23, v[9:10] offset:8
; %bb.100:
	s_or_b64 exec, exec, s[8:9]
	s_mov_b64 s[8:9], 0
                                        ; implicit-def: $vgpr22
	s_and_saveexec_b64 s[16:17], s[10:11]
	s_xor_b64 s[10:11], exec, s[16:17]
	s_cbranch_execz .LBB26_104
; %bb.101:
	v_cmp_eq_u32_e32 vcc, v19, v1
                                        ; implicit-def: $vgpr22
	s_and_saveexec_b64 s[16:17], vcc
; %bb.102:
	s_mov_b64 s[8:9], exec
	v_add_u32_e32 v22, v14, v16
; %bb.103:
	s_or_b64 exec, exec, s[16:17]
	s_and_b64 s[8:9], s[8:9], exec
.LBB26_104:
	s_or_saveexec_b64 s[10:11], s[10:11]
	v_mov_b32_e32 v9, 0
	v_mov_b32_e32 v10, 0
	s_xor_b64 exec, exec, s[10:11]
	s_cbranch_execz .LBB26_106
; %bb.105:
	ds_read_b128 v[7:10], v18 offset:528
	v_lshl_add_u32 v19, v15, 4, v46
	v_add_u32_e32 v22, 32, v19
	s_or_b64 s[8:9], s[8:9], exec
	s_waitcnt lgkmcnt(0)
	v_xor_b32_e32 v10, 0x80000000, v10
	ds_write_b64 v19, v[7:8] offset:32
.LBB26_106:
	s_or_b64 exec, exec, s[10:11]
	s_and_saveexec_b64 s[10:11], s[8:9]
; %bb.107:
	ds_write_b64 v22, v[9:10] offset:8
; %bb.108:
	s_or_b64 exec, exec, s[10:11]
	s_mov_b64 s[8:9], 0
                                        ; implicit-def: $vgpr19
	s_and_saveexec_b64 s[10:11], s[12:13]
	s_xor_b64 s[10:11], exec, s[10:11]
	s_cbranch_execz .LBB26_112
; %bb.109:
	v_cmp_eq_u32_e32 vcc, v20, v1
                                        ; implicit-def: $vgpr19
	s_and_saveexec_b64 s[12:13], vcc
; %bb.110:
	s_mov_b64 s[8:9], exec
	v_add_u32_e32 v19, v14, v16
; %bb.111:
	s_or_b64 exec, exec, s[12:13]
	s_and_b64 s[8:9], s[8:9], exec
.LBB26_112:
	s_or_saveexec_b64 s[10:11], s[10:11]
	v_mov_b32_e32 v9, 0
	v_mov_b32_e32 v10, 0
	s_xor_b64 exec, exec, s[10:11]
	s_cbranch_execz .LBB26_114
; %bb.113:
	ds_read_b128 v[7:10], v18 offset:1056
	v_lshl_add_u32 v16, v15, 4, v46
	v_add_u32_e32 v19, 48, v16
	s_or_b64 s[8:9], s[8:9], exec
	s_waitcnt lgkmcnt(0)
	v_xor_b32_e32 v10, 0x80000000, v10
	ds_write_b64 v16, v[7:8] offset:48
.LBB26_114:
	s_or_b64 exec, exec, s[10:11]
	s_and_saveexec_b64 s[10:11], s[8:9]
; %bb.115:
	ds_write_b64 v19, v[9:10] offset:8
; %bb.116:
	s_or_b64 exec, exec, s[10:11]
	s_waitcnt lgkmcnt(0)
	s_barrier
	ds_read_b128 v[7:10], v21
	ds_read_b128 v[19:22], v17 offset:512
	ds_read_b128 v[23:26], v17 offset:528
	;; [unrolled: 1-line block ×3, first 2 shown]
	ds_read_b128 v[31:34], v18
	ds_read_b128 v[35:38], v17 offset:544
	ds_read_b128 v[48:51], v18 offset:528
	v_cmp_eq_u32_e64 s[10:11], 1, v13
	s_waitcnt lgkmcnt(5)
	v_mul_f64 v[43:44], v[21:22], v[9:10]
	v_mul_f64 v[9:10], v[19:20], v[9:10]
	s_waitcnt lgkmcnt(2)
	v_mul_f64 v[52:53], v[25:26], v[33:34]
	v_mul_f64 v[33:34], v[23:24], v[33:34]
	v_fma_f64 v[18:19], v[19:20], v[7:8], -v[43:44]
	v_fma_f64 v[20:21], v[21:22], v[7:8], v[9:10]
	s_waitcnt lgkmcnt(0)
	v_mul_f64 v[43:44], v[37:38], v[50:51]
	v_mul_f64 v[50:51], v[35:36], v[50:51]
	v_fma_f64 v[22:23], v[23:24], v[31:32], -v[52:53]
	v_fma_f64 v[24:25], v[25:26], v[31:32], v[33:34]
	ds_read_b128 v[7:10], v17 offset:560
	s_waitcnt lgkmcnt(0)
	v_add_f64 v[18:19], v[18:19], 0
	v_add_f64 v[20:21], v[20:21], 0
	v_fma_f64 v[33:34], v[35:36], v[48:49], -v[43:44]
	v_mul_f64 v[31:32], v[9:10], v[29:30]
	v_mul_f64 v[29:30], v[7:8], v[29:30]
	v_fma_f64 v[35:36], v[37:38], v[48:49], v[50:51]
	s_barrier
	v_add_f64 v[18:19], v[18:19], v[22:23]
	v_add_f64 v[20:21], v[20:21], v[24:25]
	v_fma_f64 v[7:8], v[7:8], v[27:28], -v[31:32]
	v_fma_f64 v[9:10], v[9:10], v[27:28], v[29:30]
	v_add_f64 v[18:19], v[18:19], v[33:34]
	v_add_f64 v[20:21], v[20:21], v[35:36]
	;; [unrolled: 1-line block ×4, first 2 shown]
	ds_write_b128 v47, v[7:10]
	s_waitcnt lgkmcnt(0)
	s_barrier
	s_and_saveexec_b64 s[8:9], s[10:11]
	s_cbranch_execz .LBB26_118
; %bb.117:
	ds_read_b128 v[3:6], v46
	ds_read_b128 v[7:10], v46 offset:16
	s_waitcnt lgkmcnt(0)
	v_add_f64 v[18:19], v[7:8], v[3:4]
	v_add_f64 v[20:21], v[9:10], v[5:6]
	ds_read_b128 v[3:6], v46 offset:32
	ds_read_b128 v[7:10], v46 offset:48
	s_waitcnt lgkmcnt(1)
	v_add_f64 v[3:4], v[18:19], v[3:4]
	v_add_f64 v[5:6], v[20:21], v[5:6]
	s_waitcnt lgkmcnt(0)
	v_add_f64 v[18:19], v[3:4], v[7:8]
	v_add_f64 v[20:21], v[5:6], v[9:10]
	ds_read_b128 v[3:6], v46 offset:64
	ds_read_b128 v[7:10], v46 offset:80
	s_waitcnt lgkmcnt(1)
	v_add_f64 v[3:4], v[18:19], v[3:4]
	v_add_f64 v[5:6], v[20:21], v[5:6]
	;; [unrolled: 8-line block ×3, first 2 shown]
	s_waitcnt lgkmcnt(0)
	v_add_f64 v[3:4], v[3:4], v[7:8]
	v_add_f64 v[5:6], v[5:6], v[9:10]
.LBB26_118:
	s_or_b64 exec, exec, s[8:9]
	v_mov_b32_e32 v7, s35
	v_subrev_co_u32_e64 v43, s[8:9], s34, v11
	s_and_b64 vcc, exec, s[14:15]
	v_subb_co_u32_e64 v44, s[8:9], v12, v7, s[8:9]
	s_barrier
	s_cbranch_vccnz .LBB26_120
; %bb.119:
	s_lshl_b32 s8, s26, 3
	s_ashr_i32 s9, s8, 31
	s_lshl_b64 s[8:9], s[8:9], 4
	v_mov_b32_e32 v8, s9
	v_add_co_u32_e32 v7, vcc, s8, v43
	s_ashr_i32 s27, s26, 31
	v_addc_co_u32_e32 v8, vcc, v44, v8, vcc
	s_lshl_b64 s[8:9], s[26:27], 7
	v_mov_b32_e32 v11, s9
	v_add_co_u32_e32 v9, vcc, s8, v7
	global_load_dwordx4 v[18:21], v[43:44], off
	v_addc_co_u32_e32 v10, vcc, v8, v11, vcc
	global_load_dwordx4 v[22:25], v[7:8], off
	global_load_dwordx4 v[26:29], v[9:10], off
	v_add_co_u32_e32 v7, vcc, s8, v9
	v_addc_co_u32_e32 v8, vcc, v10, v11, vcc
	global_load_dwordx4 v[30:33], v[7:8], off
	s_movk_i32 s8, 0x210
	v_mov_b32_e32 v7, 0x1080
	v_mov_b32_e32 v16, 0x2100
	;; [unrolled: 1-line block ×3, first 2 shown]
	v_mul_u32_u24_e32 v11, 0x210, v13
	v_add_u32_e32 v10, 8, v13
	v_add_u32_e32 v9, 16, v13
	;; [unrolled: 1-line block ×3, first 2 shown]
	v_mad_u32_u24 v35, v13, s8, v14
	v_mad_u32_u24 v8, v13, s8, v7
	;; [unrolled: 1-line block ×4, first 2 shown]
	v_add_u32_e32 v34, v14, v8
	v_add_u32_e32 v36, v14, v7
	;; [unrolled: 1-line block ×3, first 2 shown]
	s_waitcnt vmcnt(3)
	ds_write2_b64 v35, v[18:19], v[20:21] offset1:1
	s_waitcnt vmcnt(2)
	ds_write2_b64 v34, v[22:23], v[24:25] offset1:1
	s_waitcnt vmcnt(1)
	ds_write2_b64 v36, v[26:27], v[28:29] offset1:1
	s_waitcnt vmcnt(0)
	ds_write2_b64 v37, v[30:31], v[32:33] offset1:1
	s_cbranch_execz .LBB26_121
	s_branch .LBB26_138
.LBB26_120:
                                        ; implicit-def: $vgpr11
                                        ; implicit-def: $vgpr10
                                        ; implicit-def: $vgpr8
                                        ; implicit-def: $vgpr9
                                        ; implicit-def: $vgpr7
                                        ; implicit-def: $vgpr12
                                        ; implicit-def: $vgpr16
.LBB26_121:
	v_sub_co_u32_e32 v7, vcc, v43, v14
	s_ashr_i32 s21, s20, 31
	v_subbrev_co_u32_e32 v8, vcc, 0, v44, vcc
	s_lshl_b64 s[12:13], s[20:21], 4
	v_mov_b32_e32 v9, s13
	v_add_co_u32_e32 v7, vcc, s12, v7
	v_addc_co_u32_e32 v8, vcc, v8, v9, vcc
	v_or_b32_e32 v1, 32, v1
	v_add_co_u32_e32 v7, vcc, 0xfffffdf0, v7
	v_addc_co_u32_e32 v8, vcc, -1, v8, vcc
	v_cmp_gt_i32_e64 s[8:9], s20, v1
	s_movk_i32 s14, 0x210
	v_cndmask_b32_e64 v8, v8, v44, s[8:9]
	v_cndmask_b32_e64 v7, v7, v43, s[8:9]
	v_cmp_le_i32_e32 vcc, s20, v13
	v_mad_u32_u24 v1, v13, s14, v14
	s_and_saveexec_b64 s[14:15], vcc
	s_xor_b64 s[14:15], exec, s[14:15]
; %bb.122:
	v_mov_b32_e32 v9, 0
	v_mov_b32_e32 v10, v9
	;; [unrolled: 1-line block ×4, first 2 shown]
	ds_write_b128 v1, v[9:12]
                                        ; implicit-def: $vgpr1
; %bb.123:
	s_andn2_saveexec_b64 s[14:15], s[14:15]
	s_cbranch_execz .LBB26_125
; %bb.124:
	global_load_dwordx4 v[9:12], v[7:8], off
	s_waitcnt vmcnt(0)
	ds_write2_b64 v1, v[9:10], v[11:12] offset1:1
.LBB26_125:
	s_or_b64 exec, exec, s[14:15]
	v_add_u32_e32 v10, 8, v13
	v_mul_u32_u24_e32 v11, 0x210, v13
	v_cmp_le_i32_e32 vcc, s20, v10
	s_and_saveexec_b64 s[14:15], vcc
	s_xor_b64 s[14:15], exec, s[14:15]
	s_cbranch_execz .LBB26_127
; %bb.126:
	v_mov_b32_e32 v18, 0
	v_add_u32_e32 v1, v11, v14
	v_mov_b32_e32 v19, v18
	v_mov_b32_e32 v20, v18
	;; [unrolled: 1-line block ×3, first 2 shown]
	ds_write_b128 v1, v[18:21] offset:4224
.LBB26_127:
	s_andn2_saveexec_b64 s[14:15], s[14:15]
	s_cbranch_execz .LBB26_129
; %bb.128:
	s_lshl_b32 s16, s26, 3
	s_ashr_i32 s17, s16, 31
	s_lshl_b64 s[16:17], s[16:17], 4
	v_mov_b32_e32 v1, s17
	v_add_co_u32_e32 v18, vcc, s16, v7
	v_addc_co_u32_e32 v19, vcc, v8, v1, vcc
	global_load_dwordx4 v[18:21], v[18:19], off
	s_movk_i32 s16, 0x1080
	v_add3_u32 v1, v11, v14, s16
	s_waitcnt vmcnt(0)
	ds_write2_b64 v1, v[18:19], v[20:21] offset1:1
.LBB26_129:
	s_or_b64 exec, exec, s[14:15]
	v_add_u32_e32 v9, 16, v13
	v_cmp_le_i32_e32 vcc, s20, v9
	s_and_saveexec_b64 s[14:15], vcc
	s_xor_b64 s[14:15], exec, s[14:15]
	s_cbranch_execz .LBB26_131
; %bb.130:
	v_mov_b32_e32 v18, 0
	v_add_u32_e32 v1, v11, v14
	v_mov_b32_e32 v19, v18
	v_mov_b32_e32 v20, v18
	v_mov_b32_e32 v21, v18
	ds_write_b128 v1, v[18:21] offset:8448
.LBB26_131:
	s_andn2_saveexec_b64 s[14:15], s[14:15]
	s_cbranch_execz .LBB26_133
; %bb.132:
	s_lshl_b32 s16, s26, 4
	s_ashr_i32 s17, s16, 31
	s_lshl_b64 s[16:17], s[16:17], 4
	v_mov_b32_e32 v1, s17
	v_add_co_u32_e32 v18, vcc, s16, v7
	v_addc_co_u32_e32 v19, vcc, v8, v1, vcc
	global_load_dwordx4 v[18:21], v[18:19], off
	s_movk_i32 s16, 0x2100
	v_add3_u32 v1, v11, v14, s16
	s_waitcnt vmcnt(0)
	ds_write2_b64 v1, v[18:19], v[20:21] offset1:1
.LBB26_133:
	s_or_b64 exec, exec, s[14:15]
	v_add_u32_e32 v12, 24, v13
	v_cmp_le_i32_e32 vcc, s20, v12
                                        ; implicit-def: $vgpr16
	s_and_saveexec_b64 s[14:15], vcc
	s_xor_b64 s[14:15], exec, s[14:15]
	s_cbranch_execz .LBB26_135
; %bb.134:
	v_add_u32_e32 v16, 0x3180, v11
	v_mov_b32_e32 v18, 0
	v_add_u32_e32 v1, v14, v16
	v_mov_b32_e32 v19, v18
	v_mov_b32_e32 v20, v18
	;; [unrolled: 1-line block ×3, first 2 shown]
	ds_write_b128 v1, v[18:21]
.LBB26_135:
	s_andn2_saveexec_b64 s[14:15], s[14:15]
	s_cbranch_execz .LBB26_137
; %bb.136:
	s_mul_i32 s16, s26, 24
	s_ashr_i32 s17, s16, 31
	s_lshl_b64 s[16:17], s[16:17], 4
	v_mov_b32_e32 v1, s17
	v_add_co_u32_e32 v18, vcc, s16, v7
	v_addc_co_u32_e32 v19, vcc, v8, v1, vcc
	global_load_dwordx4 v[18:21], v[18:19], off
	v_add_u32_e32 v16, 0x3180, v11
	v_add_u32_e32 v1, v14, v16
	s_waitcnt vmcnt(0)
	ds_write2_b64 v1, v[18:19], v[20:21] offset1:1
.LBB26_137:
	s_or_b64 exec, exec, s[14:15]
	v_add_co_u32_e32 v1, vcc, v7, v14
	v_addc_co_u32_e32 v7, vcc, 0, v8, vcc
	v_mov_b32_e32 v8, s13
	v_subrev_co_u32_e32 v1, vcc, s12, v1
	v_subb_co_u32_e32 v7, vcc, v7, v8, vcc
	v_add_co_u32_e32 v1, vcc, 0x210, v1
	v_addc_co_u32_e32 v7, vcc, 0, v7, vcc
	v_cndmask_b32_e64 v44, v7, v44, s[8:9]
	v_cndmask_b32_e64 v43, v1, v43, s[8:9]
	v_add_u32_e32 v8, 0x1080, v11
	v_add_u32_e32 v7, 0x2100, v11
.LBB26_138:
	v_add_u32_e32 v1, v14, v11
	v_lshlrev_b32_e32 v11, 4, v13
	s_waitcnt lgkmcnt(0)
	s_barrier
	ds_read_b128 v[18:21], v11 offset:18176
	ds_read_b128 v[22:25], v1
	v_add_u32_e32 v1, v14, v8
	v_lshlrev_b32_e32 v8, 4, v10
	ds_read_b128 v[26:29], v8 offset:18176
	ds_read_b128 v[30:33], v1
	v_add_u32_e32 v1, v14, v7
	s_waitcnt lgkmcnt(2)
	v_mul_f64 v[34:35], v[20:21], v[24:25]
	v_mul_f64 v[24:25], v[18:19], v[24:25]
	v_lshlrev_b32_e32 v7, 4, v9
	s_waitcnt lgkmcnt(0)
	v_mul_f64 v[48:49], v[28:29], v[32:33]
	v_mul_f64 v[32:33], v[26:27], v[32:33]
	v_lshlrev_b32_e32 v11, 4, v12
	v_fma_f64 v[18:19], v[18:19], v[22:23], -v[34:35]
	v_fma_f64 v[22:23], v[20:21], v[22:23], v[24:25]
	ds_read_b128 v[7:10], v7 offset:18176
	ds_read_b128 v[34:37], v1
	v_fma_f64 v[26:27], v[26:27], v[30:31], -v[48:49]
	v_fma_f64 v[28:29], v[28:29], v[30:31], v[32:33]
	v_add_u32_e32 v1, v14, v16
	s_waitcnt lgkmcnt(0)
	v_mul_f64 v[48:49], v[9:10], v[36:37]
	v_add_f64 v[24:25], v[18:19], 0
	v_mul_f64 v[36:37], v[7:8], v[36:37]
	v_add_f64 v[22:23], v[22:23], 0
	ds_read_b128 v[11:14], v11 offset:18176
	ds_read2_b64 v[18:21], v1 offset1:1
	v_lshl_add_u32 v1, v15, 4, v46
	v_fma_f64 v[7:8], v[7:8], v[34:35], -v[48:49]
	v_add_f64 v[24:25], v[24:25], v[26:27]
	s_waitcnt lgkmcnt(0)
	v_mul_f64 v[26:27], v[13:14], v[20:21]
	v_fma_f64 v[9:10], v[9:10], v[34:35], v[36:37]
	v_mul_f64 v[20:21], v[11:12], v[20:21]
	v_add_f64 v[22:23], v[22:23], v[28:29]
	v_add_f64 v[29:30], v[24:25], v[7:8]
	v_fma_f64 v[27:28], v[11:12], v[18:19], -v[26:27]
	v_fma_f64 v[18:19], v[13:14], v[18:19], v[20:21]
	v_add_f64 v[20:21], v[22:23], v[9:10]
	ds_read_b128 v[31:34], v1
	ds_read_b128 v[23:26], v1 offset:16
	ds_read_b128 v[11:14], v1 offset:32
	;; [unrolled: 1-line block ×3, first 2 shown]
	v_add_f64 v[48:49], v[29:30], v[27:28]
	v_add_f64 v[50:51], v[20:21], v[18:19]
	ds_read_b128 v[35:38], v17 offset:512
	ds_read_b128 v[27:30], v17 offset:528
	;; [unrolled: 1-line block ×4, first 2 shown]
	s_waitcnt lgkmcnt(0)
	s_barrier
	ds_write_b128 v47, v[48:51]
	s_waitcnt lgkmcnt(0)
	s_barrier
	s_and_saveexec_b64 s[8:9], s[10:11]
	s_cbranch_execz .LBB26_140
; %bb.139:
	ds_read_b128 v[48:51], v46
	ds_read_b128 v[52:55], v46 offset:16
	s_waitcnt lgkmcnt(1)
	v_add_f64 v[3:4], v[3:4], v[48:49]
	v_add_f64 v[5:6], v[5:6], v[50:51]
	s_waitcnt lgkmcnt(0)
	v_add_f64 v[52:53], v[3:4], v[52:53]
	v_add_f64 v[54:55], v[5:6], v[54:55]
	ds_read_b128 v[3:6], v46 offset:32
	ds_read_b128 v[48:51], v46 offset:48
	s_waitcnt lgkmcnt(1)
	v_add_f64 v[3:4], v[52:53], v[3:4]
	v_add_f64 v[5:6], v[54:55], v[5:6]
	s_waitcnt lgkmcnt(0)
	v_add_f64 v[52:53], v[3:4], v[48:49]
	v_add_f64 v[54:55], v[5:6], v[50:51]
	ds_read_b128 v[3:6], v46 offset:64
	;; [unrolled: 8-line block ×3, first 2 shown]
	ds_read_b128 v[48:51], v46 offset:112
	s_waitcnt lgkmcnt(1)
	v_add_f64 v[3:4], v[52:53], v[3:4]
	v_add_f64 v[5:6], v[54:55], v[5:6]
	s_waitcnt lgkmcnt(0)
	v_add_f64 v[3:4], v[3:4], v[48:49]
	v_add_f64 v[5:6], v[5:6], v[50:51]
.LBB26_140:
	s_or_b64 exec, exec, s[8:9]
	v_mul_f64 v[48:49], v[33:34], v[37:38]
	v_mul_f64 v[33:34], v[33:34], v[35:36]
	;; [unrolled: 1-line block ×4, first 2 shown]
	s_barrier
	v_fma_f64 v[35:36], v[31:32], v[35:36], v[48:49]
	v_fma_f64 v[31:32], v[31:32], v[37:38], -v[33:34]
	v_mul_f64 v[33:34], v[13:14], v[21:22]
	v_mul_f64 v[13:14], v[13:14], v[19:20]
	v_fma_f64 v[27:28], v[23:24], v[27:28], v[50:51]
	v_fma_f64 v[23:24], v[23:24], v[29:30], -v[25:26]
	v_add_f64 v[25:26], v[35:36], 0
	v_add_f64 v[29:30], v[31:32], 0
	v_mul_f64 v[31:32], v[9:10], v[17:18]
	v_mul_f64 v[9:10], v[9:10], v[15:16]
	v_fma_f64 v[19:20], v[11:12], v[19:20], v[33:34]
	v_fma_f64 v[11:12], v[11:12], v[21:22], -v[13:14]
	v_add_f64 v[13:14], v[25:26], v[27:28]
	v_add_f64 v[21:22], v[29:30], v[23:24]
	v_fma_f64 v[15:16], v[7:8], v[15:16], v[31:32]
	v_fma_f64 v[9:10], v[7:8], v[17:18], -v[9:10]
	v_add_f64 v[7:8], v[13:14], v[19:20]
	v_add_f64 v[11:12], v[21:22], v[11:12]
	;; [unrolled: 1-line block ×4, first 2 shown]
	ds_write_b128 v47, v[7:10]
	s_waitcnt lgkmcnt(0)
	s_barrier
	s_and_saveexec_b64 s[8:9], s[4:5]
	s_cbranch_execz .LBB26_142
; %bb.141:
	ds_read_b128 v[7:10], v46
	ds_read_b128 v[11:14], v46 offset:16
	s_waitcnt lgkmcnt(1)
	v_add_f64 v[3:4], v[3:4], v[7:8]
	v_add_f64 v[5:6], v[5:6], v[9:10]
	s_waitcnt lgkmcnt(0)
	v_add_f64 v[11:12], v[3:4], v[11:12]
	v_add_f64 v[13:14], v[5:6], v[13:14]
	ds_read_b128 v[3:6], v46 offset:32
	ds_read_b128 v[7:10], v46 offset:48
	s_waitcnt lgkmcnt(1)
	v_add_f64 v[3:4], v[11:12], v[3:4]
	v_add_f64 v[5:6], v[13:14], v[5:6]
	s_waitcnt lgkmcnt(0)
	v_add_f64 v[11:12], v[3:4], v[7:8]
	v_add_f64 v[13:14], v[5:6], v[9:10]
	ds_read_b128 v[3:6], v46 offset:64
	;; [unrolled: 8-line block ×3, first 2 shown]
	ds_read_b128 v[7:10], v46 offset:112
	s_waitcnt lgkmcnt(1)
	v_add_f64 v[3:4], v[11:12], v[3:4]
	v_add_f64 v[5:6], v[13:14], v[5:6]
	s_waitcnt lgkmcnt(0)
	v_add_f64 v[3:4], v[3:4], v[7:8]
	v_add_f64 v[5:6], v[5:6], v[9:10]
.LBB26_142:
	s_or_b64 exec, exec, s[8:9]
	s_mul_hi_u32 s4, s40, s7
	s_mul_i32 s42, s42, s7
	s_add_i32 s4, s4, s42
	s_mul_i32 s7, s40, s7
	s_mul_i32 s4, s4, s41
	s_mul_hi_u32 s5, s7, s41
	s_add_i32 s5, s5, s4
	s_mul_i32 s4, s7, s41
	s_lshl_b64 s[4:5], s[4:5], 4
	s_add_u32 s7, s22, s4
	s_mul_i32 s4, s40, s6
	s_addc_u32 s8, s23, s5
	s_ashr_i32 s5, s4, 31
	s_lshl_b64 s[4:5], s[4:5], 4
	s_add_u32 s7, s7, s4
	v_cmp_le_i32_e32 vcc, s20, v0
	s_addc_u32 s16, s8, s5
	s_and_b64 vcc, s[30:31], vcc
	s_cmp_lt_i32 s6, 1
	v_lshlrev_b32_e32 v146, 4, v0
	s_barrier
	s_cbranch_scc1 .LBB26_149
; %bb.143:
	s_mul_i32 s4, s33, s24
	s_ashr_i32 s5, s4, 31
	s_lshl_b64 s[4:5], s[4:5], 4
	v_mov_b32_e32 v1, s5
	v_subrev_co_u32_e64 v147, s[4:5], s4, v39
	v_mul_lo_u32 v8, v2, s26
	v_subb_co_u32_e64 v148, s[4:5], v40, v1, s[4:5]
	v_mov_b32_e32 v1, s29
	v_subrev_co_u32_e64 v7, s[4:5], s28, v43
	v_subb_co_u32_e64 v1, s[4:5], v44, v1, s[4:5]
	v_sub_co_u32_e64 v11, s[4:5], v7, v41
	v_lshl_add_u32 v7, v8, 2, v0
	v_ashrrev_i32_e32 v8, 31, v7
	v_lshlrev_b64 v[7:8], 4, v[7:8]
	v_subb_co_u32_e64 v1, s[4:5], v1, v42, s[4:5]
	v_add_co_u32_e64 v7, s[4:5], v11, v7
	v_addc_co_u32_e64 v8, s[4:5], v1, v8, s[4:5]
	s_movk_i32 s4, 0xfe00
	v_add_co_u32_e64 v11, s[4:5], s4, v7
	v_addc_co_u32_e64 v12, s[4:5], -1, v8, s[4:5]
	v_sub_co_u32_e64 v7, s[4:5], v7, v146
	v_subbrev_co_u32_e64 v8, s[4:5], 0, v8, s[4:5]
	s_ashr_i32 s21, s20, 31
	s_lshl_b64 s[4:5], s[20:21], 4
	v_mov_b32_e32 v13, s5
	v_add_co_u32_e64 v7, s[4:5], s4, v7
	v_addc_co_u32_e64 v8, s[4:5], v8, v13, s[4:5]
	s_movk_i32 s4, 0xfdf0
	v_add_co_u32_e64 v7, s[4:5], s4, v7
	v_addc_co_u32_e64 v8, s[4:5], -1, v8, s[4:5]
	v_lshrrev_b32_e32 v9, 4, v45
	v_cndmask_b32_e32 v12, v12, v8, vcc
	v_cndmask_b32_e32 v11, v11, v7, vcc
	v_mov_b32_e32 v7, 0x4300
	v_and_b32_e32 v8, 48, v0
	v_and_b32_e32 v10, 15, v0
	v_lshl_add_u32 v150, v2, 6, v7
	v_lshlrev_b32_e32 v7, 6, v9
	s_movk_i32 s8, 0x430
	v_lshlrev_b32_e32 v8, 4, v8
	s_ashr_i32 s27, s26, 31
	s_movk_i32 s4, 0x10c0
	v_mad_u32_u24 v153, v10, s8, v7
	v_mul_i32_i24_e32 v7, 0xffffffd0, v9
	v_mad_u32_u24 v154, v10, s8, v8
	v_or_b32_e32 v8, 0xf0, v146
	s_lshl_b64 s[10:11], s[26:27], 4
	s_mul_hi_i32 s18, s26, 0xd0
	v_mov_b32_e32 v1, 0
	s_lshl_b32 s17, s33, 6
	v_add_u32_e32 v149, 0x4300, v146
	v_add_u32_e32 v151, 0x4700, v146
	v_mad_u32_u24 v152, v2, s4, v146
	v_cmp_gt_u32_e64 s[4:5], 64, v45
	v_mad_u32_u24 v155, v10, s8, v8
	s_mul_i32 s19, s26, 0xd0
	s_mov_b32 s12, 0
	v_mov_b32_e32 v156, s11
	v_mov_b32_e32 v157, s18
	v_add_u32_e32 v158, v153, v7
	s_branch .LBB26_145
.LBB26_144:                             ;   in Loop: Header=BB26_145 Depth=1
	s_or_b64 exec, exec, s[14:15]
	v_mul_f64 v[87:88], v[9:10], v[37:38]
	v_mul_f64 v[37:38], v[7:8], v[37:38]
	;; [unrolled: 1-line block ×4, first 2 shown]
	s_add_i32 s6, s6, -1
	s_add_i32 s12, s12, s17
	v_add_u32_e32 v0, 64, v0
	s_cmp_eq_u32 s6, 0
	v_fma_f64 v[7:8], v[7:8], v[35:36], -v[87:88]
	v_fma_f64 v[9:10], v[9:10], v[35:36], v[37:38]
	v_mul_f64 v[35:36], v[17:18], v[29:30]
	v_mul_f64 v[29:30], v[15:16], v[29:30]
	v_fma_f64 v[19:20], v[19:20], v[31:32], -v[89:90]
	v_fma_f64 v[21:22], v[21:22], v[31:32], v[33:34]
	s_waitcnt vmcnt(0)
	s_barrier
	v_add_f64 v[3:4], v[3:4], v[7:8]
	v_add_f64 v[5:6], v[5:6], v[9:10]
	v_mul_f64 v[7:8], v[13:14], v[25:26]
	v_mul_f64 v[9:10], v[11:12], v[25:26]
	v_fma_f64 v[15:16], v[15:16], v[27:28], -v[35:36]
	v_fma_f64 v[17:18], v[17:18], v[27:28], v[29:30]
	v_add_f64 v[3:4], v[3:4], v[19:20]
	v_add_f64 v[5:6], v[5:6], v[21:22]
	v_mul_f64 v[19:20], v[49:50], v[85:86]
	v_mul_f64 v[21:22], v[47:48], v[85:86]
	v_fma_f64 v[7:8], v[11:12], v[23:24], -v[7:8]
	v_fma_f64 v[9:10], v[13:14], v[23:24], v[9:10]
	v_mul_f64 v[11:12], v[53:54], v[81:82]
	v_mul_f64 v[13:14], v[51:52], v[81:82]
	v_add_f64 v[3:4], v[3:4], v[15:16]
	v_add_f64 v[5:6], v[5:6], v[17:18]
	v_fma_f64 v[15:16], v[47:48], v[83:84], -v[19:20]
	v_fma_f64 v[17:18], v[49:50], v[83:84], v[21:22]
	v_fma_f64 v[11:12], v[51:52], v[79:80], -v[11:12]
	v_fma_f64 v[13:14], v[53:54], v[79:80], v[13:14]
	v_add_f64 v[3:4], v[3:4], v[7:8]
	v_add_f64 v[5:6], v[5:6], v[9:10]
	v_mul_f64 v[7:8], v[45:46], v[77:78]
	v_mul_f64 v[9:10], v[43:44], v[77:78]
	v_add_f64 v[3:4], v[3:4], v[15:16]
	v_add_f64 v[5:6], v[5:6], v[17:18]
	v_mul_f64 v[15:16], v[41:42], v[73:74]
	v_mul_f64 v[17:18], v[39:40], v[73:74]
	v_fma_f64 v[7:8], v[43:44], v[75:76], -v[7:8]
	v_fma_f64 v[9:10], v[45:46], v[75:76], v[9:10]
	v_add_f64 v[3:4], v[3:4], v[11:12]
	v_add_f64 v[5:6], v[5:6], v[13:14]
	v_mul_f64 v[11:12], v[65:66], v[125:126]
	v_mul_f64 v[13:14], v[63:64], v[125:126]
	v_fma_f64 v[15:16], v[39:40], v[71:72], -v[15:16]
	v_fma_f64 v[17:18], v[41:42], v[71:72], v[17:18]
	;; [unrolled: 6-line block ×9, first 2 shown]
	v_add_f64 v[3:4], v[3:4], v[15:16]
	v_add_f64 v[5:6], v[5:6], v[17:18]
	v_fma_f64 v[7:8], v[107:108], v[127:128], -v[7:8]
	v_fma_f64 v[9:10], v[109:110], v[127:128], v[9:10]
	v_add_f64 v[3:4], v[3:4], v[11:12]
	v_add_f64 v[5:6], v[5:6], v[13:14]
	v_add_co_u32_e64 v11, s[8:9], s19, v144
	v_add_f64 v[3:4], v[3:4], v[7:8]
	v_add_f64 v[5:6], v[5:6], v[9:10]
	v_mov_b32_e32 v7, s18
	v_addc_co_u32_e64 v12, s[8:9], v145, v7, s[8:9]
	s_cbranch_scc1 .LBB26_149
.LBB26_145:                             ; =>This Inner Loop Header: Depth=1
	s_and_saveexec_b64 s[14:15], s[2:3]
	s_cbranch_execz .LBB26_147
; %bb.146:                              ;   in Loop: Header=BB26_145 Depth=1
	s_ashr_i32 s13, s12, 31
	s_lshl_b64 s[8:9], s[12:13], 4
	v_mov_b32_e32 v8, s9
	v_add_co_u32_e64 v7, s[8:9], s8, v147
	v_addc_co_u32_e64 v8, s[8:9], v148, v8, s[8:9]
	global_load_dwordx4 v[7:10], v[7:8], off
	s_waitcnt vmcnt(0)
	ds_write2_b64 v149, v[7:8], v[9:10] offset1:1
.LBB26_147:                             ;   in Loop: Header=BB26_145 Depth=1
	s_or_b64 exec, exec, s[14:15]
	s_waitcnt lgkmcnt(0)
	s_barrier
	global_load_dwordx4 v[7:10], v[11:12], off
	v_add_co_u32_e64 v11, s[8:9], s10, v11
	v_addc_co_u32_e64 v12, s[8:9], v12, v156, s[8:9]
	v_add_co_u32_e64 v13, s[8:9], s10, v11
	v_addc_co_u32_e64 v14, s[8:9], v12, v156, s[8:9]
	v_add_co_u32_e64 v43, s[8:9], s10, v13
	global_load_dwordx4 v[19:22], v[11:12], off
	global_load_dwordx4 v[15:18], v[13:14], off
	v_addc_co_u32_e64 v44, s[8:9], v14, v156, s[8:9]
	global_load_dwordx4 v[11:14], v[43:44], off
	ds_read_b128 v[39:42], v151
	ds_read_b128 v[35:38], v150
	ds_read_b128 v[31:34], v150 offset:16
	ds_read_b128 v[27:30], v150 offset:32
	ds_read_b128 v[23:26], v150 offset:48
	v_add_co_u32_e64 v55, s[8:9], s19, v43
	v_addc_co_u32_e64 v56, s[8:9], v44, v157, s[8:9]
	v_add_co_u32_e64 v57, s[8:9], s10, v55
	v_addc_co_u32_e64 v58, s[8:9], v56, v156, s[8:9]
	s_waitcnt vmcnt(3) lgkmcnt(4)
	v_mul_f64 v[43:44], v[9:10], v[41:42]
	v_mul_f64 v[45:46], v[9:10], v[39:40]
	v_fma_f64 v[43:44], v[7:8], v[39:40], v[43:44]
	v_fma_f64 v[45:46], v[7:8], v[41:42], -v[45:46]
	s_waitcnt vmcnt(2)
	v_mul_f64 v[47:48], v[21:22], v[41:42]
	v_mul_f64 v[49:50], v[21:22], v[39:40]
	s_waitcnt vmcnt(1)
	v_mul_f64 v[51:52], v[17:18], v[41:42]
	v_mul_f64 v[53:54], v[17:18], v[39:40]
	;; [unrolled: 3-line block ×3, first 2 shown]
	v_fma_f64 v[47:48], v[19:20], v[39:40], v[47:48]
	v_fma_f64 v[49:50], v[19:20], v[41:42], -v[49:50]
	v_fma_f64 v[51:52], v[15:16], v[39:40], v[51:52]
	v_fma_f64 v[53:54], v[15:16], v[41:42], -v[53:54]
	;; [unrolled: 2-line block ×3, first 2 shown]
	v_add_co_u32_e64 v59, s[8:9], s10, v57
	v_addc_co_u32_e64 v60, s[8:9], v58, v156, s[8:9]
	ds_write_b128 v152, v[43:46]
	ds_write_b128 v152, v[47:50] offset:1072
	ds_write_b128 v152, v[51:54] offset:2144
	;; [unrolled: 1-line block ×3, first 2 shown]
	s_waitcnt lgkmcnt(0)
	s_barrier
	ds_read_b128 v[127:130], v153
	ds_read_b128 v[131:134], v153 offset:16
	ds_read_b128 v[91:94], v153 offset:32
	;; [unrolled: 1-line block ×3, first 2 shown]
	s_waitcnt lgkmcnt(0)
	s_barrier
	global_load_dwordx4 v[47:50], v[55:56], off
	global_load_dwordx4 v[51:54], v[57:58], off
	;; [unrolled: 1-line block ×3, first 2 shown]
	v_add_co_u32_e64 v55, s[8:9], s10, v59
	v_addc_co_u32_e64 v56, s[8:9], v60, v156, s[8:9]
	global_load_dwordx4 v[39:42], v[55:56], off
	v_add_co_u32_e64 v95, s[8:9], s19, v55
	v_addc_co_u32_e64 v96, s[8:9], v56, v157, s[8:9]
	ds_read_b128 v[55:58], v151
	v_add_co_u32_e64 v97, s[8:9], s10, v95
	v_addc_co_u32_e64 v98, s[8:9], v96, v156, s[8:9]
	v_add_co_u32_e64 v99, s[8:9], s10, v97
	v_addc_co_u32_e64 v100, s[8:9], v98, v156, s[8:9]
	s_waitcnt vmcnt(3) lgkmcnt(0)
	v_mul_f64 v[59:60], v[49:50], v[57:58]
	v_mul_f64 v[61:62], v[49:50], v[55:56]
	s_waitcnt vmcnt(2)
	v_mul_f64 v[63:64], v[53:54], v[57:58]
	v_mul_f64 v[65:66], v[53:54], v[55:56]
	s_waitcnt vmcnt(1)
	;; [unrolled: 3-line block ×3, first 2 shown]
	v_mul_f64 v[71:72], v[41:42], v[57:58]
	v_mul_f64 v[73:74], v[41:42], v[55:56]
	v_fma_f64 v[59:60], v[47:48], v[55:56], v[59:60]
	v_fma_f64 v[61:62], v[47:48], v[57:58], -v[61:62]
	v_fma_f64 v[63:64], v[51:52], v[55:56], v[63:64]
	v_fma_f64 v[65:66], v[51:52], v[57:58], -v[65:66]
	;; [unrolled: 2-line block ×4, first 2 shown]
	ds_read_b128 v[83:86], v150 offset:256
	ds_read_b128 v[79:82], v150 offset:272
	;; [unrolled: 1-line block ×4, first 2 shown]
	ds_write_b128 v152, v[59:62]
	ds_write_b128 v152, v[63:66] offset:1072
	ds_write_b128 v152, v[67:70] offset:2144
	;; [unrolled: 1-line block ×3, first 2 shown]
	s_waitcnt lgkmcnt(0)
	s_barrier
	ds_read_b128 v[159:162], v153
	ds_read_b128 v[163:166], v153 offset:16
	ds_read_b128 v[167:170], v153 offset:32
	;; [unrolled: 1-line block ×3, first 2 shown]
	s_waitcnt lgkmcnt(0)
	s_barrier
	global_load_dwordx4 v[63:66], v[95:96], off
	global_load_dwordx4 v[59:62], v[97:98], off
	;; [unrolled: 1-line block ×3, first 2 shown]
	v_add_co_u32_e64 v95, s[8:9], s10, v99
	v_addc_co_u32_e64 v96, s[8:9], v100, v156, s[8:9]
	global_load_dwordx4 v[67:70], v[95:96], off
	v_add_co_u32_e64 v135, s[8:9], s19, v95
	v_addc_co_u32_e64 v136, s[8:9], v96, v157, s[8:9]
	ds_read_b128 v[95:98], v151
	v_add_co_u32_e64 v137, s[8:9], s10, v135
	v_addc_co_u32_e64 v138, s[8:9], v136, v156, s[8:9]
	v_add_co_u32_e64 v139, s[8:9], s10, v137
	v_addc_co_u32_e64 v140, s[8:9], v138, v156, s[8:9]
	;; [unrolled: 2-line block ×3, first 2 shown]
	v_add_f64 v[211:212], v[159:160], 0
	v_add_f64 v[163:164], v[211:212], v[163:164]
	;; [unrolled: 1-line block ×3, first 2 shown]
	s_waitcnt vmcnt(3) lgkmcnt(0)
	v_mul_f64 v[99:100], v[65:66], v[97:98]
	v_mul_f64 v[101:102], v[65:66], v[95:96]
	s_waitcnt vmcnt(2)
	v_mul_f64 v[103:104], v[61:62], v[97:98]
	v_mul_f64 v[105:106], v[61:62], v[95:96]
	s_waitcnt vmcnt(1)
	;; [unrolled: 3-line block ×3, first 2 shown]
	v_mul_f64 v[111:112], v[69:70], v[97:98]
	v_mul_f64 v[113:114], v[69:70], v[95:96]
	v_fma_f64 v[99:100], v[63:64], v[95:96], v[99:100]
	v_fma_f64 v[101:102], v[63:64], v[97:98], -v[101:102]
	v_fma_f64 v[103:104], v[59:60], v[95:96], v[103:104]
	v_fma_f64 v[105:106], v[59:60], v[97:98], -v[105:106]
	;; [unrolled: 2-line block ×4, first 2 shown]
	ds_read_b128 v[123:126], v150 offset:512
	ds_read_b128 v[119:122], v150 offset:528
	;; [unrolled: 1-line block ×4, first 2 shown]
	ds_write_b128 v152, v[99:102]
	ds_write_b128 v152, v[103:106] offset:1072
	ds_write_b128 v152, v[107:110] offset:2144
	ds_write_b128 v152, v[95:98] offset:3216
	s_waitcnt lgkmcnt(0)
	s_barrier
	ds_read_b128 v[175:178], v153
	ds_read_b128 v[179:182], v153 offset:16
	ds_read_b128 v[183:186], v153 offset:32
	;; [unrolled: 1-line block ×3, first 2 shown]
	s_waitcnt lgkmcnt(0)
	s_barrier
	global_load_dwordx4 v[99:102], v[135:136], off
	global_load_dwordx4 v[95:98], v[137:138], off
	;; [unrolled: 1-line block ×4, first 2 shown]
	v_add_f64 v[135:136], v[127:128], 0
	v_add_f64 v[137:138], v[129:130], 0
	ds_read_b128 v[127:130], v151
	v_add_f64 v[175:176], v[175:176], 0
	v_add_f64 v[177:178], v[177:178], 0
	;; [unrolled: 1-line block ×9, first 2 shown]
	s_waitcnt vmcnt(3) lgkmcnt(0)
	v_mul_f64 v[131:132], v[101:102], v[129:130]
	v_mul_f64 v[133:134], v[101:102], v[127:128]
	s_waitcnt vmcnt(2)
	v_mul_f64 v[135:136], v[97:98], v[129:130]
	v_mul_f64 v[137:138], v[97:98], v[127:128]
	s_waitcnt vmcnt(1)
	v_mul_f64 v[139:140], v[105:106], v[129:130]
	v_mul_f64 v[141:142], v[105:106], v[127:128]
	s_waitcnt vmcnt(0)
	v_mul_f64 v[159:160], v[109:110], v[129:130]
	v_mul_f64 v[205:206], v[109:110], v[127:128]
	v_fma_f64 v[191:192], v[99:100], v[127:128], v[131:132]
	v_fma_f64 v[193:194], v[99:100], v[129:130], -v[133:134]
	v_fma_f64 v[195:196], v[95:96], v[127:128], v[135:136]
	v_fma_f64 v[197:198], v[95:96], v[129:130], -v[137:138]
	;; [unrolled: 2-line block ×4, first 2 shown]
	ds_read_b128 v[139:142], v150 offset:768
	ds_read_b128 v[135:138], v150 offset:784
	;; [unrolled: 1-line block ×4, first 2 shown]
	ds_write_b128 v152, v[191:194]
	ds_write_b128 v152, v[195:198] offset:1072
	ds_write_b128 v152, v[199:202] offset:2144
	;; [unrolled: 1-line block ×3, first 2 shown]
	s_waitcnt lgkmcnt(0)
	s_barrier
	ds_read_b128 v[191:194], v153
	v_add_f64 v[195:196], v[161:162], 0
	ds_read_b128 v[159:162], v153 offset:16
	v_add_f64 v[197:198], v[207:208], v[91:92]
	ds_read_b128 v[91:94], v153 offset:32
	s_waitcnt lgkmcnt(2)
	v_add_f64 v[191:192], v[191:192], 0
	v_add_f64 v[193:194], v[193:194], 0
	;; [unrolled: 1-line block ×4, first 2 shown]
	s_waitcnt lgkmcnt(1)
	v_add_f64 v[181:182], v[191:192], v[159:160]
	v_add_f64 v[191:192], v[193:194], v[161:162]
	ds_read_b128 v[159:162], v153 offset:48
	s_waitcnt lgkmcnt(0)
	v_add_f64 v[165:166], v[165:166], v[169:170]
	v_add_f64 v[169:170], v[177:178], v[185:186]
	s_barrier
	v_add_f64 v[175:176], v[181:182], v[91:92]
	v_add_f64 v[177:178], v[191:192], v[93:94]
	;; [unrolled: 1-line block ×8, first 2 shown]
	ds_write_b128 v158, v[87:90]
	ds_write_b128 v158, v[91:94] offset:256
	ds_write_b128 v158, v[163:166] offset:512
	;; [unrolled: 1-line block ×3, first 2 shown]
	s_waitcnt lgkmcnt(0)
	s_barrier
	s_and_saveexec_b64 s[14:15], s[4:5]
	s_cbranch_execz .LBB26_144
; %bb.148:                              ;   in Loop: Header=BB26_145 Depth=1
	ds_read_b128 v[87:90], v154
	ds_read_b128 v[91:94], v154 offset:16
	s_waitcnt lgkmcnt(0)
	v_add_f64 v[159:160], v[91:92], v[87:88]
	v_add_f64 v[161:162], v[93:94], v[89:90]
	ds_read_b128 v[87:90], v154 offset:32
	ds_read_b128 v[91:94], v154 offset:48
	s_waitcnt lgkmcnt(1)
	v_add_f64 v[87:88], v[159:160], v[87:88]
	v_add_f64 v[89:90], v[161:162], v[89:90]
	s_waitcnt lgkmcnt(0)
	v_add_f64 v[159:160], v[87:88], v[91:92]
	v_add_f64 v[161:162], v[89:90], v[93:94]
	ds_read_b128 v[87:90], v154 offset:64
	ds_read_b128 v[91:94], v154 offset:80
	s_waitcnt lgkmcnt(1)
	v_add_f64 v[87:88], v[159:160], v[87:88]
	v_add_f64 v[89:90], v[161:162], v[89:90]
	s_waitcnt lgkmcnt(0)
	v_add_f64 v[159:160], v[87:88], v[91:92]
	v_add_f64 v[161:162], v[89:90], v[93:94]
	ds_read_b128 v[87:90], v154 offset:96
	ds_read_b128 v[91:94], v154 offset:112
	s_waitcnt lgkmcnt(1)
	v_add_f64 v[87:88], v[159:160], v[87:88]
	v_add_f64 v[89:90], v[161:162], v[89:90]
	s_waitcnt lgkmcnt(0)
	v_add_f64 v[159:160], v[87:88], v[91:92]
	v_add_f64 v[161:162], v[89:90], v[93:94]
	ds_read_b128 v[87:90], v154 offset:128
	ds_read_b128 v[91:94], v154 offset:144
	s_waitcnt lgkmcnt(1)
	v_add_f64 v[87:88], v[159:160], v[87:88]
	v_add_f64 v[89:90], v[161:162], v[89:90]
	s_waitcnt lgkmcnt(0)
	v_add_f64 v[159:160], v[87:88], v[91:92]
	v_add_f64 v[161:162], v[89:90], v[93:94]
	ds_read_b128 v[87:90], v154 offset:160
	ds_read_b128 v[91:94], v154 offset:176
	s_waitcnt lgkmcnt(1)
	v_add_f64 v[87:88], v[159:160], v[87:88]
	v_add_f64 v[89:90], v[161:162], v[89:90]
	s_waitcnt lgkmcnt(0)
	v_add_f64 v[159:160], v[87:88], v[91:92]
	v_add_f64 v[161:162], v[89:90], v[93:94]
	ds_read_b128 v[87:90], v154 offset:192
	ds_read_b128 v[91:94], v154 offset:208
	s_waitcnt lgkmcnt(1)
	v_add_f64 v[87:88], v[159:160], v[87:88]
	v_add_f64 v[89:90], v[161:162], v[89:90]
	s_waitcnt lgkmcnt(0)
	v_add_f64 v[159:160], v[87:88], v[91:92]
	v_add_f64 v[161:162], v[89:90], v[93:94]
	ds_read_b128 v[87:90], v154 offset:224
	ds_read_b128 v[91:94], v155
	s_waitcnt lgkmcnt(1)
	v_add_f64 v[87:88], v[159:160], v[87:88]
	v_add_f64 v[89:90], v[161:162], v[89:90]
	s_waitcnt lgkmcnt(0)
	v_add_f64 v[87:88], v[87:88], v[91:92]
	v_add_f64 v[89:90], v[89:90], v[93:94]
	v_lshlrev_b64 v[91:92], 4, v[0:1]
	v_mov_b32_e32 v93, s16
	v_add_co_u32_e64 v91, s[8:9], s7, v91
	v_addc_co_u32_e64 v92, s[8:9], v93, v92, s[8:9]
	global_store_dwordx4 v[91:92], v[87:90], off
	s_branch .LBB26_144
.LBB26_149:
	s_movk_i32 s2, 0x430
	v_mad_u32_u24 v0, v2, s2, v146
	s_nor_b64 s[0:1], s[0:1], vcc
	ds_write_b128 v0, v[3:6]
	s_waitcnt lgkmcnt(0)
	s_barrier
	s_and_saveexec_b64 s[2:3], s[0:1]
	s_cbranch_execz .LBB26_151
; %bb.150:
	ds_read_b128 v[0:3], v146 offset:1072
	ds_read_b128 v[4:7], v146
	v_ashrrev_i32_e32 v144, 31, v143
	s_waitcnt lgkmcnt(0)
	v_add_f64 v[8:9], v[0:1], v[4:5]
	v_add_f64 v[10:11], v[2:3], v[6:7]
	ds_read_b128 v[0:3], v146 offset:2144
	ds_read_b128 v[4:7], v146 offset:3216
	s_waitcnt lgkmcnt(1)
	v_add_f64 v[0:1], v[8:9], v[0:1]
	v_add_f64 v[2:3], v[10:11], v[2:3]
	s_waitcnt lgkmcnt(0)
	v_add_f64 v[0:1], v[0:1], v[4:5]
	v_add_f64 v[2:3], v[2:3], v[6:7]
	v_lshlrev_b64 v[4:5], 4, v[143:144]
	v_mov_b32_e32 v6, s16
	v_add_co_u32_e32 v4, vcc, s7, v4
	v_addc_co_u32_e32 v5, vcc, v6, v5, vcc
	global_store_dwordx4 v[4:5], v[0:3], off
.LBB26_151:
	s_endpgm
	.section	.rodata,"a",@progbits
	.p2align	6, 0x0
	.amdhsa_kernel _ZL26rocblas_hemvn_kernel_lowerILb1ELi64ELi4ELi33ELi32ELi16EiPK19rocblas_complex_numIdES3_PS1_EviT6_lT7_lT5_lS6_lS7_lS5_lT8_i
		.amdhsa_group_segment_fixed_size 19200
		.amdhsa_private_segment_fixed_size 0
		.amdhsa_kernarg_size 376
		.amdhsa_user_sgpr_count 6
		.amdhsa_user_sgpr_private_segment_buffer 1
		.amdhsa_user_sgpr_dispatch_ptr 0
		.amdhsa_user_sgpr_queue_ptr 0
		.amdhsa_user_sgpr_kernarg_segment_ptr 1
		.amdhsa_user_sgpr_dispatch_id 0
		.amdhsa_user_sgpr_flat_scratch_init 0
		.amdhsa_user_sgpr_private_segment_size 0
		.amdhsa_uses_dynamic_stack 0
		.amdhsa_system_sgpr_private_segment_wavefront_offset 0
		.amdhsa_system_sgpr_workgroup_id_x 1
		.amdhsa_system_sgpr_workgroup_id_y 0
		.amdhsa_system_sgpr_workgroup_id_z 1
		.amdhsa_system_sgpr_workgroup_info 0
		.amdhsa_system_vgpr_workitem_id 1
		.amdhsa_next_free_vgpr 213
		.amdhsa_next_free_sgpr 98
		.amdhsa_reserve_vcc 1
		.amdhsa_reserve_flat_scratch 0
		.amdhsa_float_round_mode_32 0
		.amdhsa_float_round_mode_16_64 0
		.amdhsa_float_denorm_mode_32 3
		.amdhsa_float_denorm_mode_16_64 3
		.amdhsa_dx10_clamp 1
		.amdhsa_ieee_mode 1
		.amdhsa_fp16_overflow 0
		.amdhsa_exception_fp_ieee_invalid_op 0
		.amdhsa_exception_fp_denorm_src 0
		.amdhsa_exception_fp_ieee_div_zero 0
		.amdhsa_exception_fp_ieee_overflow 0
		.amdhsa_exception_fp_ieee_underflow 0
		.amdhsa_exception_fp_ieee_inexact 0
		.amdhsa_exception_int_div_zero 0
	.end_amdhsa_kernel
	.section	.text._ZL26rocblas_hemvn_kernel_lowerILb1ELi64ELi4ELi33ELi32ELi16EiPK19rocblas_complex_numIdES3_PS1_EviT6_lT7_lT5_lS6_lS7_lS5_lT8_i,"axG",@progbits,_ZL26rocblas_hemvn_kernel_lowerILb1ELi64ELi4ELi33ELi32ELi16EiPK19rocblas_complex_numIdES3_PS1_EviT6_lT7_lT5_lS6_lS7_lS5_lT8_i,comdat
.Lfunc_end26:
	.size	_ZL26rocblas_hemvn_kernel_lowerILb1ELi64ELi4ELi33ELi32ELi16EiPK19rocblas_complex_numIdES3_PS1_EviT6_lT7_lT5_lS6_lS7_lS5_lT8_i, .Lfunc_end26-_ZL26rocblas_hemvn_kernel_lowerILb1ELi64ELi4ELi33ELi32ELi16EiPK19rocblas_complex_numIdES3_PS1_EviT6_lT7_lT5_lS6_lS7_lS5_lT8_i
                                        ; -- End function
	.set _ZL26rocblas_hemvn_kernel_lowerILb1ELi64ELi4ELi33ELi32ELi16EiPK19rocblas_complex_numIdES3_PS1_EviT6_lT7_lT5_lS6_lS7_lS5_lT8_i.num_vgpr, 213
	.set _ZL26rocblas_hemvn_kernel_lowerILb1ELi64ELi4ELi33ELi32ELi16EiPK19rocblas_complex_numIdES3_PS1_EviT6_lT7_lT5_lS6_lS7_lS5_lT8_i.num_agpr, 0
	.set _ZL26rocblas_hemvn_kernel_lowerILb1ELi64ELi4ELi33ELi32ELi16EiPK19rocblas_complex_numIdES3_PS1_EviT6_lT7_lT5_lS6_lS7_lS5_lT8_i.numbered_sgpr, 46
	.set _ZL26rocblas_hemvn_kernel_lowerILb1ELi64ELi4ELi33ELi32ELi16EiPK19rocblas_complex_numIdES3_PS1_EviT6_lT7_lT5_lS6_lS7_lS5_lT8_i.num_named_barrier, 0
	.set _ZL26rocblas_hemvn_kernel_lowerILb1ELi64ELi4ELi33ELi32ELi16EiPK19rocblas_complex_numIdES3_PS1_EviT6_lT7_lT5_lS6_lS7_lS5_lT8_i.private_seg_size, 0
	.set _ZL26rocblas_hemvn_kernel_lowerILb1ELi64ELi4ELi33ELi32ELi16EiPK19rocblas_complex_numIdES3_PS1_EviT6_lT7_lT5_lS6_lS7_lS5_lT8_i.uses_vcc, 1
	.set _ZL26rocblas_hemvn_kernel_lowerILb1ELi64ELi4ELi33ELi32ELi16EiPK19rocblas_complex_numIdES3_PS1_EviT6_lT7_lT5_lS6_lS7_lS5_lT8_i.uses_flat_scratch, 0
	.set _ZL26rocblas_hemvn_kernel_lowerILb1ELi64ELi4ELi33ELi32ELi16EiPK19rocblas_complex_numIdES3_PS1_EviT6_lT7_lT5_lS6_lS7_lS5_lT8_i.has_dyn_sized_stack, 0
	.set _ZL26rocblas_hemvn_kernel_lowerILb1ELi64ELi4ELi33ELi32ELi16EiPK19rocblas_complex_numIdES3_PS1_EviT6_lT7_lT5_lS6_lS7_lS5_lT8_i.has_recursion, 0
	.set _ZL26rocblas_hemvn_kernel_lowerILb1ELi64ELi4ELi33ELi32ELi16EiPK19rocblas_complex_numIdES3_PS1_EviT6_lT7_lT5_lS6_lS7_lS5_lT8_i.has_indirect_call, 0
	.section	.AMDGPU.csdata,"",@progbits
; Kernel info:
; codeLenInByte = 10160
; TotalNumSgprs: 50
; NumVgprs: 213
; ScratchSize: 0
; MemoryBound: 0
; FloatMode: 240
; IeeeMode: 1
; LDSByteSize: 19200 bytes/workgroup (compile time only)
; SGPRBlocks: 12
; VGPRBlocks: 53
; NumSGPRsForWavesPerEU: 102
; NumVGPRsForWavesPerEU: 213
; Occupancy: 1
; WaveLimiterHint : 1
; COMPUTE_PGM_RSRC2:SCRATCH_EN: 0
; COMPUTE_PGM_RSRC2:USER_SGPR: 6
; COMPUTE_PGM_RSRC2:TRAP_HANDLER: 0
; COMPUTE_PGM_RSRC2:TGID_X_EN: 1
; COMPUTE_PGM_RSRC2:TGID_Y_EN: 0
; COMPUTE_PGM_RSRC2:TGID_Z_EN: 1
; COMPUTE_PGM_RSRC2:TIDIG_COMP_CNT: 1
	.section	.text._ZL36rocblas_hemvn_kernel_lower_block_sumILi64EiPK19rocblas_complex_numIdEPS1_S1_EviT1_lS5_lT2_lT0_lPT3_i,"axG",@progbits,_ZL36rocblas_hemvn_kernel_lower_block_sumILi64EiPK19rocblas_complex_numIdEPS1_S1_EviT1_lS5_lT2_lT0_lPT3_i,comdat
	.globl	_ZL36rocblas_hemvn_kernel_lower_block_sumILi64EiPK19rocblas_complex_numIdEPS1_S1_EviT1_lS5_lT2_lT0_lPT3_i ; -- Begin function _ZL36rocblas_hemvn_kernel_lower_block_sumILi64EiPK19rocblas_complex_numIdEPS1_S1_EviT1_lS5_lT2_lT0_lPT3_i
	.p2align	8
	.type	_ZL36rocblas_hemvn_kernel_lower_block_sumILi64EiPK19rocblas_complex_numIdEPS1_S1_EviT1_lS5_lT2_lT0_lPT3_i,@function
_ZL36rocblas_hemvn_kernel_lower_block_sumILi64EiPK19rocblas_complex_numIdEPS1_S1_EviT1_lS5_lT2_lT0_lPT3_i: ; @_ZL36rocblas_hemvn_kernel_lower_block_sumILi64EiPK19rocblas_complex_numIdEPS1_S1_EviT1_lS5_lT2_lT0_lPT3_i
; %bb.0:
	s_load_dwordx8 s[12:19], s[4:5], 0x8
	s_waitcnt lgkmcnt(0)
	s_mul_i32 s0, s15, s7
	s_mul_hi_u32 s1, s14, s7
	s_add_i32 s1, s1, s0
	s_mul_i32 s0, s14, s7
	s_lshl_b64 s[0:1], s[0:1], 4
	s_add_u32 s0, s12, s0
	s_addc_u32 s1, s13, s1
	s_load_dwordx4 s[12:15], s[0:1], 0x0
	s_mul_i32 s9, s19, s7
	s_mul_hi_u32 s10, s18, s7
	s_mul_i32 s8, s18, s7
	s_add_i32 s9, s10, s9
	s_waitcnt lgkmcnt(0)
	v_cmp_neq_f64_e64 s[0:1], s[12:13], 0
	v_cmp_neq_f64_e64 s[2:3], s[14:15], 0
	s_lshl_b64 s[8:9], s[8:9], 4
	s_add_u32 s16, s16, s8
	s_addc_u32 s17, s17, s9
	s_load_dwordx4 s[8:11], s[16:17], 0x0
	s_or_b64 s[0:1], s[0:1], s[2:3]
	s_mov_b64 s[2:3], -1
	s_and_b64 vcc, exec, s[0:1]
	s_cbranch_vccnz .LBB27_2
; %bb.1:
	s_waitcnt lgkmcnt(0)
	v_cmp_neq_f64_e64 s[2:3], s[8:9], 1.0
	v_cmp_neq_f64_e64 s[16:17], s[10:11], 0
	s_or_b64 s[2:3], s[2:3], s[16:17]
.LBB27_2:
	s_andn2_b64 vcc, exec, s[2:3]
	s_cbranch_vccnz .LBB27_22
; %bb.3:
	s_load_dwordx2 s[18:19], s[4:5], 0x40
	s_xor_b64 s[20:21], s[0:1], -1
	s_load_dwordx4 s[0:3], s[4:5], 0x28
	s_load_dword s24, s[4:5], 0x38
	s_load_dword s16, s[4:5], 0x0
	v_lshl_or_b32 v6, s6, 6, v0
	s_waitcnt lgkmcnt(0)
	s_mul_i32 s17, s19, s7
	s_mul_hi_u32 s19, s18, s7
	s_add_i32 s19, s19, s17
	s_mul_i32 s18, s18, s7
	s_lshl_b64 s[18:19], s[18:19], 4
	s_add_u32 s17, s0, s18
	s_addc_u32 s18, s1, s19
	s_lshl_b64 s[0:1], s[2:3], 4
	s_add_u32 s22, s17, s0
	s_addc_u32 s23, s18, s1
	s_andn2_b64 vcc, exec, s[20:21]
	v_cmp_gt_i32_e64 s[0:1], s16, v6
	s_cbranch_vccnz .LBB27_8
; %bb.4:
	s_mov_b64 s[18:19], 0
	s_mov_b64 s[2:3], 0
                                        ; implicit-def: $vgpr2_vgpr3
                                        ; implicit-def: $vgpr4_vgpr5
	s_and_saveexec_b64 s[20:21], s[0:1]
	s_cbranch_execz .LBB27_9
; %bb.5:
	v_cmp_neq_f64_e64 s[0:1], s[8:9], 0
	v_cmp_neq_f64_e64 s[2:3], s[10:11], 0
	v_mul_lo_u32 v4, s24, v6
	v_mov_b32_e32 v2, 0
	v_mov_b32_e32 v0, 0
	;; [unrolled: 1-line block ×4, first 2 shown]
	v_ashrrev_i32_e32 v5, 31, v4
	s_or_b64 s[0:1], s[0:1], s[2:3]
	s_andn2_b64 vcc, exec, s[0:1]
	s_cbranch_vccnz .LBB27_7
; %bb.6:
	v_lshlrev_b64 v[0:1], 4, v[4:5]
	v_mov_b32_e32 v2, s23
	v_add_co_u32_e32 v0, vcc, s22, v0
	v_addc_co_u32_e32 v1, vcc, v2, v1, vcc
	global_load_dwordx4 v[7:10], v[0:1], off
	s_waitcnt vmcnt(0)
	v_mul_f64 v[0:1], s[10:11], v[9:10]
	v_mul_f64 v[2:3], s[8:9], v[9:10]
	v_fma_f64 v[0:1], s[8:9], v[7:8], -v[0:1]
	v_fma_f64 v[2:3], s[10:11], v[7:8], v[2:3]
.LBB27_7:
	s_mov_b64 s[2:3], exec
	s_or_b64 exec, exec, s[20:21]
	s_and_b64 vcc, exec, s[18:19]
	s_cbranch_vccnz .LBB27_10
	s_branch .LBB27_20
.LBB27_8:
	s_mov_b64 s[2:3], 0
                                        ; implicit-def: $vgpr2_vgpr3
                                        ; implicit-def: $vgpr4_vgpr5
	s_cbranch_execnz .LBB27_10
	s_branch .LBB27_20
.LBB27_9:
	s_or_b64 exec, exec, s[20:21]
	s_and_b64 vcc, exec, s[18:19]
	s_cbranch_vccz .LBB27_20
.LBB27_10:
	v_cmp_gt_i32_e32 vcc, s16, v6
                                        ; implicit-def: $vgpr2_vgpr3
                                        ; implicit-def: $vgpr4_vgpr5
	s_and_saveexec_b64 s[0:1], vcc
	s_cbranch_execz .LBB27_19
; %bb.11:
	s_load_dword s18, s[4:5], 0x58
	v_mov_b32_e32 v0, 0
	v_mov_b32_e32 v2, 0
	;; [unrolled: 1-line block ×4, first 2 shown]
	s_waitcnt lgkmcnt(0)
	s_cmp_ge_i32 s6, s18
	s_cbranch_scc1 .LBB27_14
; %bb.12:
	s_ashr_i32 s17, s16, 31
	s_mul_i32 s19, s16, s6
	s_load_dwordx2 s[4:5], s[4:5], 0x48
	v_add_u32_e32 v0, s19, v6
	s_mul_hi_u32 s19, s16, s7
	s_mul_i32 s20, s17, s7
	s_add_i32 s19, s19, s20
	s_mul_i32 s7, s16, s7
	s_mul_i32 s19, s19, s18
	s_mul_hi_u32 s20, s7, s18
	s_add_i32 s21, s20, s19
	s_mul_i32 s20, s7, s18
	v_ashrrev_i32_e32 v1, 31, v0
	s_lshl_b64 s[20:21], s[20:21], 4
	v_lshlrev_b64 v[0:1], 4, v[0:1]
	s_waitcnt lgkmcnt(0)
	s_add_u32 s4, s4, s20
	s_addc_u32 s5, s5, s21
	v_mov_b32_e32 v2, s5
	v_add_co_u32_e32 v0, vcc, s4, v0
	v_addc_co_u32_e32 v1, vcc, v2, v1, vcc
	v_add_co_u32_e32 v4, vcc, 8, v0
	v_addc_co_u32_e32 v5, vcc, 0, v1, vcc
	s_lshl_b64 s[4:5], s[16:17], 4
	v_mov_b32_e32 v0, 0
	v_mov_b32_e32 v2, 0
	;; [unrolled: 1-line block ×5, first 2 shown]
.LBB27_13:                              ; =>This Inner Loop Header: Depth=1
	global_load_dwordx4 v[8:11], v[4:5], off offset:-8
	s_add_i32 s6, s6, 1
	v_add_co_u32_e32 v4, vcc, s4, v4
	s_cmp_ge_i32 s6, s18
	v_addc_co_u32_e32 v5, vcc, v5, v7, vcc
	s_waitcnt vmcnt(0)
	v_add_f64 v[2:3], v[2:3], v[8:9]
	v_add_f64 v[0:1], v[0:1], v[10:11]
	s_cbranch_scc0 .LBB27_13
.LBB27_14:
	v_mul_f64 v[4:5], s[14:15], v[0:1]
	v_mul_f64 v[7:8], s[12:13], v[0:1]
	v_cmp_neq_f64_e64 s[6:7], s[8:9], 0
	v_cmp_neq_f64_e64 s[16:17], s[10:11], 0
	s_mov_b64 s[4:5], 0
	v_fma_f64 v[0:1], s[12:13], v[2:3], -v[4:5]
	v_fma_f64 v[2:3], s[14:15], v[2:3], v[7:8]
	v_mul_lo_u32 v4, s24, v6
	s_or_b64 s[6:7], s[6:7], s[16:17]
	s_andn2_b64 vcc, exec, s[6:7]
	v_ashrrev_i32_e32 v5, 31, v4
	s_cbranch_vccnz .LBB27_16
; %bb.15:
	s_mov_b64 s[4:5], -1
.LBB27_16:
	s_andn2_b64 vcc, exec, s[4:5]
	s_cbranch_vccnz .LBB27_18
; %bb.17:
	v_lshlrev_b64 v[6:7], 4, v[4:5]
	v_mov_b32_e32 v8, s23
	v_add_co_u32_e32 v6, vcc, s22, v6
	v_addc_co_u32_e32 v7, vcc, v8, v7, vcc
	global_load_dwordx4 v[6:9], v[6:7], off
	s_waitcnt vmcnt(0)
	v_mul_f64 v[10:11], s[10:11], v[8:9]
	v_mul_f64 v[8:9], s[8:9], v[8:9]
	v_fma_f64 v[10:11], s[8:9], v[6:7], -v[10:11]
	v_fma_f64 v[6:7], s[10:11], v[6:7], v[8:9]
	v_add_f64 v[0:1], v[0:1], v[10:11]
	v_add_f64 v[2:3], v[2:3], v[6:7]
.LBB27_18:
	s_or_b64 s[2:3], s[2:3], exec
.LBB27_19:
	s_or_b64 exec, exec, s[0:1]
.LBB27_20:
	s_and_saveexec_b64 s[0:1], s[2:3]
	s_cbranch_execz .LBB27_22
; %bb.21:
	v_lshlrev_b64 v[4:5], 4, v[4:5]
	v_mov_b32_e32 v6, s23
	v_add_co_u32_e32 v4, vcc, s22, v4
	v_addc_co_u32_e32 v5, vcc, v6, v5, vcc
	global_store_dwordx4 v[4:5], v[0:3], off
.LBB27_22:
	s_endpgm
	.section	.rodata,"a",@progbits
	.p2align	6, 0x0
	.amdhsa_kernel _ZL36rocblas_hemvn_kernel_lower_block_sumILi64EiPK19rocblas_complex_numIdEPS1_S1_EviT1_lS5_lT2_lT0_lPT3_i
		.amdhsa_group_segment_fixed_size 0
		.amdhsa_private_segment_fixed_size 0
		.amdhsa_kernarg_size 344
		.amdhsa_user_sgpr_count 6
		.amdhsa_user_sgpr_private_segment_buffer 1
		.amdhsa_user_sgpr_dispatch_ptr 0
		.amdhsa_user_sgpr_queue_ptr 0
		.amdhsa_user_sgpr_kernarg_segment_ptr 1
		.amdhsa_user_sgpr_dispatch_id 0
		.amdhsa_user_sgpr_flat_scratch_init 0
		.amdhsa_user_sgpr_private_segment_size 0
		.amdhsa_uses_dynamic_stack 0
		.amdhsa_system_sgpr_private_segment_wavefront_offset 0
		.amdhsa_system_sgpr_workgroup_id_x 1
		.amdhsa_system_sgpr_workgroup_id_y 0
		.amdhsa_system_sgpr_workgroup_id_z 1
		.amdhsa_system_sgpr_workgroup_info 0
		.amdhsa_system_vgpr_workitem_id 0
		.amdhsa_next_free_vgpr 12
		.amdhsa_next_free_sgpr 25
		.amdhsa_reserve_vcc 1
		.amdhsa_reserve_flat_scratch 0
		.amdhsa_float_round_mode_32 0
		.amdhsa_float_round_mode_16_64 0
		.amdhsa_float_denorm_mode_32 3
		.amdhsa_float_denorm_mode_16_64 3
		.amdhsa_dx10_clamp 1
		.amdhsa_ieee_mode 1
		.amdhsa_fp16_overflow 0
		.amdhsa_exception_fp_ieee_invalid_op 0
		.amdhsa_exception_fp_denorm_src 0
		.amdhsa_exception_fp_ieee_div_zero 0
		.amdhsa_exception_fp_ieee_overflow 0
		.amdhsa_exception_fp_ieee_underflow 0
		.amdhsa_exception_fp_ieee_inexact 0
		.amdhsa_exception_int_div_zero 0
	.end_amdhsa_kernel
	.section	.text._ZL36rocblas_hemvn_kernel_lower_block_sumILi64EiPK19rocblas_complex_numIdEPS1_S1_EviT1_lS5_lT2_lT0_lPT3_i,"axG",@progbits,_ZL36rocblas_hemvn_kernel_lower_block_sumILi64EiPK19rocblas_complex_numIdEPS1_S1_EviT1_lS5_lT2_lT0_lPT3_i,comdat
.Lfunc_end27:
	.size	_ZL36rocblas_hemvn_kernel_lower_block_sumILi64EiPK19rocblas_complex_numIdEPS1_S1_EviT1_lS5_lT2_lT0_lPT3_i, .Lfunc_end27-_ZL36rocblas_hemvn_kernel_lower_block_sumILi64EiPK19rocblas_complex_numIdEPS1_S1_EviT1_lS5_lT2_lT0_lPT3_i
                                        ; -- End function
	.set _ZL36rocblas_hemvn_kernel_lower_block_sumILi64EiPK19rocblas_complex_numIdEPS1_S1_EviT1_lS5_lT2_lT0_lPT3_i.num_vgpr, 12
	.set _ZL36rocblas_hemvn_kernel_lower_block_sumILi64EiPK19rocblas_complex_numIdEPS1_S1_EviT1_lS5_lT2_lT0_lPT3_i.num_agpr, 0
	.set _ZL36rocblas_hemvn_kernel_lower_block_sumILi64EiPK19rocblas_complex_numIdEPS1_S1_EviT1_lS5_lT2_lT0_lPT3_i.numbered_sgpr, 25
	.set _ZL36rocblas_hemvn_kernel_lower_block_sumILi64EiPK19rocblas_complex_numIdEPS1_S1_EviT1_lS5_lT2_lT0_lPT3_i.num_named_barrier, 0
	.set _ZL36rocblas_hemvn_kernel_lower_block_sumILi64EiPK19rocblas_complex_numIdEPS1_S1_EviT1_lS5_lT2_lT0_lPT3_i.private_seg_size, 0
	.set _ZL36rocblas_hemvn_kernel_lower_block_sumILi64EiPK19rocblas_complex_numIdEPS1_S1_EviT1_lS5_lT2_lT0_lPT3_i.uses_vcc, 1
	.set _ZL36rocblas_hemvn_kernel_lower_block_sumILi64EiPK19rocblas_complex_numIdEPS1_S1_EviT1_lS5_lT2_lT0_lPT3_i.uses_flat_scratch, 0
	.set _ZL36rocblas_hemvn_kernel_lower_block_sumILi64EiPK19rocblas_complex_numIdEPS1_S1_EviT1_lS5_lT2_lT0_lPT3_i.has_dyn_sized_stack, 0
	.set _ZL36rocblas_hemvn_kernel_lower_block_sumILi64EiPK19rocblas_complex_numIdEPS1_S1_EviT1_lS5_lT2_lT0_lPT3_i.has_recursion, 0
	.set _ZL36rocblas_hemvn_kernel_lower_block_sumILi64EiPK19rocblas_complex_numIdEPS1_S1_EviT1_lS5_lT2_lT0_lPT3_i.has_indirect_call, 0
	.section	.AMDGPU.csdata,"",@progbits
; Kernel info:
; codeLenInByte = 872
; TotalNumSgprs: 29
; NumVgprs: 12
; ScratchSize: 0
; MemoryBound: 0
; FloatMode: 240
; IeeeMode: 1
; LDSByteSize: 0 bytes/workgroup (compile time only)
; SGPRBlocks: 3
; VGPRBlocks: 2
; NumSGPRsForWavesPerEU: 29
; NumVGPRsForWavesPerEU: 12
; Occupancy: 10
; WaveLimiterHint : 0
; COMPUTE_PGM_RSRC2:SCRATCH_EN: 0
; COMPUTE_PGM_RSRC2:USER_SGPR: 6
; COMPUTE_PGM_RSRC2:TRAP_HANDLER: 0
; COMPUTE_PGM_RSRC2:TGID_X_EN: 1
; COMPUTE_PGM_RSRC2:TGID_Y_EN: 0
; COMPUTE_PGM_RSRC2:TGID_Z_EN: 1
; COMPUTE_PGM_RSRC2:TIDIG_COMP_CNT: 0
	.section	.text._ZL26rocblas_hemvn_kernel_lowerILb1ELi64ELi4ELi33ELi32ELi16El19rocblas_complex_numIdEPKS1_PS1_EviT6_lT7_lT5_lS6_lS7_lS5_lT8_i,"axG",@progbits,_ZL26rocblas_hemvn_kernel_lowerILb1ELi64ELi4ELi33ELi32ELi16El19rocblas_complex_numIdEPKS1_PS1_EviT6_lT7_lT5_lS6_lS7_lS5_lT8_i,comdat
	.globl	_ZL26rocblas_hemvn_kernel_lowerILb1ELi64ELi4ELi33ELi32ELi16El19rocblas_complex_numIdEPKS1_PS1_EviT6_lT7_lT5_lS6_lS7_lS5_lT8_i ; -- Begin function _ZL26rocblas_hemvn_kernel_lowerILb1ELi64ELi4ELi33ELi32ELi16El19rocblas_complex_numIdEPKS1_PS1_EviT6_lT7_lT5_lS6_lS7_lS5_lT8_i
	.p2align	8
	.type	_ZL26rocblas_hemvn_kernel_lowerILb1ELi64ELi4ELi33ELi32ELi16El19rocblas_complex_numIdEPKS1_PS1_EviT6_lT7_lT5_lS6_lS7_lS5_lT8_i,@function
_ZL26rocblas_hemvn_kernel_lowerILb1ELi64ELi4ELi33ELi32ELi16El19rocblas_complex_numIdEPKS1_PS1_EviT6_lT7_lT5_lS6_lS7_lS5_lT8_i: ; @_ZL26rocblas_hemvn_kernel_lowerILb1ELi64ELi4ELi33ELi32ELi16El19rocblas_complex_numIdEPKS1_PS1_EviT6_lT7_lT5_lS6_lS7_lS5_lT8_i
; %bb.0:
	s_load_dwordx2 s[2:3], s[4:5], 0x94
	s_add_u32 s0, s4, 0x88
	s_addc_u32 s1, s5, 0
	s_waitcnt lgkmcnt(0)
	s_lshr_b32 s8, s2, 16
	s_and_b32 s2, s2, 0xffff
	s_and_b32 s3, s3, 0xffff
	s_mul_i32 s2, s8, s2
	s_mul_i32 s2, s2, s3
	s_cmpk_lg_i32 s2, 0x100
	s_cbranch_scc1 .LBB28_151
; %bb.1:
	s_load_dwordx4 s[8:11], s[4:5], 0x8
	s_waitcnt lgkmcnt(0)
	v_cmp_neq_f64_e64 s[2:3], s[8:9], 0
	v_cmp_neq_f64_e64 s[8:9], s[10:11], 0
	s_or_b64 s[2:3], s[2:3], s[8:9]
	s_mov_b64 s[8:9], -1
	s_and_b64 vcc, exec, s[2:3]
	s_cbranch_vccnz .LBB28_3
; %bb.2:
	s_load_dwordx4 s[8:11], s[4:5], 0x60
	s_waitcnt lgkmcnt(0)
	v_cmp_neq_f64_e64 s[8:9], s[8:9], 1.0
	v_cmp_neq_f64_e64 s[10:11], s[10:11], 0
	s_or_b64 s[8:9], s[8:9], s[10:11]
.LBB28_3:
	s_andn2_b64 vcc, exec, s[8:9]
	s_cbranch_vccnz .LBB28_151
; %bb.4:
	s_andn2_b64 vcc, exec, s[2:3]
	s_cbranch_vccnz .LBB28_151
; %bb.5:
	s_load_dwordx16 s[36:51], s[4:5], 0x20
	s_load_dword s52, s[0:1], 0x0
	s_load_dword s33, s[4:5], 0x0
	s_waitcnt lgkmcnt(0)
	s_mul_i32 s1, s51, s7
	s_mul_hi_u32 s2, s50, s7
	s_mul_i32 s0, s50, s7
	s_add_i32 s1, s2, s1
	s_lshl_b64 s[0:1], s[0:1], 4
	s_add_u32 s2, s44, s0
	s_addc_u32 s3, s45, s1
	s_lshl_b64 s[0:1], s[46:47], 4
	s_add_u32 s2, s2, s0
	s_addc_u32 s3, s3, s1
	s_lshl_b32 s24, s6, 6
	s_ashr_i32 s44, s33, 31
	s_lshr_b32 s0, s44, 26
	v_add_u32_e32 v142, s24, v0
	s_add_i32 s0, s33, s0
	v_ashrrev_i32_e32 v143, 31, v142
	s_and_b32 s9, s0, 0xffffffc0
	v_mul_lo_u32 v4, s48, v143
	v_mul_lo_u32 v5, s49, v142
	v_mad_u64_u32 v[2:3], s[0:1], s48, v142, 0
	s_add_i32 s8, s52, -1
	s_sub_i32 s0, s33, s9
	v_add3_u32 v3, v3, v4, v5
	v_lshlrev_b64 v[2:3], 4, v[2:3]
	s_cmp_eq_u32 s6, s8
	v_mov_b32_e32 v4, s3
	v_add_co_u32_e32 v38, vcc, s2, v2
	s_cselect_b32 s22, s0, 0
	v_addc_co_u32_e32 v39, vcc, v4, v3, vcc
	v_cmp_ne_u32_e64 s[0:1], 0, v1
	v_cmp_eq_u32_e64 s[2:3], 0, v1
	s_and_saveexec_b64 s[8:9], s[2:3]
	s_cbranch_execz .LBB28_10
; %bb.6:
	s_cmp_lg_u32 s22, 0
	s_cselect_b64 s[10:11], -1, 0
	v_cmp_le_i32_e32 vcc, s22, v0
	v_mov_b32_e32 v2, 0x4700
	s_and_b64 s[10:11], s[10:11], vcc
	v_lshl_add_u32 v2, v0, 4, v2
	s_and_saveexec_b64 s[12:13], s[10:11]
	s_xor_b64 s[10:11], exec, s[12:13]
; %bb.7:
	v_mov_b32_e32 v3, 0
	v_mov_b32_e32 v4, v3
	;; [unrolled: 1-line block ×4, first 2 shown]
	ds_write_b128 v2, v[3:6]
                                        ; implicit-def: $vgpr2
; %bb.8:
	s_andn2_saveexec_b64 s[10:11], s[10:11]
	s_cbranch_execz .LBB28_10
; %bb.9:
	global_load_dwordx4 v[3:6], v[38:39], off
	s_waitcnt vmcnt(0)
	ds_write2_b64 v2, v[3:4], v[5:6] offset1:1
.LBB28_10:
	s_or_b64 exec, exec, s[8:9]
	v_lshl_add_u32 v44, v1, 6, v0
	s_mul_i32 s8, s43, s7
	s_mul_hi_u32 s9, s42, s7
	v_and_b32_e32 v10, 31, v0
	v_lshrrev_b32_e32 v13, 5, v44
	s_add_i32 s9, s9, s8
	s_mul_i32 s8, s42, s7
	v_mov_b32_e32 v11, 0
	s_lshl_b64 s[8:9], s[8:9], 4
	v_mad_u64_u32 v[2:3], s[10:11], s40, v13, v[10:11]
	s_add_u32 s12, s36, s8
	s_addc_u32 s13, s37, s9
	s_lshl_b64 s[8:9], s[38:39], 4
	s_add_u32 s10, s12, s8
	s_addc_u32 s11, s13, s9
	v_mad_u64_u32 v[3:4], s[8:9], s41, v13, v[3:4]
	s_ashr_i32 s25, s24, 31
	s_lshl_b64 s[8:9], s[24:25], 4
	s_add_u32 s8, s10, s8
	v_lshlrev_b64 v[40:41], 4, v[2:3]
	s_addc_u32 s9, s11, s9
	v_mov_b32_e32 v2, s9
	v_add_co_u32_e32 v3, vcc, s8, v40
	s_mul_hi_u32 s8, s40, s24
	s_mul_i32 s9, s40, s25
	s_add_i32 s8, s8, s9
	s_mul_i32 s9, s41, s24
	s_add_i32 s9, s8, s9
	s_mul_i32 s8, s40, s24
	v_addc_co_u32_e32 v2, vcc, v2, v41, vcc
	s_lshl_b64 s[26:27], s[8:9], 4
	v_mov_b32_e32 v4, s27
	v_add_co_u32_e32 v6, vcc, s26, v3
	s_cmp_lg_u32 s22, 0
	v_addc_co_u32_e32 v7, vcc, v2, v4, vcc
	s_cselect_b64 s[28:29], -1, 0
	s_cmp_eq_u32 s22, 0
	s_cselect_b64 s[18:19], -1, 0
	s_mov_b64 s[8:9], -1
	s_and_b64 vcc, exec, s[28:29]
	s_cbranch_vccnz .LBB28_12
; %bb.11:
	s_lshl_b64 s[8:9], s[40:41], 7
	v_mov_b32_e32 v22, s9
	v_add_co_u32_e32 v8, vcc, s8, v6
	v_addc_co_u32_e32 v9, vcc, v7, v22, vcc
	v_add_co_u32_e32 v11, vcc, s8, v8
	global_load_dwordx4 v[2:5], v[6:7], off
	v_addc_co_u32_e32 v12, vcc, v9, v22, vcc
	global_load_dwordx4 v[14:17], v[8:9], off
	global_load_dwordx4 v[18:21], v[11:12], off
	v_add_co_u32_e32 v8, vcc, s8, v11
	v_addc_co_u32_e32 v9, vcc, v12, v22, vcc
	global_load_dwordx4 v[22:25], v[8:9], off
	v_mul_u32_u24_e32 v8, 0x210, v13
	v_lshl_add_u32 v8, v10, 4, v8
	s_mov_b64 s[8:9], 0
	v_add_u32_e32 v9, 0x1080, v8
	v_add_u32_e32 v11, 0x2100, v8
	;; [unrolled: 1-line block ×3, first 2 shown]
	s_waitcnt vmcnt(3)
	ds_write2_b64 v8, v[2:3], v[4:5] offset1:1
	s_waitcnt vmcnt(2)
	ds_write2_b64 v9, v[14:15], v[16:17] offset1:1
	;; [unrolled: 2-line block ×4, first 2 shown]
.LBB28_12:
	s_andn2_b64 vcc, exec, s[8:9]
	v_lshlrev_b32_e32 v14, 4, v10
	s_cbranch_vccnz .LBB28_30
; %bb.13:
	v_lshlrev_b32_e32 v4, 4, v10
	v_sub_co_u32_e32 v2, vcc, v6, v4
	s_ashr_i32 s23, s22, 31
	v_subbrev_co_u32_e32 v3, vcc, 0, v7, vcc
	s_lshl_b64 s[10:11], s[22:23], 4
	v_mov_b32_e32 v5, s11
	v_add_co_u32_e32 v2, vcc, s10, v2
	v_addc_co_u32_e32 v3, vcc, v3, v5, vcc
	v_add_co_u32_e32 v2, vcc, -16, v2
	v_addc_co_u32_e32 v3, vcc, -1, v3, vcc
	v_cmp_gt_i32_e32 vcc, s22, v10
	s_movk_i32 s12, 0x210
	v_cndmask_b32_e32 v3, v3, v7, vcc
	v_cndmask_b32_e32 v2, v2, v6, vcc
	v_cmp_le_i32_e64 s[8:9], s22, v13
	v_mad_u32_u24 v5, v13, s12, v14
	s_and_saveexec_b64 s[12:13], s[8:9]
	s_xor_b64 s[8:9], exec, s[12:13]
; %bb.14:
	v_mov_b32_e32 v15, 0
	v_mov_b32_e32 v16, v15
	;; [unrolled: 1-line block ×4, first 2 shown]
	ds_write_b128 v5, v[15:18]
                                        ; implicit-def: $vgpr5
; %bb.15:
	s_andn2_saveexec_b64 s[8:9], s[8:9]
	s_cbranch_execz .LBB28_17
; %bb.16:
	global_load_dwordx4 v[15:18], v[2:3], off
	s_waitcnt vmcnt(0)
	ds_write2_b64 v5, v[15:16], v[17:18] offset1:1
.LBB28_17:
	s_or_b64 exec, exec, s[8:9]
	v_add_u32_e32 v8, 8, v13
	v_mul_u32_u24_e32 v5, 0x210, v13
	v_cmp_le_i32_e64 s[8:9], s22, v8
	s_and_saveexec_b64 s[12:13], s[8:9]
	s_xor_b64 s[8:9], exec, s[12:13]
	s_cbranch_execz .LBB28_19
; %bb.18:
	v_mov_b32_e32 v15, 0
	v_add_u32_e32 v8, v5, v14
	v_mov_b32_e32 v16, v15
	v_mov_b32_e32 v17, v15
	;; [unrolled: 1-line block ×3, first 2 shown]
	ds_write_b128 v8, v[15:18] offset:4224
.LBB28_19:
	s_andn2_saveexec_b64 s[12:13], s[8:9]
	s_cbranch_execz .LBB28_21
; %bb.20:
	s_lshl_b64 s[8:9], s[40:41], 7
	v_mov_b32_e32 v9, s9
	v_add_co_u32_e64 v8, s[8:9], s8, v2
	v_addc_co_u32_e64 v9, s[8:9], v3, v9, s[8:9]
	global_load_dwordx4 v[15:18], v[8:9], off
	s_movk_i32 s8, 0x1080
	v_add3_u32 v8, v5, v14, s8
	s_waitcnt vmcnt(0)
	ds_write2_b64 v8, v[15:16], v[17:18] offset1:1
.LBB28_21:
	s_or_b64 exec, exec, s[12:13]
	v_add_u32_e32 v8, 16, v13
	v_cmp_le_i32_e64 s[8:9], s22, v8
	s_and_saveexec_b64 s[12:13], s[8:9]
	s_xor_b64 s[8:9], exec, s[12:13]
	s_cbranch_execz .LBB28_23
; %bb.22:
	v_mov_b32_e32 v15, 0
	v_add_u32_e32 v8, v5, v14
	v_mov_b32_e32 v16, v15
	v_mov_b32_e32 v17, v15
	;; [unrolled: 1-line block ×3, first 2 shown]
	ds_write_b128 v8, v[15:18] offset:8448
.LBB28_23:
	s_andn2_saveexec_b64 s[12:13], s[8:9]
	s_cbranch_execz .LBB28_25
; %bb.24:
	s_lshl_b64 s[8:9], s[40:41], 8
	v_mov_b32_e32 v9, s9
	v_add_co_u32_e64 v8, s[8:9], s8, v2
	v_addc_co_u32_e64 v9, s[8:9], v3, v9, s[8:9]
	global_load_dwordx4 v[15:18], v[8:9], off
	s_movk_i32 s8, 0x2100
	v_add3_u32 v8, v5, v14, s8
	s_waitcnt vmcnt(0)
	ds_write2_b64 v8, v[15:16], v[17:18] offset1:1
.LBB28_25:
	s_or_b64 exec, exec, s[12:13]
	v_add_u32_e32 v8, 24, v13
	v_cmp_le_i32_e64 s[8:9], s22, v8
	s_and_saveexec_b64 s[12:13], s[8:9]
	s_xor_b64 s[8:9], exec, s[12:13]
	s_cbranch_execz .LBB28_27
; %bb.26:
	v_mov_b32_e32 v15, 0
	v_add_u32_e32 v5, v5, v14
	v_mov_b32_e32 v16, v15
	v_mov_b32_e32 v17, v15
	;; [unrolled: 1-line block ×3, first 2 shown]
	ds_write_b128 v5, v[15:18] offset:12672
                                        ; implicit-def: $vgpr5
.LBB28_27:
	s_andn2_saveexec_b64 s[8:9], s[8:9]
	s_cbranch_execz .LBB28_29
; %bb.28:
	v_mov_b32_e32 v8, 0x180
	v_mad_u64_u32 v[8:9], s[12:13], s40, v8, v[2:3]
	s_mul_i32 s12, s41, 0x180
	v_add_u32_e32 v9, s12, v9
	global_load_dwordx4 v[15:18], v[8:9], off
	s_movk_i32 s12, 0x3180
	v_add3_u32 v5, v5, v14, s12
	s_waitcnt vmcnt(0)
	ds_write2_b64 v5, v[15:16], v[17:18] offset1:1
.LBB28_29:
	s_or_b64 exec, exec, s[8:9]
	v_add_co_u32_e64 v2, s[8:9], v2, v4
	v_addc_co_u32_e64 v3, s[8:9], 0, v3, s[8:9]
	v_mov_b32_e32 v4, s11
	v_subrev_co_u32_e64 v2, s[8:9], s10, v2
	v_subb_co_u32_e64 v3, s[8:9], v3, v4, s[8:9]
	v_add_co_u32_e64 v2, s[8:9], 16, v2
	v_addc_co_u32_e64 v3, s[8:9], 0, v3, s[8:9]
	v_cndmask_b32_e32 v7, v3, v7, vcc
	v_cndmask_b32_e32 v6, v2, v6, vcc
.LBB28_30:
	v_lshlrev_b32_e32 v15, 2, v13
	v_mul_u32_u24_e32 v17, 0x210, v10
	v_cmp_ge_u32_e64 s[8:9], v15, v10
	s_mov_b64 s[10:11], 0
	s_waitcnt lgkmcnt(0)
	s_barrier
                                        ; implicit-def: $vgpr9
	s_and_saveexec_b64 s[12:13], s[8:9]
	s_xor_b64 s[12:13], exec, s[12:13]
	s_cbranch_execz .LBB28_34
; %bb.31:
	v_cmp_eq_u32_e32 vcc, v15, v10
                                        ; implicit-def: $vgpr9
	s_and_saveexec_b64 s[14:15], vcc
	s_xor_b64 s[14:15], exec, s[14:15]
; %bb.32:
	s_mov_b64 s[10:11], exec
	v_add_u32_e32 v9, v14, v17
; %bb.33:
	s_or_b64 exec, exec, s[14:15]
	s_and_b64 s[10:11], s[10:11], exec
.LBB28_34:
	s_or_saveexec_b64 s[12:13], s[12:13]
	v_mov_b32_e32 v4, 0
	v_mov_b32_e32 v5, 0
	v_lshl_or_b32 v8, v10, 9, v14
	s_xor_b64 exec, exec, s[12:13]
	s_cbranch_execz .LBB28_36
; %bb.35:
	s_movk_i32 s14, 0x840
	v_mad_u32_u24 v2, v13, s14, v14
	ds_read_b128 v[2:5], v2
	v_lshl_add_u32 v9, v15, 4, v8
	s_or_b64 s[10:11], s[10:11], exec
	s_waitcnt lgkmcnt(0)
	v_xor_b32_e32 v5, 0x80000000, v5
	ds_write_b64 v9, v[2:3]
.LBB28_36:
	s_or_b64 exec, exec, s[12:13]
	s_and_saveexec_b64 s[12:13], s[10:11]
; %bb.37:
	ds_write_b64 v9, v[4:5] offset:8
; %bb.38:
	s_or_b64 exec, exec, s[12:13]
	v_or_b32_e32 v19, 1, v15
	v_cmp_ge_u32_e64 s[10:11], v19, v10
	s_mov_b64 s[12:13], 0
                                        ; implicit-def: $vgpr9
	s_and_saveexec_b64 s[14:15], s[10:11]
	s_xor_b64 s[14:15], exec, s[14:15]
	s_cbranch_execz .LBB28_42
; %bb.39:
	v_cmp_eq_u32_e32 vcc, v19, v10
                                        ; implicit-def: $vgpr9
	s_and_saveexec_b64 s[16:17], vcc
; %bb.40:
	s_mov_b64 s[12:13], exec
	v_add_u32_e32 v9, v14, v17
; %bb.41:
	s_or_b64 exec, exec, s[16:17]
	s_and_b64 s[12:13], s[12:13], exec
.LBB28_42:
	s_or_saveexec_b64 s[14:15], s[14:15]
	v_mov_b32_e32 v4, 0
	v_mov_b32_e32 v5, 0
	s_xor_b64 exec, exec, s[14:15]
	s_cbranch_execz .LBB28_44
; %bb.43:
	s_movk_i32 s16, 0x210
	v_mad_u32_u24 v2, v19, s16, v14
	ds_read_b128 v[2:5], v2
	v_lshl_add_u32 v11, v15, 4, v8
	v_add_u32_e32 v9, 16, v11
	s_or_b64 s[12:13], s[12:13], exec
	s_waitcnt lgkmcnt(0)
	v_xor_b32_e32 v5, 0x80000000, v5
	ds_write_b64 v11, v[2:3] offset:16
.LBB28_44:
	s_or_b64 exec, exec, s[14:15]
	s_and_saveexec_b64 s[14:15], s[12:13]
; %bb.45:
	ds_write_b64 v9, v[4:5] offset:8
; %bb.46:
	s_or_b64 exec, exec, s[14:15]
	v_or_b32_e32 v20, 2, v15
	v_cmp_ge_u32_e64 s[12:13], v20, v10
	s_mov_b64 s[14:15], 0
                                        ; implicit-def: $vgpr9
	s_and_saveexec_b64 s[16:17], s[12:13]
	s_xor_b64 s[16:17], exec, s[16:17]
	s_cbranch_execz .LBB28_50
; %bb.47:
	v_cmp_eq_u32_e32 vcc, v20, v10
                                        ; implicit-def: $vgpr9
	s_and_saveexec_b64 s[20:21], vcc
; %bb.48:
	s_mov_b64 s[14:15], exec
	v_add_u32_e32 v9, v14, v17
; %bb.49:
	s_or_b64 exec, exec, s[20:21]
	s_and_b64 s[14:15], s[14:15], exec
.LBB28_50:
	s_or_saveexec_b64 s[16:17], s[16:17]
	v_mov_b32_e32 v4, 0
	v_mov_b32_e32 v5, 0
	s_xor_b64 exec, exec, s[16:17]
	s_cbranch_execz .LBB28_52
; %bb.51:
	s_movk_i32 s20, 0x210
	v_mad_u32_u24 v2, v20, s20, v14
	ds_read_b128 v[2:5], v2
	v_lshl_add_u32 v11, v15, 4, v8
	v_add_u32_e32 v9, 32, v11
	s_or_b64 s[14:15], s[14:15], exec
	s_waitcnt lgkmcnt(0)
	v_xor_b32_e32 v5, 0x80000000, v5
	ds_write_b64 v11, v[2:3] offset:32
.LBB28_52:
	s_or_b64 exec, exec, s[16:17]
	s_and_saveexec_b64 s[16:17], s[14:15]
; %bb.53:
	ds_write_b64 v9, v[4:5] offset:8
; %bb.54:
	s_or_b64 exec, exec, s[16:17]
	v_or_b32_e32 v21, 3, v15
	v_cmp_ge_u32_e64 s[14:15], v21, v10
	s_mov_b64 s[16:17], 0
                                        ; implicit-def: $vgpr9
	s_and_saveexec_b64 s[20:21], s[14:15]
	s_xor_b64 s[20:21], exec, s[20:21]
	s_cbranch_execz .LBB28_58
; %bb.55:
	v_cmp_eq_u32_e32 vcc, v21, v10
                                        ; implicit-def: $vgpr9
	s_and_saveexec_b64 s[30:31], vcc
; %bb.56:
	s_mov_b64 s[16:17], exec
	v_add_u32_e32 v9, v14, v17
; %bb.57:
	s_or_b64 exec, exec, s[30:31]
	s_and_b64 s[16:17], s[16:17], exec
                                        ; implicit-def: $vgpr8
.LBB28_58:
	s_or_saveexec_b64 s[20:21], s[20:21]
	v_mov_b32_e32 v4, 0
	v_mov_b32_e32 v5, 0
	s_xor_b64 exec, exec, s[20:21]
	s_cbranch_execz .LBB28_60
; %bb.59:
	s_movk_i32 s23, 0x210
	v_mad_u32_u24 v2, v21, s23, v14
	ds_read_b128 v[2:5], v2
	v_lshl_add_u32 v8, v15, 4, v8
	v_add_u32_e32 v9, 48, v8
	s_or_b64 s[16:17], s[16:17], exec
	s_waitcnt lgkmcnt(0)
	v_xor_b32_e32 v5, 0x80000000, v5
	ds_write_b64 v8, v[2:3] offset:48
.LBB28_60:
	s_or_b64 exec, exec, s[20:21]
	s_and_saveexec_b64 s[20:21], s[16:17]
; %bb.61:
	ds_write_b64 v9, v[4:5] offset:8
; %bb.62:
	s_or_b64 exec, exec, s[20:21]
	s_movk_i32 s16, 0x840
	v_lshlrev_b32_e32 v8, 4, v15
	s_waitcnt lgkmcnt(0)
	s_barrier
	v_mad_u32_u24 v9, v13, s16, v14
	ds_read_b128 v[2:5], v8 offset:18176
	ds_read_b128 v[22:25], v9
	ds_read_b128 v[26:29], v8 offset:18192
	s_movk_i32 s23, 0x210
	v_mad_u32_u24 v9, v19, s23, v14
	ds_read_b128 v[30:33], v9
	ds_read_b128 v[34:37], v8 offset:18208
	s_waitcnt lgkmcnt(3)
	v_mul_f64 v[11:12], v[4:5], v[24:25]
	v_mul_f64 v[24:25], v[2:3], v[24:25]
	ds_read_b128 v[45:48], v9 offset:528
	s_waitcnt lgkmcnt(2)
	v_mul_f64 v[42:43], v[28:29], v[32:33]
	v_mul_f64 v[32:33], v[26:27], v[32:33]
	v_cmp_gt_u32_e64 s[20:21], 32, v44
	v_fma_f64 v[11:12], v[2:3], v[22:23], -v[11:12]
	v_fma_f64 v[49:50], v[4:5], v[22:23], v[24:25]
	ds_read_b128 v[2:5], v8 offset:18224
	ds_read_b128 v[22:25], v9 offset:1056
	v_fma_f64 v[26:27], v[26:27], v[30:31], -v[42:43]
	s_waitcnt lgkmcnt(2)
	v_mul_f64 v[42:43], v[36:37], v[47:48]
	v_fma_f64 v[28:29], v[28:29], v[30:31], v[32:33]
	v_mul_f64 v[30:31], v[34:35], v[47:48]
	s_waitcnt lgkmcnt(0)
	v_mul_f64 v[47:48], v[4:5], v[24:25]
	v_add_f64 v[11:12], v[11:12], 0
	v_add_f64 v[32:33], v[49:50], 0
	v_mul_f64 v[24:25], v[2:3], v[24:25]
	v_mul_u32_u24_e32 v9, 33, v10
	v_fma_f64 v[34:35], v[34:35], v[45:46], -v[42:43]
	s_barrier
	v_add_f64 v[11:12], v[11:12], v[26:27]
	v_fma_f64 v[26:27], v[36:37], v[45:46], v[30:31]
	v_add_f64 v[28:29], v[32:33], v[28:29]
	v_fma_f64 v[30:31], v[2:3], v[22:23], -v[47:48]
	v_fma_f64 v[4:5], v[4:5], v[22:23], v[24:25]
	v_mov_b32_e32 v2, 0
	v_lshlrev_b32_e32 v45, 4, v9
	v_mov_b32_e32 v3, 0
	v_add_f64 v[11:12], v[11:12], v[34:35]
	v_lshl_add_u32 v46, v13, 4, v45
	v_add_f64 v[24:25], v[28:29], v[26:27]
	v_add_f64 v[22:23], v[11:12], v[30:31]
	;; [unrolled: 1-line block ×3, first 2 shown]
	v_mov_b32_e32 v4, 0
	v_mov_b32_e32 v5, 0
	ds_write_b128 v46, v[22:25]
	s_waitcnt lgkmcnt(0)
	s_barrier
	s_and_saveexec_b64 s[16:17], s[20:21]
	s_cbranch_execz .LBB28_64
; %bb.63:
	ds_read_b128 v[2:5], v45
	ds_read_b128 v[22:25], v45 offset:16
	s_waitcnt lgkmcnt(0)
	v_add_f64 v[11:12], v[22:23], v[2:3]
	v_add_f64 v[26:27], v[24:25], v[4:5]
	ds_read_b128 v[2:5], v45 offset:32
	ds_read_b128 v[22:25], v45 offset:48
	s_waitcnt lgkmcnt(1)
	v_add_f64 v[2:3], v[11:12], v[2:3]
	v_add_f64 v[4:5], v[26:27], v[4:5]
	s_waitcnt lgkmcnt(0)
	v_add_f64 v[11:12], v[2:3], v[22:23]
	v_add_f64 v[26:27], v[4:5], v[24:25]
	ds_read_b128 v[2:5], v45 offset:64
	ds_read_b128 v[22:25], v45 offset:80
	s_waitcnt lgkmcnt(1)
	v_add_f64 v[2:3], v[11:12], v[2:3]
	v_add_f64 v[4:5], v[26:27], v[4:5]
	;; [unrolled: 8-line block ×3, first 2 shown]
	s_waitcnt lgkmcnt(0)
	v_add_f64 v[2:3], v[2:3], v[22:23]
	v_add_f64 v[4:5], v[4:5], v[24:25]
.LBB28_64:
	s_or_b64 exec, exec, s[16:17]
	s_lshl_b64 s[16:17], s[40:41], 9
	v_mov_b32_e32 v9, s17
	v_add_co_u32_e32 v6, vcc, s16, v6
	v_addc_co_u32_e32 v7, vcc, v7, v9, vcc
	v_add_co_u32_e32 v11, vcc, 0x200, v6
	v_addc_co_u32_e32 v12, vcc, 0, v7, vcc
	v_cndmask_b32_e64 v9, 0, 1, s[18:19]
	v_mad_u32_u24 v16, v13, s23, v14
	v_cmp_ne_u32_e64 s[16:17], 1, v9
	s_andn2_b64 vcc, exec, s[18:19]
	s_mov_b64 s[18:19], -1
	s_barrier
	s_cbranch_vccnz .LBB28_66
; %bb.65:
	s_lshl_b64 s[18:19], s[40:41], 7
	v_mov_b32_e32 v9, s19
	v_add_co_u32_e32 v34, vcc, s18, v6
	v_addc_co_u32_e32 v35, vcc, v7, v9, vcc
	v_add_co_u32_e32 v36, vcc, s18, v34
	global_load_dwordx4 v[22:25], v[11:12], off
	v_addc_co_u32_e32 v37, vcc, v35, v9, vcc
	global_load_dwordx4 v[26:29], v[34:35], off offset:512
	global_load_dwordx4 v[30:33], v[36:37], off offset:512
	v_add_co_u32_e32 v34, vcc, s18, v36
	v_addc_co_u32_e32 v35, vcc, v37, v9, vcc
	global_load_dwordx4 v[34:37], v[34:35], off offset:512
	s_mov_b64 s[18:19], 0
	v_add_u32_e32 v9, 0x1080, v16
	v_add_u32_e32 v18, 0x2100, v16
	;; [unrolled: 1-line block ×3, first 2 shown]
	s_waitcnt vmcnt(3)
	ds_write2_b64 v16, v[22:23], v[24:25] offset1:1
	s_waitcnt vmcnt(2)
	ds_write2_b64 v9, v[26:27], v[28:29] offset1:1
	;; [unrolled: 2-line block ×4, first 2 shown]
.LBB28_66:
	s_andn2_b64 vcc, exec, s[18:19]
	s_cbranch_vccnz .LBB28_84
; %bb.67:
	v_lshlrev_b32_e32 v9, 4, v10
	v_sub_co_u32_e32 v6, vcc, v6, v9
	s_ashr_i32 s23, s22, 31
	v_subbrev_co_u32_e32 v7, vcc, 0, v7, vcc
	s_lshl_b64 s[30:31], s[22:23], 4
	v_mov_b32_e32 v22, s31
	v_add_co_u32_e32 v6, vcc, s30, v6
	v_addc_co_u32_e32 v7, vcc, v7, v22, vcc
	v_or_b32_e32 v18, 32, v10
	v_add_co_u32_e32 v6, vcc, -16, v6
	v_addc_co_u32_e32 v7, vcc, -1, v7, vcc
	v_cmp_gt_i32_e64 s[18:19], s22, v18
	s_sub_i32 s23, s22, 32
	v_cndmask_b32_e64 v7, v7, v12, s[18:19]
	v_cndmask_b32_e64 v6, v6, v11, s[18:19]
	v_cmp_le_i32_e32 vcc, s23, v13
	s_and_saveexec_b64 s[34:35], vcc
	s_xor_b64 s[34:35], exec, s[34:35]
; %bb.68:
	v_mov_b32_e32 v22, 0
	v_mov_b32_e32 v23, v22
	v_mov_b32_e32 v24, v22
	v_mov_b32_e32 v25, v22
	ds_write_b128 v16, v[22:25]
; %bb.69:
	s_andn2_saveexec_b64 s[34:35], s[34:35]
	s_cbranch_execz .LBB28_71
; %bb.70:
	global_load_dwordx4 v[22:25], v[6:7], off
	s_waitcnt vmcnt(0)
	ds_write2_b64 v16, v[22:23], v[24:25] offset1:1
.LBB28_71:
	s_or_b64 exec, exec, s[34:35]
	v_add_u32_e32 v22, 8, v13
	v_mul_u32_u24_e32 v18, 0x210, v13
	v_cmp_le_i32_e32 vcc, s23, v22
	s_and_saveexec_b64 s[34:35], vcc
	s_xor_b64 s[34:35], exec, s[34:35]
	s_cbranch_execz .LBB28_73
; %bb.72:
	v_mov_b32_e32 v22, 0
	v_add_u32_e32 v26, v18, v14
	v_mov_b32_e32 v23, v22
	v_mov_b32_e32 v24, v22
	;; [unrolled: 1-line block ×3, first 2 shown]
	ds_write_b128 v26, v[22:25] offset:4224
.LBB28_73:
	s_andn2_saveexec_b64 s[34:35], s[34:35]
	s_cbranch_execz .LBB28_75
; %bb.74:
	s_lshl_b64 s[36:37], s[40:41], 7
	v_mov_b32_e32 v23, s37
	v_add_co_u32_e32 v22, vcc, s36, v6
	v_addc_co_u32_e32 v23, vcc, v7, v23, vcc
	global_load_dwordx4 v[22:25], v[22:23], off
	s_movk_i32 s36, 0x1080
	v_add3_u32 v26, v18, v14, s36
	s_waitcnt vmcnt(0)
	ds_write2_b64 v26, v[22:23], v[24:25] offset1:1
.LBB28_75:
	s_or_b64 exec, exec, s[34:35]
	v_add_u32_e32 v22, 16, v13
	v_cmp_le_i32_e32 vcc, s23, v22
	s_and_saveexec_b64 s[34:35], vcc
	s_xor_b64 s[34:35], exec, s[34:35]
	s_cbranch_execz .LBB28_77
; %bb.76:
	v_mov_b32_e32 v22, 0
	v_add_u32_e32 v26, v18, v14
	v_mov_b32_e32 v23, v22
	v_mov_b32_e32 v24, v22
	;; [unrolled: 1-line block ×3, first 2 shown]
	ds_write_b128 v26, v[22:25] offset:8448
.LBB28_77:
	s_andn2_saveexec_b64 s[34:35], s[34:35]
	s_cbranch_execz .LBB28_79
; %bb.78:
	s_lshl_b64 s[36:37], s[40:41], 8
	v_mov_b32_e32 v23, s37
	v_add_co_u32_e32 v22, vcc, s36, v6
	v_addc_co_u32_e32 v23, vcc, v7, v23, vcc
	global_load_dwordx4 v[22:25], v[22:23], off
	s_movk_i32 s36, 0x2100
	v_add3_u32 v26, v18, v14, s36
	s_waitcnt vmcnt(0)
	ds_write2_b64 v26, v[22:23], v[24:25] offset1:1
.LBB28_79:
	s_or_b64 exec, exec, s[34:35]
	v_add_u32_e32 v22, 24, v13
	v_cmp_le_i32_e32 vcc, s23, v22
	s_and_saveexec_b64 s[34:35], vcc
	s_xor_b64 s[34:35], exec, s[34:35]
	s_cbranch_execz .LBB28_81
; %bb.80:
	v_mov_b32_e32 v22, 0
	v_add_u32_e32 v18, v18, v14
	v_mov_b32_e32 v23, v22
	v_mov_b32_e32 v24, v22
	;; [unrolled: 1-line block ×3, first 2 shown]
	ds_write_b128 v18, v[22:25] offset:12672
                                        ; implicit-def: $vgpr18
.LBB28_81:
	s_andn2_saveexec_b64 s[34:35], s[34:35]
	s_cbranch_execz .LBB28_83
; %bb.82:
	v_mov_b32_e32 v22, 0x180
	v_mad_u64_u32 v[22:23], s[36:37], s40, v22, v[6:7]
	s_mul_i32 s23, s41, 0x180
	v_add_u32_e32 v23, s23, v23
	global_load_dwordx4 v[22:25], v[22:23], off
	s_movk_i32 s23, 0x3180
	v_add3_u32 v18, v18, v14, s23
	s_waitcnt vmcnt(0)
	ds_write2_b64 v18, v[22:23], v[24:25] offset1:1
.LBB28_83:
	s_or_b64 exec, exec, s[34:35]
	v_add_co_u32_e32 v6, vcc, v6, v9
	v_addc_co_u32_e32 v7, vcc, 0, v7, vcc
	v_mov_b32_e32 v9, s31
	v_subrev_co_u32_e32 v6, vcc, s30, v6
	v_subb_co_u32_e32 v7, vcc, v7, v9, vcc
	v_add_co_u32_e32 v6, vcc, 0x210, v6
	v_addc_co_u32_e32 v7, vcc, 0, v7, vcc
	v_cndmask_b32_e64 v12, v7, v12, s[18:19]
	v_cndmask_b32_e64 v11, v6, v11, s[18:19]
.LBB28_84:
	v_mul_u32_u24_e32 v6, 0x840, v13
	v_add_u32_e32 v18, 0x4700, v8
	v_mul_u32_u24_e32 v23, 0x210, v19
	s_lshl_b64 s[18:19], s[40:41], 5
	s_mov_b64 s[30:31], 0
	s_waitcnt lgkmcnt(0)
	s_barrier
                                        ; implicit-def: $vgpr24
	s_and_saveexec_b64 s[34:35], s[8:9]
	s_xor_b64 s[8:9], exec, s[34:35]
	s_cbranch_execz .LBB28_88
; %bb.85:
	v_cmp_eq_u32_e32 vcc, v15, v10
                                        ; implicit-def: $vgpr24
	s_and_saveexec_b64 s[34:35], vcc
	s_xor_b64 s[34:35], exec, s[34:35]
; %bb.86:
	s_mov_b64 s[30:31], exec
	v_add_u32_e32 v24, v14, v17
; %bb.87:
	s_or_b64 exec, exec, s[34:35]
	s_and_b64 s[30:31], s[30:31], exec
.LBB28_88:
	s_or_saveexec_b64 s[8:9], s[8:9]
	v_mov_b32_e32 v8, 0
	v_mov_b32_e32 v9, 0
	v_add_u32_e32 v22, v14, v6
	s_xor_b64 exec, exec, s[8:9]
	s_cbranch_execz .LBB28_90
; %bb.89:
	ds_read_b128 v[6:9], v22
	v_lshl_add_u32 v24, v15, 4, v45
	s_or_b64 s[30:31], s[30:31], exec
	s_waitcnt lgkmcnt(0)
	v_xor_b32_e32 v9, 0x80000000, v9
	ds_write_b64 v24, v[6:7]
.LBB28_90:
	s_or_b64 exec, exec, s[8:9]
	s_and_saveexec_b64 s[8:9], s[30:31]
; %bb.91:
	ds_write_b64 v24, v[8:9] offset:8
; %bb.92:
	s_or_b64 exec, exec, s[8:9]
	s_mov_b64 s[8:9], 0
                                        ; implicit-def: $vgpr24
	s_and_saveexec_b64 s[30:31], s[10:11]
	s_xor_b64 s[10:11], exec, s[30:31]
	s_cbranch_execz .LBB28_96
; %bb.93:
	v_cmp_eq_u32_e32 vcc, v19, v10
                                        ; implicit-def: $vgpr24
	s_and_saveexec_b64 s[30:31], vcc
; %bb.94:
	s_mov_b64 s[8:9], exec
	v_add_u32_e32 v24, v14, v17
; %bb.95:
	s_or_b64 exec, exec, s[30:31]
	s_and_b64 s[8:9], s[8:9], exec
.LBB28_96:
	s_or_saveexec_b64 s[10:11], s[10:11]
	v_mov_b32_e32 v8, 0
	v_mov_b32_e32 v9, 0
	v_add_u32_e32 v19, v14, v23
	s_xor_b64 exec, exec, s[10:11]
	s_cbranch_execz .LBB28_98
; %bb.97:
	ds_read_b128 v[6:9], v19
	v_lshl_add_u32 v23, v15, 4, v45
	v_add_u32_e32 v24, 16, v23
	s_or_b64 s[8:9], s[8:9], exec
	s_waitcnt lgkmcnt(0)
	v_xor_b32_e32 v9, 0x80000000, v9
	ds_write_b64 v23, v[6:7] offset:16
.LBB28_98:
	s_or_b64 exec, exec, s[10:11]
	s_and_saveexec_b64 s[10:11], s[8:9]
; %bb.99:
	ds_write_b64 v24, v[8:9] offset:8
; %bb.100:
	s_or_b64 exec, exec, s[10:11]
	s_mov_b64 s[8:9], 0
                                        ; implicit-def: $vgpr23
	s_and_saveexec_b64 s[10:11], s[12:13]
	s_xor_b64 s[10:11], exec, s[10:11]
	s_cbranch_execz .LBB28_104
; %bb.101:
	v_cmp_eq_u32_e32 vcc, v20, v10
                                        ; implicit-def: $vgpr23
	s_and_saveexec_b64 s[12:13], vcc
; %bb.102:
	s_mov_b64 s[8:9], exec
	v_add_u32_e32 v23, v14, v17
; %bb.103:
	s_or_b64 exec, exec, s[12:13]
	s_and_b64 s[8:9], s[8:9], exec
.LBB28_104:
	s_or_saveexec_b64 s[10:11], s[10:11]
	v_mov_b32_e32 v8, 0
	v_mov_b32_e32 v9, 0
	s_xor_b64 exec, exec, s[10:11]
	s_cbranch_execz .LBB28_106
; %bb.105:
	ds_read_b128 v[6:9], v19 offset:528
	v_lshl_add_u32 v20, v15, 4, v45
	v_add_u32_e32 v23, 32, v20
	s_or_b64 s[8:9], s[8:9], exec
	s_waitcnt lgkmcnt(0)
	v_xor_b32_e32 v9, 0x80000000, v9
	ds_write_b64 v20, v[6:7] offset:32
.LBB28_106:
	s_or_b64 exec, exec, s[10:11]
	s_and_saveexec_b64 s[10:11], s[8:9]
; %bb.107:
	ds_write_b64 v23, v[8:9] offset:8
; %bb.108:
	s_or_b64 exec, exec, s[10:11]
	s_mov_b64 s[8:9], 0
                                        ; implicit-def: $vgpr20
	s_and_saveexec_b64 s[10:11], s[14:15]
	s_xor_b64 s[10:11], exec, s[10:11]
	s_cbranch_execz .LBB28_112
; %bb.109:
	v_cmp_eq_u32_e32 vcc, v21, v10
                                        ; implicit-def: $vgpr20
	s_and_saveexec_b64 s[12:13], vcc
; %bb.110:
	s_mov_b64 s[8:9], exec
	v_add_u32_e32 v20, v14, v17
; %bb.111:
	s_or_b64 exec, exec, s[12:13]
	s_and_b64 s[8:9], s[8:9], exec
.LBB28_112:
	s_or_saveexec_b64 s[10:11], s[10:11]
	v_mov_b32_e32 v8, 0
	v_mov_b32_e32 v9, 0
	s_xor_b64 exec, exec, s[10:11]
	s_cbranch_execz .LBB28_114
; %bb.113:
	ds_read_b128 v[6:9], v19 offset:1056
	v_lshl_add_u32 v17, v15, 4, v45
	v_add_u32_e32 v20, 48, v17
	s_or_b64 s[8:9], s[8:9], exec
	s_waitcnt lgkmcnt(0)
	v_xor_b32_e32 v9, 0x80000000, v9
	ds_write_b64 v17, v[6:7] offset:48
.LBB28_114:
	s_or_b64 exec, exec, s[10:11]
	s_and_saveexec_b64 s[10:11], s[8:9]
; %bb.115:
	ds_write_b64 v20, v[8:9] offset:8
; %bb.116:
	s_or_b64 exec, exec, s[10:11]
	s_waitcnt lgkmcnt(0)
	s_barrier
	ds_read_b128 v[6:9], v22
	ds_read_b128 v[20:23], v18 offset:512
	ds_read_b128 v[24:27], v18 offset:528
	;; [unrolled: 1-line block ×3, first 2 shown]
	ds_read_b128 v[32:35], v19
	ds_read_b128 v[47:50], v18 offset:544
	ds_read_b128 v[51:54], v19 offset:528
	v_cmp_eq_u32_e64 s[8:9], 1, v13
	s_waitcnt lgkmcnt(5)
	v_mul_f64 v[36:37], v[22:23], v[8:9]
	v_mul_f64 v[8:9], v[20:21], v[8:9]
	s_waitcnt lgkmcnt(2)
	v_mul_f64 v[42:43], v[26:27], v[34:35]
	v_mul_f64 v[34:35], v[24:25], v[34:35]
	v_fma_f64 v[19:20], v[20:21], v[6:7], -v[36:37]
	v_fma_f64 v[21:22], v[22:23], v[6:7], v[8:9]
	s_waitcnt lgkmcnt(0)
	v_mul_f64 v[36:37], v[49:50], v[53:54]
	v_mul_f64 v[53:54], v[47:48], v[53:54]
	v_fma_f64 v[23:24], v[24:25], v[32:33], -v[42:43]
	v_fma_f64 v[25:26], v[26:27], v[32:33], v[34:35]
	ds_read_b128 v[6:9], v18 offset:560
	s_waitcnt lgkmcnt(0)
	v_add_f64 v[19:20], v[19:20], 0
	v_add_f64 v[21:22], v[21:22], 0
	v_fma_f64 v[34:35], v[47:48], v[51:52], -v[36:37]
	v_mul_f64 v[32:33], v[8:9], v[30:31]
	v_mul_f64 v[30:31], v[6:7], v[30:31]
	v_fma_f64 v[36:37], v[49:50], v[51:52], v[53:54]
	s_barrier
	v_add_f64 v[19:20], v[19:20], v[23:24]
	v_add_f64 v[21:22], v[21:22], v[25:26]
	v_fma_f64 v[6:7], v[6:7], v[28:29], -v[32:33]
	v_fma_f64 v[8:9], v[8:9], v[28:29], v[30:31]
	v_add_f64 v[19:20], v[19:20], v[34:35]
	v_add_f64 v[21:22], v[21:22], v[36:37]
	;; [unrolled: 1-line block ×4, first 2 shown]
	ds_write_b128 v46, v[6:9]
	s_waitcnt lgkmcnt(0)
	s_barrier
	s_and_saveexec_b64 s[10:11], s[8:9]
	s_cbranch_execz .LBB28_118
; %bb.117:
	ds_read_b128 v[2:5], v45
	ds_read_b128 v[6:9], v45 offset:16
	s_waitcnt lgkmcnt(0)
	v_add_f64 v[19:20], v[6:7], v[2:3]
	v_add_f64 v[21:22], v[8:9], v[4:5]
	ds_read_b128 v[2:5], v45 offset:32
	ds_read_b128 v[6:9], v45 offset:48
	s_waitcnt lgkmcnt(1)
	v_add_f64 v[2:3], v[19:20], v[2:3]
	v_add_f64 v[4:5], v[21:22], v[4:5]
	s_waitcnt lgkmcnt(0)
	v_add_f64 v[19:20], v[2:3], v[6:7]
	v_add_f64 v[21:22], v[4:5], v[8:9]
	ds_read_b128 v[2:5], v45 offset:64
	ds_read_b128 v[6:9], v45 offset:80
	s_waitcnt lgkmcnt(1)
	v_add_f64 v[2:3], v[19:20], v[2:3]
	v_add_f64 v[4:5], v[21:22], v[4:5]
	;; [unrolled: 8-line block ×3, first 2 shown]
	s_waitcnt lgkmcnt(0)
	v_add_f64 v[2:3], v[2:3], v[6:7]
	v_add_f64 v[4:5], v[4:5], v[8:9]
.LBB28_118:
	s_or_b64 exec, exec, s[10:11]
	s_lshl_b64 s[10:11], s[18:19], 4
	v_mov_b32_e32 v6, s11
	v_subrev_co_u32_e64 v42, s[10:11], s10, v11
	s_and_b64 vcc, exec, s[16:17]
	v_subb_co_u32_e64 v43, s[10:11], v12, v6, s[10:11]
	s_barrier
	s_cbranch_vccnz .LBB28_120
; %bb.119:
	s_lshl_b64 s[10:11], s[40:41], 7
	v_mov_b32_e32 v11, s11
	v_add_co_u32_e32 v6, vcc, s10, v42
	v_addc_co_u32_e32 v7, vcc, v43, v11, vcc
	v_add_co_u32_e32 v8, vcc, s10, v6
	global_load_dwordx4 v[19:22], v[42:43], off
	v_addc_co_u32_e32 v9, vcc, v7, v11, vcc
	global_load_dwordx4 v[23:26], v[6:7], off
	global_load_dwordx4 v[27:30], v[8:9], off
	v_add_co_u32_e32 v6, vcc, s10, v8
	v_addc_co_u32_e32 v7, vcc, v9, v11, vcc
	global_load_dwordx4 v[31:34], v[6:7], off
	v_add_u32_e32 v8, 8, v13
	s_movk_i32 s10, 0x210
	v_mov_b32_e32 v6, 0x1080
	v_mov_b32_e32 v12, 0x2100
	v_add_u32_e32 v11, 16, v13
	v_add_u32_e32 v9, 24, v13
	v_mul_u32_u24_e32 v7, 0x210, v8
	v_mad_u32_u24 v17, v8, s10, v14
	v_mad_u32_u24 v6, v8, s10, v6
	;; [unrolled: 1-line block ×3, first 2 shown]
	v_add_u32_e32 v35, v14, v6
	v_add_u32_e32 v36, v14, v12
	s_waitcnt vmcnt(3)
	ds_write2_b64 v16, v[19:20], v[21:22] offset1:1
	s_waitcnt vmcnt(2)
	ds_write2_b64 v17, v[23:24], v[25:26] offset1:1
	;; [unrolled: 2-line block ×4, first 2 shown]
	s_cbranch_execz .LBB28_121
	s_branch .LBB28_138
.LBB28_120:
                                        ; implicit-def: $vgpr8
                                        ; implicit-def: $vgpr7
                                        ; implicit-def: $vgpr11
                                        ; implicit-def: $vgpr6
                                        ; implicit-def: $vgpr9
                                        ; implicit-def: $vgpr12
.LBB28_121:
	v_or_b32_e32 v6, 32, v10
	v_lshlrev_b32_e32 v10, 4, v10
	v_sub_co_u32_e32 v7, vcc, v42, v10
	s_ashr_i32 s23, s22, 31
	v_subbrev_co_u32_e32 v8, vcc, 0, v43, vcc
	s_lshl_b64 s[12:13], s[22:23], 4
	v_mov_b32_e32 v9, s13
	v_add_co_u32_e32 v7, vcc, s12, v7
	v_addc_co_u32_e32 v8, vcc, v8, v9, vcc
	v_add_co_u32_e32 v9, vcc, 0xfffffdf0, v7
	v_addc_co_u32_e32 v7, vcc, -1, v8, vcc
	v_cmp_gt_i32_e64 s[10:11], s22, v6
	v_cndmask_b32_e64 v7, v7, v43, s[10:11]
	v_cndmask_b32_e64 v6, v9, v42, s[10:11]
	v_cmp_le_i32_e32 vcc, s22, v13
	s_and_saveexec_b64 s[14:15], vcc
	s_xor_b64 s[14:15], exec, s[14:15]
; %bb.122:
	v_mov_b32_e32 v19, 0
	v_mov_b32_e32 v20, v19
	;; [unrolled: 1-line block ×4, first 2 shown]
	ds_write_b128 v16, v[19:22]
; %bb.123:
	s_andn2_saveexec_b64 s[14:15], s[14:15]
	s_cbranch_execz .LBB28_125
; %bb.124:
	global_load_dwordx4 v[19:22], v[6:7], off
	s_waitcnt vmcnt(0)
	ds_write2_b64 v16, v[19:20], v[21:22] offset1:1
.LBB28_125:
	s_or_b64 exec, exec, s[14:15]
	v_add_u32_e32 v8, 8, v13
	v_cmp_le_i32_e32 vcc, s22, v8
	s_and_saveexec_b64 s[14:15], vcc
	s_xor_b64 s[14:15], exec, s[14:15]
	s_cbranch_execz .LBB28_127
; %bb.126:
	s_movk_i32 s16, 0x210
	v_mov_b32_e32 v19, 0
	v_mad_u32_u24 v9, v8, s16, v14
	v_mov_b32_e32 v20, v19
	v_mov_b32_e32 v21, v19
	;; [unrolled: 1-line block ×3, first 2 shown]
	ds_write_b128 v9, v[19:22]
.LBB28_127:
	s_andn2_saveexec_b64 s[14:15], s[14:15]
	s_cbranch_execz .LBB28_129
; %bb.128:
	s_lshl_b64 s[16:17], s[40:41], 7
	v_mov_b32_e32 v9, s17
	v_add_co_u32_e32 v11, vcc, s16, v6
	v_addc_co_u32_e32 v12, vcc, v7, v9, vcc
	global_load_dwordx4 v[19:22], v[11:12], off
	s_movk_i32 s16, 0x210
	v_mad_u32_u24 v9, v8, s16, v14
	s_waitcnt vmcnt(0)
	ds_write2_b64 v9, v[19:20], v[21:22] offset1:1
.LBB28_129:
	s_or_b64 exec, exec, s[14:15]
	v_add_u32_e32 v11, 16, v13
	v_cmp_le_i32_e32 vcc, s22, v11
	s_and_saveexec_b64 s[14:15], vcc
	s_xor_b64 s[14:15], exec, s[14:15]
	s_cbranch_execz .LBB28_131
; %bb.130:
	s_movk_i32 s16, 0x210
	v_mov_b32_e32 v19, 0
	v_mad_u32_u24 v9, v11, s16, v14
	v_mov_b32_e32 v20, v19
	v_mov_b32_e32 v21, v19
	v_mov_b32_e32 v22, v19
	ds_write_b128 v9, v[19:22]
.LBB28_131:
	s_andn2_saveexec_b64 s[14:15], s[14:15]
	s_cbranch_execz .LBB28_133
; %bb.132:
	s_lshl_b64 s[16:17], s[40:41], 8
	v_mov_b32_e32 v9, s17
	v_add_co_u32_e32 v19, vcc, s16, v6
	v_addc_co_u32_e32 v20, vcc, v7, v9, vcc
	global_load_dwordx4 v[19:22], v[19:20], off
	s_movk_i32 s16, 0x210
	v_mad_u32_u24 v9, v11, s16, v14
	s_waitcnt vmcnt(0)
	ds_write2_b64 v9, v[19:20], v[21:22] offset1:1
.LBB28_133:
	s_or_b64 exec, exec, s[14:15]
	v_add_u32_e32 v9, 24, v13
	v_cmp_le_i32_e32 vcc, s22, v9
                                        ; implicit-def: $vgpr12
	s_and_saveexec_b64 s[14:15], vcc
	s_xor_b64 s[14:15], exec, s[14:15]
	s_cbranch_execz .LBB28_135
; %bb.134:
	s_movk_i32 s16, 0x210
	v_mov_b32_e32 v19, 0
	v_mul_u32_u24_e32 v12, 0x210, v9
	v_mad_u32_u24 v17, v9, s16, v14
	v_mov_b32_e32 v20, v19
	v_mov_b32_e32 v21, v19
	;; [unrolled: 1-line block ×3, first 2 shown]
	ds_write_b128 v17, v[19:22]
.LBB28_135:
	s_andn2_saveexec_b64 s[14:15], s[14:15]
	s_cbranch_execz .LBB28_137
; %bb.136:
	v_mov_b32_e32 v12, 0x180
	v_mad_u64_u32 v[19:20], s[16:17], s40, v12, v[6:7]
	s_mul_i32 s16, s41, 0x180
	v_mul_u32_u24_e32 v12, 0x210, v9
	v_add_u32_e32 v20, s16, v20
	global_load_dwordx4 v[19:22], v[19:20], off
	s_movk_i32 s16, 0x210
	v_mad_u32_u24 v17, v9, s16, v14
	s_waitcnt vmcnt(0)
	ds_write2_b64 v17, v[19:20], v[21:22] offset1:1
.LBB28_137:
	s_or_b64 exec, exec, s[14:15]
	v_add_co_u32_e32 v6, vcc, v6, v10
	v_addc_co_u32_e32 v7, vcc, 0, v7, vcc
	v_mov_b32_e32 v10, s13
	v_subrev_co_u32_e32 v6, vcc, s12, v6
	v_subb_co_u32_e32 v7, vcc, v7, v10, vcc
	v_add_co_u32_e32 v6, vcc, 0x210, v6
	s_movk_i32 s12, 0x210
	v_addc_co_u32_e32 v7, vcc, 0, v7, vcc
	v_cndmask_b32_e64 v42, v6, v42, s[10:11]
	v_mov_b32_e32 v6, 0x1080
	v_cndmask_b32_e64 v43, v7, v43, s[10:11]
	v_mul_u32_u24_e32 v7, 0x210, v8
	v_mad_u32_u24 v6, v8, s12, v6
.LBB28_138:
	v_lshlrev_b32_e32 v10, 4, v13
	s_waitcnt lgkmcnt(0)
	s_barrier
	ds_read_b128 v[19:22], v10 offset:18176
	ds_read_b128 v[23:26], v16
	v_add_u32_e32 v7, v14, v7
	v_lshlrev_b32_e32 v8, 4, v8
	v_lshlrev_b32_e32 v10, 4, v11
	ds_read_b128 v[27:30], v8 offset:18176
	ds_read_b128 v[31:34], v7
	s_waitcnt lgkmcnt(2)
	v_mul_f64 v[7:8], v[21:22], v[25:26]
	v_add_u32_e32 v6, v14, v6
	ds_read_b128 v[47:50], v10 offset:18176
	ds_read_b128 v[51:54], v6
	v_mul_f64 v[10:11], v[19:20], v[25:26]
	s_waitcnt lgkmcnt(2)
	v_mul_f64 v[16:17], v[29:30], v[33:34]
	v_mul_f64 v[25:26], v[27:28], v[33:34]
	v_fma_f64 v[6:7], v[19:20], v[23:24], -v[7:8]
	s_waitcnt lgkmcnt(0)
	v_mul_f64 v[19:20], v[49:50], v[53:54]
	v_fma_f64 v[21:22], v[21:22], v[23:24], v[10:11]
	v_fma_f64 v[16:17], v[27:28], v[31:32], -v[16:17]
	v_fma_f64 v[25:26], v[29:30], v[31:32], v[25:26]
	v_mul_f64 v[27:28], v[47:48], v[53:54]
	v_add_u32_e32 v10, v14, v12
	v_add_f64 v[23:24], v[6:7], 0
	v_lshlrev_b32_e32 v6, 4, v9
	ds_read_b128 v[6:9], v6 offset:18176
	ds_read2_b64 v[10:13], v10 offset1:1
	v_add_f64 v[21:22], v[21:22], 0
	v_fma_f64 v[19:20], v[47:48], v[51:52], -v[19:20]
	v_lshl_add_u32 v14, v15, 4, v45
	v_fma_f64 v[27:28], v[49:50], v[51:52], v[27:28]
	v_add_f64 v[16:17], v[23:24], v[16:17]
	s_waitcnt lgkmcnt(0)
	v_mul_f64 v[23:24], v[8:9], v[12:13]
	v_mul_f64 v[12:13], v[6:7], v[12:13]
	v_add_f64 v[21:22], v[21:22], v[25:26]
	v_add_f64 v[16:17], v[16:17], v[19:20]
	v_fma_f64 v[34:35], v[6:7], v[10:11], -v[23:24]
	v_fma_f64 v[36:37], v[8:9], v[10:11], v[12:13]
	v_add_f64 v[19:20], v[21:22], v[27:28]
	ds_read_b128 v[30:33], v18 offset:512
	ds_read_b128 v[22:25], v18 offset:528
	;; [unrolled: 1-line block ×4, first 2 shown]
	v_add_f64 v[47:48], v[16:17], v[34:35]
	v_add_f64 v[49:50], v[19:20], v[36:37]
	ds_read_b128 v[34:37], v14
	ds_read_b128 v[26:29], v14 offset:16
	ds_read_b128 v[18:21], v14 offset:32
	;; [unrolled: 1-line block ×3, first 2 shown]
	s_waitcnt lgkmcnt(0)
	s_barrier
	ds_write_b128 v46, v[47:50]
	s_waitcnt lgkmcnt(0)
	s_barrier
	s_and_saveexec_b64 s[10:11], s[8:9]
	s_cbranch_execz .LBB28_140
; %bb.139:
	ds_read_b128 v[47:50], v45
	ds_read_b128 v[51:54], v45 offset:16
	s_waitcnt lgkmcnt(1)
	v_add_f64 v[2:3], v[2:3], v[47:48]
	v_add_f64 v[4:5], v[4:5], v[49:50]
	s_waitcnt lgkmcnt(0)
	v_add_f64 v[51:52], v[2:3], v[51:52]
	v_add_f64 v[53:54], v[4:5], v[53:54]
	ds_read_b128 v[2:5], v45 offset:32
	ds_read_b128 v[47:50], v45 offset:48
	s_waitcnt lgkmcnt(1)
	v_add_f64 v[2:3], v[51:52], v[2:3]
	v_add_f64 v[4:5], v[53:54], v[4:5]
	s_waitcnt lgkmcnt(0)
	v_add_f64 v[51:52], v[2:3], v[47:48]
	v_add_f64 v[53:54], v[4:5], v[49:50]
	ds_read_b128 v[2:5], v45 offset:64
	;; [unrolled: 8-line block ×3, first 2 shown]
	ds_read_b128 v[47:50], v45 offset:112
	s_waitcnt lgkmcnt(1)
	v_add_f64 v[2:3], v[51:52], v[2:3]
	v_add_f64 v[4:5], v[53:54], v[4:5]
	s_waitcnt lgkmcnt(0)
	v_add_f64 v[2:3], v[2:3], v[47:48]
	v_add_f64 v[4:5], v[4:5], v[49:50]
.LBB28_140:
	s_or_b64 exec, exec, s[10:11]
	v_mul_f64 v[47:48], v[36:37], v[32:33]
	v_mul_f64 v[36:37], v[36:37], v[30:31]
	;; [unrolled: 1-line block ×4, first 2 shown]
	s_barrier
	v_fma_f64 v[30:31], v[34:35], v[30:31], v[47:48]
	v_fma_f64 v[32:33], v[34:35], v[32:33], -v[36:37]
	v_mul_f64 v[34:35], v[20:21], v[12:13]
	v_mul_f64 v[20:21], v[20:21], v[10:11]
	v_fma_f64 v[22:23], v[26:27], v[22:23], v[49:50]
	v_fma_f64 v[24:25], v[26:27], v[24:25], -v[28:29]
	v_add_f64 v[26:27], v[30:31], 0
	v_add_f64 v[28:29], v[32:33], 0
	v_mul_f64 v[30:31], v[16:17], v[8:9]
	v_mul_f64 v[16:17], v[16:17], v[6:7]
	v_fma_f64 v[10:11], v[18:19], v[10:11], v[34:35]
	v_fma_f64 v[12:13], v[18:19], v[12:13], -v[20:21]
	v_add_f64 v[18:19], v[26:27], v[22:23]
	v_add_f64 v[20:21], v[28:29], v[24:25]
	v_fma_f64 v[6:7], v[14:15], v[6:7], v[30:31]
	v_fma_f64 v[8:9], v[14:15], v[8:9], -v[16:17]
	v_add_f64 v[10:11], v[18:19], v[10:11]
	v_add_f64 v[12:13], v[20:21], v[12:13]
	;; [unrolled: 1-line block ×4, first 2 shown]
	ds_write_b128 v46, v[6:9]
	s_waitcnt lgkmcnt(0)
	s_barrier
	s_and_saveexec_b64 s[8:9], s[20:21]
	s_cbranch_execz .LBB28_142
; %bb.141:
	ds_read_b128 v[6:9], v45
	ds_read_b128 v[10:13], v45 offset:16
	s_waitcnt lgkmcnt(1)
	v_add_f64 v[2:3], v[2:3], v[6:7]
	v_add_f64 v[4:5], v[4:5], v[8:9]
	s_waitcnt lgkmcnt(0)
	v_add_f64 v[10:11], v[2:3], v[10:11]
	v_add_f64 v[12:13], v[4:5], v[12:13]
	ds_read_b128 v[2:5], v45 offset:32
	ds_read_b128 v[6:9], v45 offset:48
	s_waitcnt lgkmcnt(1)
	v_add_f64 v[2:3], v[10:11], v[2:3]
	v_add_f64 v[4:5], v[12:13], v[4:5]
	s_waitcnt lgkmcnt(0)
	v_add_f64 v[10:11], v[2:3], v[6:7]
	v_add_f64 v[12:13], v[4:5], v[8:9]
	ds_read_b128 v[2:5], v45 offset:64
	;; [unrolled: 8-line block ×3, first 2 shown]
	ds_read_b128 v[6:9], v45 offset:112
	s_waitcnt lgkmcnt(1)
	v_add_f64 v[2:3], v[10:11], v[2:3]
	v_add_f64 v[4:5], v[12:13], v[4:5]
	s_waitcnt lgkmcnt(0)
	v_add_f64 v[2:3], v[2:3], v[6:7]
	v_add_f64 v[4:5], v[4:5], v[8:9]
.LBB28_142:
	s_or_b64 exec, exec, s[8:9]
	s_load_dwordx2 s[4:5], s[4:5], 0x78
	s_mul_hi_u32 s8, s33, s7
	s_mul_i32 s44, s44, s7
	s_add_i32 s8, s8, s44
	s_mul_i32 s7, s33, s7
	s_mul_i32 s8, s8, s52
	s_mul_hi_u32 s9, s7, s52
	s_add_i32 s9, s9, s8
	s_mul_i32 s8, s7, s52
	s_lshl_b64 s[8:9], s[8:9], 4
	s_waitcnt lgkmcnt(0)
	s_add_u32 s7, s4, s8
	s_mul_i32 s4, s33, s6
	s_addc_u32 s8, s5, s9
	s_ashr_i32 s5, s4, 31
	s_lshl_b64 s[4:5], s[4:5], 4
	s_add_u32 s7, s7, s4
	v_cmp_le_i32_e32 vcc, s22, v0
	s_addc_u32 s14, s8, s5
	s_and_b64 vcc, s[28:29], vcc
	s_cmp_lt_i32 s6, 1
	v_lshlrev_b32_e32 v148, 4, v0
	s_barrier
	s_cbranch_scc1 .LBB28_149
; %bb.143:
	s_mul_i32 s4, s48, s25
	s_mul_hi_u32 s5, s48, s24
	s_add_i32 s4, s5, s4
	s_mul_i32 s5, s49, s24
	s_add_i32 s5, s4, s5
	s_mul_i32 s4, s48, s24
	s_lshl_b64 s[4:5], s[4:5], 4
	v_mov_b32_e32 v6, s5
	v_subrev_co_u32_e64 v149, s[4:5], s4, v38
	v_lshlrev_b32_e32 v10, 2, v1
	v_subb_co_u32_e64 v150, s[4:5], v39, v6, s[4:5]
	v_mad_u64_u32 v[6:7], s[4:5], s40, v10, 0
	v_mov_b32_e32 v8, s27
	v_subrev_co_u32_e64 v11, s[4:5], s26, v42
	v_subb_co_u32_e64 v13, s[4:5], v43, v8, s[4:5]
	v_mad_u64_u32 v[7:8], s[4:5], s41, v10, v[7:8]
	v_sub_co_u32_e64 v8, s[4:5], v11, v40
	v_lshlrev_b64 v[6:7], 4, v[6:7]
	v_subb_co_u32_e64 v10, s[4:5], v13, v41, s[4:5]
	v_add_co_u32_e64 v6, s[4:5], v8, v6
	v_addc_co_u32_e64 v7, s[4:5], v10, v7, s[4:5]
	s_ashr_i32 s23, s22, 31
	s_lshl_b64 s[4:5], s[22:23], 4
	v_mov_b32_e32 v8, s5
	v_add_co_u32_e64 v10, s[4:5], s4, v6
	v_addc_co_u32_e64 v8, s[4:5], v7, v8, s[4:5]
	s_movk_i32 s4, 0xfdf0
	v_add_co_u32_e64 v10, s[4:5], s4, v10
	v_addc_co_u32_e64 v8, s[4:5], -1, v8, s[4:5]
	v_add_co_u32_e64 v6, s[4:5], v6, v148
	v_addc_co_u32_e64 v7, s[4:5], 0, v7, s[4:5]
	s_movk_i32 s4, 0xfe00
	v_add_co_u32_e64 v6, s[4:5], s4, v6
	v_addc_co_u32_e64 v7, s[4:5], -1, v7, s[4:5]
	v_cndmask_b32_e32 v11, v7, v8, vcc
	v_and_b32_e32 v7, 48, v0
	v_lshrrev_b32_e32 v9, 4, v44
	v_and_b32_e32 v12, 15, v0
	v_cndmask_b32_e32 v10, v6, v10, vcc
	v_mov_b32_e32 v6, 0x4300
	s_movk_i32 s8, 0x430
	v_lshlrev_b32_e32 v7, 4, v7
	v_lshl_add_u32 v152, v1, 6, v6
	v_lshlrev_b32_e32 v6, 6, v9
	v_mad_u32_u24 v156, v12, s8, v7
	v_or_b32_e32 v7, 0xf0, v148
	v_mad_u32_u24 v155, v12, s8, v6
	v_mad_u32_u24 v157, v12, s8, v7
	s_mul_i32 s8, s41, 0xd0
	s_mul_hi_u32 s9, s40, 0xd0
	s_movk_i32 s4, 0x10c0
	v_mul_i32_i24_e32 v6, 0xffffffd0, v9
	s_lshl_b64 s[10:11], s[40:41], 4
	s_add_i32 s15, s9, s8
	v_mov_b32_e32 v145, 0
	v_add_u32_e32 v151, 0x4300, v148
	v_add_u32_e32 v153, 0x4700, v148
	v_mad_u32_u24 v154, v1, s4, v148
	v_cmp_gt_u32_e64 s[4:5], 64, v44
	s_mul_i32 s16, s40, 0xd0
	s_mov_b32 s17, 0
	v_mov_b32_e32 v158, s11
	v_mov_b32_e32 v159, s15
	v_add_u32_e32 v160, v155, v6
	s_branch .LBB28_145
.LBB28_144:                             ;   in Loop: Header=BB28_145 Depth=1
	s_or_b64 exec, exec, s[12:13]
	v_mul_f64 v[86:87], v[8:9], v[36:37]
	v_mul_f64 v[36:37], v[6:7], v[36:37]
	;; [unrolled: 1-line block ×4, first 2 shown]
	s_add_i32 s17, s17, 64
	s_add_i32 s6, s6, -1
	s_cmp_eq_u32 s6, 0
	v_fma_f64 v[6:7], v[6:7], v[34:35], -v[86:87]
	v_fma_f64 v[8:9], v[8:9], v[34:35], v[36:37]
	v_mul_f64 v[34:35], v[16:17], v[28:29]
	v_mul_f64 v[28:29], v[14:15], v[28:29]
	v_fma_f64 v[18:19], v[18:19], v[30:31], -v[88:89]
	v_fma_f64 v[20:21], v[20:21], v[30:31], v[32:33]
	s_waitcnt vmcnt(0)
	s_barrier
	v_add_f64 v[2:3], v[2:3], v[6:7]
	v_add_f64 v[4:5], v[4:5], v[8:9]
	v_mul_f64 v[6:7], v[12:13], v[24:25]
	v_mul_f64 v[8:9], v[10:11], v[24:25]
	v_fma_f64 v[14:15], v[14:15], v[26:27], -v[34:35]
	v_fma_f64 v[16:17], v[16:17], v[26:27], v[28:29]
	v_add_f64 v[2:3], v[2:3], v[18:19]
	v_add_f64 v[4:5], v[4:5], v[20:21]
	v_mul_f64 v[18:19], v[48:49], v[84:85]
	v_mul_f64 v[20:21], v[46:47], v[84:85]
	v_fma_f64 v[6:7], v[10:11], v[22:23], -v[6:7]
	v_fma_f64 v[8:9], v[12:13], v[22:23], v[8:9]
	v_mul_f64 v[10:11], v[52:53], v[80:81]
	v_mul_f64 v[12:13], v[50:51], v[80:81]
	v_add_f64 v[2:3], v[2:3], v[14:15]
	v_add_f64 v[4:5], v[4:5], v[16:17]
	v_fma_f64 v[14:15], v[46:47], v[82:83], -v[18:19]
	v_fma_f64 v[16:17], v[48:49], v[82:83], v[20:21]
	v_fma_f64 v[10:11], v[50:51], v[78:79], -v[10:11]
	v_fma_f64 v[12:13], v[52:53], v[78:79], v[12:13]
	v_add_f64 v[2:3], v[2:3], v[6:7]
	v_add_f64 v[4:5], v[4:5], v[8:9]
	v_mul_f64 v[6:7], v[44:45], v[76:77]
	v_mul_f64 v[8:9], v[42:43], v[76:77]
	v_add_f64 v[2:3], v[2:3], v[14:15]
	v_add_f64 v[4:5], v[4:5], v[16:17]
	v_mul_f64 v[14:15], v[40:41], v[72:73]
	v_mul_f64 v[16:17], v[38:39], v[72:73]
	v_fma_f64 v[6:7], v[42:43], v[74:75], -v[6:7]
	v_fma_f64 v[8:9], v[44:45], v[74:75], v[8:9]
	v_add_f64 v[2:3], v[2:3], v[10:11]
	v_add_f64 v[4:5], v[4:5], v[12:13]
	v_mul_f64 v[10:11], v[64:65], v[124:125]
	v_mul_f64 v[12:13], v[62:63], v[124:125]
	v_fma_f64 v[14:15], v[38:39], v[70:71], -v[14:15]
	v_fma_f64 v[16:17], v[40:41], v[70:71], v[16:17]
	;; [unrolled: 6-line block ×9, first 2 shown]
	v_add_f64 v[2:3], v[2:3], v[14:15]
	v_add_f64 v[4:5], v[4:5], v[16:17]
	v_fma_f64 v[6:7], v[106:107], v[126:127], -v[6:7]
	v_fma_f64 v[8:9], v[108:109], v[126:127], v[8:9]
	v_add_f64 v[2:3], v[2:3], v[10:11]
	v_add_f64 v[4:5], v[4:5], v[12:13]
	v_add_co_u32_e64 v10, s[8:9], s16, v146
	v_add_f64 v[2:3], v[2:3], v[6:7]
	v_add_f64 v[4:5], v[4:5], v[8:9]
	v_mov_b32_e32 v6, s15
	v_addc_co_u32_e64 v11, s[8:9], v147, v6, s[8:9]
	s_cbranch_scc1 .LBB28_149
.LBB28_145:                             ; =>This Inner Loop Header: Depth=1
	s_and_saveexec_b64 s[12:13], s[2:3]
	s_cbranch_execz .LBB28_147
; %bb.146:                              ;   in Loop: Header=BB28_145 Depth=1
	s_mul_i32 s8, s49, s17
	s_mul_hi_u32 s9, s48, s17
	s_add_i32 s9, s9, s8
	s_mul_i32 s8, s48, s17
	s_lshl_b64 s[8:9], s[8:9], 4
	v_mov_b32_e32 v7, s9
	v_add_co_u32_e64 v6, s[8:9], s8, v149
	v_addc_co_u32_e64 v7, s[8:9], v150, v7, s[8:9]
	global_load_dwordx4 v[6:9], v[6:7], off
	s_waitcnt vmcnt(0)
	ds_write2_b64 v151, v[6:7], v[8:9] offset1:1
.LBB28_147:                             ;   in Loop: Header=BB28_145 Depth=1
	s_or_b64 exec, exec, s[12:13]
	s_waitcnt lgkmcnt(0)
	s_barrier
	global_load_dwordx4 v[6:9], v[10:11], off
	v_add_co_u32_e64 v10, s[8:9], s10, v10
	v_addc_co_u32_e64 v11, s[8:9], v11, v158, s[8:9]
	v_add_co_u32_e64 v12, s[8:9], s10, v10
	v_addc_co_u32_e64 v13, s[8:9], v11, v158, s[8:9]
	v_add_co_u32_e64 v42, s[8:9], s10, v12
	global_load_dwordx4 v[18:21], v[10:11], off
	global_load_dwordx4 v[14:17], v[12:13], off
	v_addc_co_u32_e64 v43, s[8:9], v13, v158, s[8:9]
	global_load_dwordx4 v[10:13], v[42:43], off
	ds_read_b128 v[38:41], v153
	ds_read_b128 v[34:37], v152
	ds_read_b128 v[30:33], v152 offset:16
	ds_read_b128 v[26:29], v152 offset:32
	;; [unrolled: 1-line block ×3, first 2 shown]
	v_add_co_u32_e64 v54, s[8:9], s16, v42
	v_addc_co_u32_e64 v55, s[8:9], v43, v159, s[8:9]
	v_add_co_u32_e64 v56, s[8:9], s10, v54
	v_addc_co_u32_e64 v57, s[8:9], v55, v158, s[8:9]
	s_waitcnt vmcnt(3) lgkmcnt(4)
	v_mul_f64 v[42:43], v[8:9], v[40:41]
	v_mul_f64 v[44:45], v[8:9], v[38:39]
	v_fma_f64 v[42:43], v[6:7], v[38:39], v[42:43]
	v_fma_f64 v[44:45], v[6:7], v[40:41], -v[44:45]
	s_waitcnt vmcnt(2)
	v_mul_f64 v[46:47], v[20:21], v[40:41]
	v_mul_f64 v[48:49], v[20:21], v[38:39]
	s_waitcnt vmcnt(1)
	v_mul_f64 v[50:51], v[16:17], v[40:41]
	v_mul_f64 v[52:53], v[16:17], v[38:39]
	;; [unrolled: 3-line block ×3, first 2 shown]
	v_fma_f64 v[46:47], v[18:19], v[38:39], v[46:47]
	v_fma_f64 v[48:49], v[18:19], v[40:41], -v[48:49]
	v_fma_f64 v[50:51], v[14:15], v[38:39], v[50:51]
	v_fma_f64 v[52:53], v[14:15], v[40:41], -v[52:53]
	;; [unrolled: 2-line block ×3, first 2 shown]
	v_add_co_u32_e64 v58, s[8:9], s10, v56
	v_addc_co_u32_e64 v59, s[8:9], v57, v158, s[8:9]
	ds_write_b128 v154, v[42:45]
	ds_write_b128 v154, v[46:49] offset:1072
	ds_write_b128 v154, v[50:53] offset:2144
	;; [unrolled: 1-line block ×3, first 2 shown]
	s_waitcnt lgkmcnt(0)
	s_barrier
	ds_read_b128 v[126:129], v155
	ds_read_b128 v[130:133], v155 offset:16
	ds_read_b128 v[90:93], v155 offset:32
	;; [unrolled: 1-line block ×3, first 2 shown]
	s_waitcnt lgkmcnt(0)
	s_barrier
	global_load_dwordx4 v[46:49], v[54:55], off
	global_load_dwordx4 v[50:53], v[56:57], off
	;; [unrolled: 1-line block ×3, first 2 shown]
	v_add_co_u32_e64 v54, s[8:9], s10, v58
	v_addc_co_u32_e64 v55, s[8:9], v59, v158, s[8:9]
	global_load_dwordx4 v[38:41], v[54:55], off
	v_add_co_u32_e64 v94, s[8:9], s16, v54
	v_addc_co_u32_e64 v95, s[8:9], v55, v159, s[8:9]
	ds_read_b128 v[54:57], v153
	v_add_co_u32_e64 v96, s[8:9], s10, v94
	v_addc_co_u32_e64 v97, s[8:9], v95, v158, s[8:9]
	v_add_co_u32_e64 v98, s[8:9], s10, v96
	v_addc_co_u32_e64 v99, s[8:9], v97, v158, s[8:9]
	s_waitcnt vmcnt(3) lgkmcnt(0)
	v_mul_f64 v[58:59], v[48:49], v[56:57]
	v_mul_f64 v[60:61], v[48:49], v[54:55]
	s_waitcnt vmcnt(2)
	v_mul_f64 v[62:63], v[52:53], v[56:57]
	v_mul_f64 v[64:65], v[52:53], v[54:55]
	s_waitcnt vmcnt(1)
	;; [unrolled: 3-line block ×3, first 2 shown]
	v_mul_f64 v[70:71], v[40:41], v[56:57]
	v_mul_f64 v[72:73], v[40:41], v[54:55]
	v_fma_f64 v[58:59], v[46:47], v[54:55], v[58:59]
	v_fma_f64 v[60:61], v[46:47], v[56:57], -v[60:61]
	v_fma_f64 v[62:63], v[50:51], v[54:55], v[62:63]
	v_fma_f64 v[64:65], v[50:51], v[56:57], -v[64:65]
	;; [unrolled: 2-line block ×4, first 2 shown]
	ds_read_b128 v[82:85], v152 offset:256
	ds_read_b128 v[78:81], v152 offset:272
	;; [unrolled: 1-line block ×4, first 2 shown]
	ds_write_b128 v154, v[58:61]
	ds_write_b128 v154, v[62:65] offset:1072
	ds_write_b128 v154, v[66:69] offset:2144
	;; [unrolled: 1-line block ×3, first 2 shown]
	s_waitcnt lgkmcnt(0)
	s_barrier
	ds_read_b128 v[161:164], v155
	ds_read_b128 v[165:168], v155 offset:16
	ds_read_b128 v[169:172], v155 offset:32
	;; [unrolled: 1-line block ×3, first 2 shown]
	s_waitcnt lgkmcnt(0)
	s_barrier
	global_load_dwordx4 v[62:65], v[94:95], off
	global_load_dwordx4 v[58:61], v[96:97], off
	;; [unrolled: 1-line block ×3, first 2 shown]
	v_add_co_u32_e64 v94, s[8:9], s10, v98
	v_addc_co_u32_e64 v95, s[8:9], v99, v158, s[8:9]
	global_load_dwordx4 v[66:69], v[94:95], off
	v_add_co_u32_e64 v134, s[8:9], s16, v94
	v_addc_co_u32_e64 v135, s[8:9], v95, v159, s[8:9]
	ds_read_b128 v[94:97], v153
	v_add_co_u32_e64 v136, s[8:9], s10, v134
	v_addc_co_u32_e64 v137, s[8:9], v135, v158, s[8:9]
	v_add_co_u32_e64 v138, s[8:9], s10, v136
	v_addc_co_u32_e64 v139, s[8:9], v137, v158, s[8:9]
	;; [unrolled: 2-line block ×3, first 2 shown]
	v_add_f64 v[213:214], v[161:162], 0
	v_add_f64 v[165:166], v[213:214], v[165:166]
	;; [unrolled: 1-line block ×3, first 2 shown]
	s_waitcnt vmcnt(3) lgkmcnt(0)
	v_mul_f64 v[98:99], v[64:65], v[96:97]
	v_mul_f64 v[100:101], v[64:65], v[94:95]
	s_waitcnt vmcnt(2)
	v_mul_f64 v[102:103], v[60:61], v[96:97]
	v_mul_f64 v[104:105], v[60:61], v[94:95]
	s_waitcnt vmcnt(1)
	;; [unrolled: 3-line block ×3, first 2 shown]
	v_mul_f64 v[110:111], v[68:69], v[96:97]
	v_mul_f64 v[112:113], v[68:69], v[94:95]
	v_fma_f64 v[98:99], v[62:63], v[94:95], v[98:99]
	v_fma_f64 v[100:101], v[62:63], v[96:97], -v[100:101]
	v_fma_f64 v[102:103], v[58:59], v[94:95], v[102:103]
	v_fma_f64 v[104:105], v[58:59], v[96:97], -v[104:105]
	;; [unrolled: 2-line block ×4, first 2 shown]
	ds_read_b128 v[122:125], v152 offset:512
	ds_read_b128 v[118:121], v152 offset:528
	;; [unrolled: 1-line block ×4, first 2 shown]
	ds_write_b128 v154, v[98:101]
	ds_write_b128 v154, v[102:105] offset:1072
	ds_write_b128 v154, v[106:109] offset:2144
	;; [unrolled: 1-line block ×3, first 2 shown]
	s_waitcnt lgkmcnt(0)
	s_barrier
	ds_read_b128 v[177:180], v155
	ds_read_b128 v[181:184], v155 offset:16
	ds_read_b128 v[185:188], v155 offset:32
	ds_read_b128 v[189:192], v155 offset:48
	s_waitcnt lgkmcnt(0)
	s_barrier
	global_load_dwordx4 v[98:101], v[134:135], off
	global_load_dwordx4 v[94:97], v[136:137], off
	;; [unrolled: 1-line block ×4, first 2 shown]
	v_add_f64 v[134:135], v[126:127], 0
	v_add_f64 v[136:137], v[128:129], 0
	ds_read_b128 v[126:129], v153
	v_add_f64 v[177:178], v[177:178], 0
	v_add_f64 v[179:180], v[179:180], 0
	;; [unrolled: 1-line block ×9, first 2 shown]
	s_waitcnt vmcnt(3) lgkmcnt(0)
	v_mul_f64 v[130:131], v[100:101], v[128:129]
	v_mul_f64 v[132:133], v[100:101], v[126:127]
	s_waitcnt vmcnt(2)
	v_mul_f64 v[134:135], v[96:97], v[128:129]
	v_mul_f64 v[136:137], v[96:97], v[126:127]
	s_waitcnt vmcnt(1)
	;; [unrolled: 3-line block ×3, first 2 shown]
	v_mul_f64 v[161:162], v[108:109], v[128:129]
	v_mul_f64 v[207:208], v[108:109], v[126:127]
	v_fma_f64 v[193:194], v[98:99], v[126:127], v[130:131]
	v_fma_f64 v[195:196], v[98:99], v[128:129], -v[132:133]
	v_fma_f64 v[197:198], v[94:95], v[126:127], v[134:135]
	v_fma_f64 v[199:200], v[94:95], v[128:129], -v[136:137]
	;; [unrolled: 2-line block ×4, first 2 shown]
	ds_read_b128 v[138:141], v152 offset:768
	ds_read_b128 v[134:137], v152 offset:784
	;; [unrolled: 1-line block ×4, first 2 shown]
	ds_write_b128 v154, v[193:196]
	ds_write_b128 v154, v[197:200] offset:1072
	ds_write_b128 v154, v[201:204] offset:2144
	;; [unrolled: 1-line block ×3, first 2 shown]
	s_waitcnt lgkmcnt(0)
	s_barrier
	ds_read_b128 v[193:196], v155
	v_add_f64 v[197:198], v[163:164], 0
	ds_read_b128 v[161:164], v155 offset:16
	v_add_f64 v[199:200], v[209:210], v[90:91]
	ds_read_b128 v[90:93], v155 offset:32
	s_waitcnt lgkmcnt(2)
	v_add_f64 v[193:194], v[193:194], 0
	v_add_f64 v[195:196], v[195:196], 0
	v_add_f64 v[167:168], v[197:198], v[167:168]
	v_add_f64 v[86:87], v[199:200], v[86:87]
	s_waitcnt lgkmcnt(1)
	v_add_f64 v[183:184], v[193:194], v[161:162]
	v_add_f64 v[193:194], v[195:196], v[163:164]
	ds_read_b128 v[161:164], v155 offset:48
	s_waitcnt lgkmcnt(0)
	v_add_f64 v[167:168], v[167:168], v[171:172]
	v_add_f64 v[171:172], v[179:180], v[187:188]
	s_barrier
	v_add_f64 v[177:178], v[183:184], v[90:91]
	v_add_f64 v[179:180], v[193:194], v[92:93]
	;; [unrolled: 1-line block ×8, first 2 shown]
	ds_write_b128 v160, v[86:89]
	ds_write_b128 v160, v[90:93] offset:256
	ds_write_b128 v160, v[165:168] offset:512
	;; [unrolled: 1-line block ×3, first 2 shown]
	s_waitcnt lgkmcnt(0)
	s_barrier
	s_and_saveexec_b64 s[12:13], s[4:5]
	s_cbranch_execz .LBB28_144
; %bb.148:                              ;   in Loop: Header=BB28_145 Depth=1
	ds_read_b128 v[86:89], v156
	ds_read_b128 v[90:93], v156 offset:16
	v_add_u32_e32 v144, s17, v0
	s_waitcnt lgkmcnt(0)
	v_add_f64 v[161:162], v[90:91], v[86:87]
	v_add_f64 v[163:164], v[92:93], v[88:89]
	ds_read_b128 v[86:89], v156 offset:32
	ds_read_b128 v[90:93], v156 offset:48
	s_waitcnt lgkmcnt(1)
	v_add_f64 v[86:87], v[161:162], v[86:87]
	v_add_f64 v[88:89], v[163:164], v[88:89]
	s_waitcnt lgkmcnt(0)
	v_add_f64 v[161:162], v[86:87], v[90:91]
	v_add_f64 v[163:164], v[88:89], v[92:93]
	ds_read_b128 v[86:89], v156 offset:64
	ds_read_b128 v[90:93], v156 offset:80
	s_waitcnt lgkmcnt(1)
	v_add_f64 v[86:87], v[161:162], v[86:87]
	v_add_f64 v[88:89], v[163:164], v[88:89]
	;; [unrolled: 8-line block ×6, first 2 shown]
	s_waitcnt lgkmcnt(0)
	v_add_f64 v[161:162], v[86:87], v[90:91]
	v_add_f64 v[163:164], v[88:89], v[92:93]
	ds_read_b128 v[86:89], v156 offset:224
	ds_read_b128 v[90:93], v157
	s_waitcnt lgkmcnt(1)
	v_add_f64 v[86:87], v[161:162], v[86:87]
	v_add_f64 v[88:89], v[163:164], v[88:89]
	s_waitcnt lgkmcnt(0)
	v_add_f64 v[86:87], v[86:87], v[90:91]
	v_add_f64 v[88:89], v[88:89], v[92:93]
	v_lshlrev_b64 v[90:91], 4, v[144:145]
	v_mov_b32_e32 v92, s14
	v_add_co_u32_e64 v90, s[8:9], s7, v90
	v_addc_co_u32_e64 v91, s[8:9], v92, v91, s[8:9]
	global_store_dwordx4 v[90:91], v[86:89], off
	s_branch .LBB28_144
.LBB28_149:
	s_movk_i32 s2, 0x430
	v_mad_u32_u24 v0, v1, s2, v148
	s_nor_b64 s[0:1], s[0:1], vcc
	ds_write_b128 v0, v[2:5]
	s_waitcnt lgkmcnt(0)
	s_barrier
	s_and_saveexec_b64 s[2:3], s[0:1]
	s_cbranch_execz .LBB28_151
; %bb.150:
	ds_read_b128 v[0:3], v148 offset:1072
	ds_read_b128 v[4:7], v148
	s_waitcnt lgkmcnt(0)
	v_add_f64 v[8:9], v[0:1], v[4:5]
	v_add_f64 v[10:11], v[2:3], v[6:7]
	ds_read_b128 v[0:3], v148 offset:2144
	ds_read_b128 v[4:7], v148 offset:3216
	s_waitcnt lgkmcnt(1)
	v_add_f64 v[0:1], v[8:9], v[0:1]
	v_add_f64 v[2:3], v[10:11], v[2:3]
	s_waitcnt lgkmcnt(0)
	v_add_f64 v[0:1], v[0:1], v[4:5]
	v_add_f64 v[2:3], v[2:3], v[6:7]
	v_lshlrev_b64 v[4:5], 4, v[142:143]
	v_mov_b32_e32 v6, s14
	v_add_co_u32_e32 v4, vcc, s7, v4
	v_addc_co_u32_e32 v5, vcc, v6, v5, vcc
	global_store_dwordx4 v[4:5], v[0:3], off
.LBB28_151:
	s_endpgm
	.section	.rodata,"a",@progbits
	.p2align	6, 0x0
	.amdhsa_kernel _ZL26rocblas_hemvn_kernel_lowerILb1ELi64ELi4ELi33ELi32ELi16El19rocblas_complex_numIdEPKS1_PS1_EviT6_lT7_lT5_lS6_lS7_lS5_lT8_i
		.amdhsa_group_segment_fixed_size 19200
		.amdhsa_private_segment_fixed_size 0
		.amdhsa_kernarg_size 392
		.amdhsa_user_sgpr_count 6
		.amdhsa_user_sgpr_private_segment_buffer 1
		.amdhsa_user_sgpr_dispatch_ptr 0
		.amdhsa_user_sgpr_queue_ptr 0
		.amdhsa_user_sgpr_kernarg_segment_ptr 1
		.amdhsa_user_sgpr_dispatch_id 0
		.amdhsa_user_sgpr_flat_scratch_init 0
		.amdhsa_user_sgpr_private_segment_size 0
		.amdhsa_uses_dynamic_stack 0
		.amdhsa_system_sgpr_private_segment_wavefront_offset 0
		.amdhsa_system_sgpr_workgroup_id_x 1
		.amdhsa_system_sgpr_workgroup_id_y 0
		.amdhsa_system_sgpr_workgroup_id_z 1
		.amdhsa_system_sgpr_workgroup_info 0
		.amdhsa_system_vgpr_workitem_id 1
		.amdhsa_next_free_vgpr 215
		.amdhsa_next_free_sgpr 98
		.amdhsa_reserve_vcc 1
		.amdhsa_reserve_flat_scratch 0
		.amdhsa_float_round_mode_32 0
		.amdhsa_float_round_mode_16_64 0
		.amdhsa_float_denorm_mode_32 3
		.amdhsa_float_denorm_mode_16_64 3
		.amdhsa_dx10_clamp 1
		.amdhsa_ieee_mode 1
		.amdhsa_fp16_overflow 0
		.amdhsa_exception_fp_ieee_invalid_op 0
		.amdhsa_exception_fp_denorm_src 0
		.amdhsa_exception_fp_ieee_div_zero 0
		.amdhsa_exception_fp_ieee_overflow 0
		.amdhsa_exception_fp_ieee_underflow 0
		.amdhsa_exception_fp_ieee_inexact 0
		.amdhsa_exception_int_div_zero 0
	.end_amdhsa_kernel
	.section	.text._ZL26rocblas_hemvn_kernel_lowerILb1ELi64ELi4ELi33ELi32ELi16El19rocblas_complex_numIdEPKS1_PS1_EviT6_lT7_lT5_lS6_lS7_lS5_lT8_i,"axG",@progbits,_ZL26rocblas_hemvn_kernel_lowerILb1ELi64ELi4ELi33ELi32ELi16El19rocblas_complex_numIdEPKS1_PS1_EviT6_lT7_lT5_lS6_lS7_lS5_lT8_i,comdat
.Lfunc_end28:
	.size	_ZL26rocblas_hemvn_kernel_lowerILb1ELi64ELi4ELi33ELi32ELi16El19rocblas_complex_numIdEPKS1_PS1_EviT6_lT7_lT5_lS6_lS7_lS5_lT8_i, .Lfunc_end28-_ZL26rocblas_hemvn_kernel_lowerILb1ELi64ELi4ELi33ELi32ELi16El19rocblas_complex_numIdEPKS1_PS1_EviT6_lT7_lT5_lS6_lS7_lS5_lT8_i
                                        ; -- End function
	.set _ZL26rocblas_hemvn_kernel_lowerILb1ELi64ELi4ELi33ELi32ELi16El19rocblas_complex_numIdEPKS1_PS1_EviT6_lT7_lT5_lS6_lS7_lS5_lT8_i.num_vgpr, 215
	.set _ZL26rocblas_hemvn_kernel_lowerILb1ELi64ELi4ELi33ELi32ELi16El19rocblas_complex_numIdEPKS1_PS1_EviT6_lT7_lT5_lS6_lS7_lS5_lT8_i.num_agpr, 0
	.set _ZL26rocblas_hemvn_kernel_lowerILb1ELi64ELi4ELi33ELi32ELi16El19rocblas_complex_numIdEPKS1_PS1_EviT6_lT7_lT5_lS6_lS7_lS5_lT8_i.numbered_sgpr, 53
	.set _ZL26rocblas_hemvn_kernel_lowerILb1ELi64ELi4ELi33ELi32ELi16El19rocblas_complex_numIdEPKS1_PS1_EviT6_lT7_lT5_lS6_lS7_lS5_lT8_i.num_named_barrier, 0
	.set _ZL26rocblas_hemvn_kernel_lowerILb1ELi64ELi4ELi33ELi32ELi16El19rocblas_complex_numIdEPKS1_PS1_EviT6_lT7_lT5_lS6_lS7_lS5_lT8_i.private_seg_size, 0
	.set _ZL26rocblas_hemvn_kernel_lowerILb1ELi64ELi4ELi33ELi32ELi16El19rocblas_complex_numIdEPKS1_PS1_EviT6_lT7_lT5_lS6_lS7_lS5_lT8_i.uses_vcc, 1
	.set _ZL26rocblas_hemvn_kernel_lowerILb1ELi64ELi4ELi33ELi32ELi16El19rocblas_complex_numIdEPKS1_PS1_EviT6_lT7_lT5_lS6_lS7_lS5_lT8_i.uses_flat_scratch, 0
	.set _ZL26rocblas_hemvn_kernel_lowerILb1ELi64ELi4ELi33ELi32ELi16El19rocblas_complex_numIdEPKS1_PS1_EviT6_lT7_lT5_lS6_lS7_lS5_lT8_i.has_dyn_sized_stack, 0
	.set _ZL26rocblas_hemvn_kernel_lowerILb1ELi64ELi4ELi33ELi32ELi16El19rocblas_complex_numIdEPKS1_PS1_EviT6_lT7_lT5_lS6_lS7_lS5_lT8_i.has_recursion, 0
	.set _ZL26rocblas_hemvn_kernel_lowerILb1ELi64ELi4ELi33ELi32ELi16El19rocblas_complex_numIdEPKS1_PS1_EviT6_lT7_lT5_lS6_lS7_lS5_lT8_i.has_indirect_call, 0
	.section	.AMDGPU.csdata,"",@progbits
; Kernel info:
; codeLenInByte = 10036
; TotalNumSgprs: 57
; NumVgprs: 215
; ScratchSize: 0
; MemoryBound: 0
; FloatMode: 240
; IeeeMode: 1
; LDSByteSize: 19200 bytes/workgroup (compile time only)
; SGPRBlocks: 12
; VGPRBlocks: 53
; NumSGPRsForWavesPerEU: 102
; NumVGPRsForWavesPerEU: 215
; Occupancy: 1
; WaveLimiterHint : 0
; COMPUTE_PGM_RSRC2:SCRATCH_EN: 0
; COMPUTE_PGM_RSRC2:USER_SGPR: 6
; COMPUTE_PGM_RSRC2:TRAP_HANDLER: 0
; COMPUTE_PGM_RSRC2:TGID_X_EN: 1
; COMPUTE_PGM_RSRC2:TGID_Y_EN: 0
; COMPUTE_PGM_RSRC2:TGID_Z_EN: 1
; COMPUTE_PGM_RSRC2:TIDIG_COMP_CNT: 1
	.section	.text._ZL36rocblas_hemvn_kernel_lower_block_sumILi64El19rocblas_complex_numIdEPS1_S1_EviT1_lS3_lT2_lT0_lPT3_i,"axG",@progbits,_ZL36rocblas_hemvn_kernel_lower_block_sumILi64El19rocblas_complex_numIdEPS1_S1_EviT1_lS3_lT2_lT0_lPT3_i,comdat
	.globl	_ZL36rocblas_hemvn_kernel_lower_block_sumILi64El19rocblas_complex_numIdEPS1_S1_EviT1_lS3_lT2_lT0_lPT3_i ; -- Begin function _ZL36rocblas_hemvn_kernel_lower_block_sumILi64El19rocblas_complex_numIdEPS1_S1_EviT1_lS3_lT2_lT0_lPT3_i
	.p2align	8
	.type	_ZL36rocblas_hemvn_kernel_lower_block_sumILi64El19rocblas_complex_numIdEPS1_S1_EviT1_lS3_lT2_lT0_lPT3_i,@function
_ZL36rocblas_hemvn_kernel_lower_block_sumILi64El19rocblas_complex_numIdEPS1_S1_EviT1_lS3_lT2_lT0_lPT3_i: ; @_ZL36rocblas_hemvn_kernel_lower_block_sumILi64El19rocblas_complex_numIdEPS1_S1_EviT1_lS3_lT2_lT0_lPT3_i
; %bb.0:
	s_load_dwordx4 s[12:15], s[4:5], 0x8
	s_load_dwordx4 s[8:11], s[4:5], 0x20
	s_waitcnt lgkmcnt(0)
	v_cmp_neq_f64_e64 s[0:1], s[12:13], 0
	v_cmp_neq_f64_e64 s[2:3], s[14:15], 0
	s_or_b64 s[0:1], s[0:1], s[2:3]
	s_mov_b64 s[2:3], -1
	s_and_b64 vcc, exec, s[0:1]
	s_cbranch_vccnz .LBB29_2
; %bb.1:
	v_cmp_neq_f64_e64 s[2:3], s[8:9], 1.0
	v_cmp_neq_f64_e64 s[16:17], s[10:11], 0
	s_or_b64 s[2:3], s[2:3], s[16:17]
.LBB29_2:
	s_andn2_b64 vcc, exec, s[2:3]
	s_cbranch_vccnz .LBB29_22
; %bb.3:
	s_load_dwordx2 s[16:17], s[4:5], 0x50
	s_xor_b64 s[20:21], s[0:1], -1
	s_load_dwordx2 s[22:23], s[4:5], 0x38
	s_load_dword s18, s[4:5], 0x0
	s_load_dwordx4 s[0:3], s[4:5], 0x40
	v_lshl_or_b32 v6, s6, 6, v0
	s_waitcnt lgkmcnt(0)
	s_mul_i32 s17, s17, s7
	s_mul_hi_u32 s19, s16, s7
	s_add_i32 s17, s19, s17
	s_mul_i32 s16, s16, s7
	s_lshl_b64 s[16:17], s[16:17], 4
	s_add_u32 s16, s22, s16
	s_addc_u32 s17, s23, s17
	s_lshl_b64 s[0:1], s[0:1], 4
	s_add_u32 s24, s16, s0
	s_addc_u32 s25, s17, s1
	s_andn2_b64 vcc, exec, s[20:21]
	v_cmp_gt_i32_e64 s[0:1], s18, v6
	s_cbranch_vccnz .LBB29_8
; %bb.4:
	s_mov_b64 s[20:21], 0
	s_mov_b64 s[16:17], 0
                                        ; implicit-def: $vgpr2_vgpr3
                                        ; implicit-def: $vgpr4_vgpr5
	s_and_saveexec_b64 s[22:23], s[0:1]
	s_cbranch_execz .LBB29_9
; %bb.5:
	v_cmp_neq_f64_e64 s[0:1], s[8:9], 0
	v_cmp_neq_f64_e64 s[16:17], s[10:11], 0
	v_ashrrev_i32_e32 v0, 31, v6
	v_mul_lo_u32 v7, s3, v6
	v_mad_u64_u32 v[4:5], s[26:27], s2, v6, 0
	v_mul_lo_u32 v8, s2, v0
	v_mov_b32_e32 v2, 0
	v_mov_b32_e32 v0, 0
	s_or_b64 s[0:1], s[0:1], s[16:17]
	v_mov_b32_e32 v3, 0
	s_andn2_b64 vcc, exec, s[0:1]
	v_mov_b32_e32 v1, 0
	v_add3_u32 v5, v5, v8, v7
	s_cbranch_vccnz .LBB29_7
; %bb.6:
	v_lshlrev_b64 v[0:1], 4, v[4:5]
	v_mov_b32_e32 v2, s25
	v_add_co_u32_e32 v0, vcc, s24, v0
	v_addc_co_u32_e32 v1, vcc, v2, v1, vcc
	global_load_dwordx4 v[7:10], v[0:1], off
	s_waitcnt vmcnt(0)
	v_mul_f64 v[0:1], s[10:11], v[9:10]
	v_mul_f64 v[2:3], s[8:9], v[9:10]
	v_fma_f64 v[0:1], s[8:9], v[7:8], -v[0:1]
	v_fma_f64 v[2:3], s[10:11], v[7:8], v[2:3]
.LBB29_7:
	s_mov_b64 s[16:17], exec
	s_or_b64 exec, exec, s[22:23]
	s_and_b64 vcc, exec, s[20:21]
	s_cbranch_vccnz .LBB29_10
	s_branch .LBB29_20
.LBB29_8:
	s_mov_b64 s[16:17], 0
                                        ; implicit-def: $vgpr2_vgpr3
                                        ; implicit-def: $vgpr4_vgpr5
	s_cbranch_execnz .LBB29_10
	s_branch .LBB29_20
.LBB29_9:
	s_or_b64 exec, exec, s[22:23]
	s_and_b64 vcc, exec, s[20:21]
	s_cbranch_vccz .LBB29_20
.LBB29_10:
	v_cmp_gt_i32_e32 vcc, s18, v6
                                        ; implicit-def: $vgpr2_vgpr3
                                        ; implicit-def: $vgpr4_vgpr5
	s_and_saveexec_b64 s[0:1], vcc
	s_cbranch_execz .LBB29_19
; %bb.11:
	s_load_dword s20, s[4:5], 0x68
	v_mov_b32_e32 v0, 0
	v_mov_b32_e32 v2, 0
	v_mov_b32_e32 v1, 0
	v_mov_b32_e32 v3, 0
	s_waitcnt lgkmcnt(0)
	s_cmp_ge_i32 s6, s20
	s_cbranch_scc1 .LBB29_14
; %bb.12:
	s_ashr_i32 s19, s18, 31
	s_mul_i32 s21, s18, s6
	s_load_dwordx2 s[4:5], s[4:5], 0x58
	v_add_u32_e32 v0, s21, v6
	s_mul_hi_u32 s21, s18, s7
	s_mul_i32 s22, s19, s7
	s_add_i32 s21, s21, s22
	s_mul_i32 s7, s18, s7
	s_mul_i32 s21, s21, s20
	s_mul_hi_u32 s22, s7, s20
	s_add_i32 s23, s22, s21
	s_mul_i32 s22, s7, s20
	v_ashrrev_i32_e32 v1, 31, v0
	s_lshl_b64 s[22:23], s[22:23], 4
	v_lshlrev_b64 v[0:1], 4, v[0:1]
	s_waitcnt lgkmcnt(0)
	s_add_u32 s4, s4, s22
	s_addc_u32 s5, s5, s23
	v_mov_b32_e32 v2, s5
	v_add_co_u32_e32 v0, vcc, s4, v0
	v_addc_co_u32_e32 v1, vcc, v2, v1, vcc
	v_add_co_u32_e32 v4, vcc, 8, v0
	v_addc_co_u32_e32 v5, vcc, 0, v1, vcc
	s_lshl_b64 s[4:5], s[18:19], 4
	v_mov_b32_e32 v0, 0
	v_mov_b32_e32 v2, 0
	;; [unrolled: 1-line block ×5, first 2 shown]
.LBB29_13:                              ; =>This Inner Loop Header: Depth=1
	global_load_dwordx4 v[8:11], v[4:5], off offset:-8
	s_add_i32 s6, s6, 1
	v_add_co_u32_e32 v4, vcc, s4, v4
	s_cmp_ge_i32 s6, s20
	v_addc_co_u32_e32 v5, vcc, v5, v7, vcc
	s_waitcnt vmcnt(0)
	v_add_f64 v[2:3], v[2:3], v[8:9]
	v_add_f64 v[0:1], v[0:1], v[10:11]
	s_cbranch_scc0 .LBB29_13
.LBB29_14:
	v_mul_f64 v[4:5], s[14:15], v[0:1]
	v_mul_f64 v[7:8], s[12:13], v[0:1]
	v_cmp_neq_f64_e64 s[4:5], s[8:9], 0
	v_cmp_neq_f64_e64 s[6:7], s[10:11], 0
	v_fma_f64 v[0:1], s[12:13], v[2:3], -v[4:5]
	v_fma_f64 v[2:3], s[14:15], v[2:3], v[7:8]
	v_ashrrev_i32_e32 v4, 31, v6
	v_mul_lo_u32 v7, s3, v6
	v_mul_lo_u32 v8, s2, v4
	s_or_b64 s[4:5], s[4:5], s[6:7]
	s_andn2_b64 vcc, exec, s[4:5]
	s_mov_b64 s[4:5], 0
	s_cbranch_vccz .LBB29_16
; %bb.15:
	v_mad_u64_u32 v[4:5], s[6:7], s2, v6, 0
	v_add3_u32 v5, v5, v8, v7
	s_andn2_b64 vcc, exec, s[4:5]
	s_cbranch_vccz .LBB29_17
	s_branch .LBB29_18
.LBB29_16:
                                        ; implicit-def: $vgpr4_vgpr5
.LBB29_17:
	v_mad_u64_u32 v[4:5], s[2:3], s2, v6, 0
	v_mov_b32_e32 v9, s25
	v_add3_u32 v5, v5, v8, v7
	v_lshlrev_b64 v[6:7], 4, v[4:5]
	v_add_co_u32_e32 v6, vcc, s24, v6
	v_addc_co_u32_e32 v7, vcc, v9, v7, vcc
	global_load_dwordx4 v[6:9], v[6:7], off
	s_waitcnt vmcnt(0)
	v_mul_f64 v[10:11], s[10:11], v[8:9]
	v_mul_f64 v[8:9], s[8:9], v[8:9]
	v_fma_f64 v[10:11], s[8:9], v[6:7], -v[10:11]
	v_fma_f64 v[6:7], s[10:11], v[6:7], v[8:9]
	v_add_f64 v[0:1], v[0:1], v[10:11]
	v_add_f64 v[2:3], v[2:3], v[6:7]
.LBB29_18:
	s_or_b64 s[16:17], s[16:17], exec
.LBB29_19:
	s_or_b64 exec, exec, s[0:1]
.LBB29_20:
	s_and_saveexec_b64 s[0:1], s[16:17]
	s_cbranch_execz .LBB29_22
; %bb.21:
	v_lshlrev_b64 v[4:5], 4, v[4:5]
	v_mov_b32_e32 v6, s25
	v_add_co_u32_e32 v4, vcc, s24, v4
	v_addc_co_u32_e32 v5, vcc, v6, v5, vcc
	global_store_dwordx4 v[4:5], v[0:3], off
.LBB29_22:
	s_endpgm
	.section	.rodata,"a",@progbits
	.p2align	6, 0x0
	.amdhsa_kernel _ZL36rocblas_hemvn_kernel_lower_block_sumILi64El19rocblas_complex_numIdEPS1_S1_EviT1_lS3_lT2_lT0_lPT3_i
		.amdhsa_group_segment_fixed_size 0
		.amdhsa_private_segment_fixed_size 0
		.amdhsa_kernarg_size 360
		.amdhsa_user_sgpr_count 6
		.amdhsa_user_sgpr_private_segment_buffer 1
		.amdhsa_user_sgpr_dispatch_ptr 0
		.amdhsa_user_sgpr_queue_ptr 0
		.amdhsa_user_sgpr_kernarg_segment_ptr 1
		.amdhsa_user_sgpr_dispatch_id 0
		.amdhsa_user_sgpr_flat_scratch_init 0
		.amdhsa_user_sgpr_private_segment_size 0
		.amdhsa_uses_dynamic_stack 0
		.amdhsa_system_sgpr_private_segment_wavefront_offset 0
		.amdhsa_system_sgpr_workgroup_id_x 1
		.amdhsa_system_sgpr_workgroup_id_y 0
		.amdhsa_system_sgpr_workgroup_id_z 1
		.amdhsa_system_sgpr_workgroup_info 0
		.amdhsa_system_vgpr_workitem_id 0
		.amdhsa_next_free_vgpr 12
		.amdhsa_next_free_sgpr 28
		.amdhsa_reserve_vcc 1
		.amdhsa_reserve_flat_scratch 0
		.amdhsa_float_round_mode_32 0
		.amdhsa_float_round_mode_16_64 0
		.amdhsa_float_denorm_mode_32 3
		.amdhsa_float_denorm_mode_16_64 3
		.amdhsa_dx10_clamp 1
		.amdhsa_ieee_mode 1
		.amdhsa_fp16_overflow 0
		.amdhsa_exception_fp_ieee_invalid_op 0
		.amdhsa_exception_fp_denorm_src 0
		.amdhsa_exception_fp_ieee_div_zero 0
		.amdhsa_exception_fp_ieee_overflow 0
		.amdhsa_exception_fp_ieee_underflow 0
		.amdhsa_exception_fp_ieee_inexact 0
		.amdhsa_exception_int_div_zero 0
	.end_amdhsa_kernel
	.section	.text._ZL36rocblas_hemvn_kernel_lower_block_sumILi64El19rocblas_complex_numIdEPS1_S1_EviT1_lS3_lT2_lT0_lPT3_i,"axG",@progbits,_ZL36rocblas_hemvn_kernel_lower_block_sumILi64El19rocblas_complex_numIdEPS1_S1_EviT1_lS3_lT2_lT0_lPT3_i,comdat
.Lfunc_end29:
	.size	_ZL36rocblas_hemvn_kernel_lower_block_sumILi64El19rocblas_complex_numIdEPS1_S1_EviT1_lS3_lT2_lT0_lPT3_i, .Lfunc_end29-_ZL36rocblas_hemvn_kernel_lower_block_sumILi64El19rocblas_complex_numIdEPS1_S1_EviT1_lS3_lT2_lT0_lPT3_i
                                        ; -- End function
	.set _ZL36rocblas_hemvn_kernel_lower_block_sumILi64El19rocblas_complex_numIdEPS1_S1_EviT1_lS3_lT2_lT0_lPT3_i.num_vgpr, 12
	.set _ZL36rocblas_hemvn_kernel_lower_block_sumILi64El19rocblas_complex_numIdEPS1_S1_EviT1_lS3_lT2_lT0_lPT3_i.num_agpr, 0
	.set _ZL36rocblas_hemvn_kernel_lower_block_sumILi64El19rocblas_complex_numIdEPS1_S1_EviT1_lS3_lT2_lT0_lPT3_i.numbered_sgpr, 28
	.set _ZL36rocblas_hemvn_kernel_lower_block_sumILi64El19rocblas_complex_numIdEPS1_S1_EviT1_lS3_lT2_lT0_lPT3_i.num_named_barrier, 0
	.set _ZL36rocblas_hemvn_kernel_lower_block_sumILi64El19rocblas_complex_numIdEPS1_S1_EviT1_lS3_lT2_lT0_lPT3_i.private_seg_size, 0
	.set _ZL36rocblas_hemvn_kernel_lower_block_sumILi64El19rocblas_complex_numIdEPS1_S1_EviT1_lS3_lT2_lT0_lPT3_i.uses_vcc, 1
	.set _ZL36rocblas_hemvn_kernel_lower_block_sumILi64El19rocblas_complex_numIdEPS1_S1_EviT1_lS3_lT2_lT0_lPT3_i.uses_flat_scratch, 0
	.set _ZL36rocblas_hemvn_kernel_lower_block_sumILi64El19rocblas_complex_numIdEPS1_S1_EviT1_lS3_lT2_lT0_lPT3_i.has_dyn_sized_stack, 0
	.set _ZL36rocblas_hemvn_kernel_lower_block_sumILi64El19rocblas_complex_numIdEPS1_S1_EviT1_lS3_lT2_lT0_lPT3_i.has_recursion, 0
	.set _ZL36rocblas_hemvn_kernel_lower_block_sumILi64El19rocblas_complex_numIdEPS1_S1_EviT1_lS3_lT2_lT0_lPT3_i.has_indirect_call, 0
	.section	.AMDGPU.csdata,"",@progbits
; Kernel info:
; codeLenInByte = 864
; TotalNumSgprs: 32
; NumVgprs: 12
; ScratchSize: 0
; MemoryBound: 0
; FloatMode: 240
; IeeeMode: 1
; LDSByteSize: 0 bytes/workgroup (compile time only)
; SGPRBlocks: 3
; VGPRBlocks: 2
; NumSGPRsForWavesPerEU: 32
; NumVGPRsForWavesPerEU: 12
; Occupancy: 10
; WaveLimiterHint : 0
; COMPUTE_PGM_RSRC2:SCRATCH_EN: 0
; COMPUTE_PGM_RSRC2:USER_SGPR: 6
; COMPUTE_PGM_RSRC2:TRAP_HANDLER: 0
; COMPUTE_PGM_RSRC2:TGID_X_EN: 1
; COMPUTE_PGM_RSRC2:TGID_Y_EN: 0
; COMPUTE_PGM_RSRC2:TGID_Z_EN: 1
; COMPUTE_PGM_RSRC2:TIDIG_COMP_CNT: 0
	.section	.text._ZL26rocblas_hemvn_kernel_lowerILb1ELi64ELi4ELi33ELi32ELi16Ei19rocblas_complex_numIdEPKS1_PS1_EviT6_lT7_lT5_lS6_lS7_lS5_lT8_i,"axG",@progbits,_ZL26rocblas_hemvn_kernel_lowerILb1ELi64ELi4ELi33ELi32ELi16Ei19rocblas_complex_numIdEPKS1_PS1_EviT6_lT7_lT5_lS6_lS7_lS5_lT8_i,comdat
	.globl	_ZL26rocblas_hemvn_kernel_lowerILb1ELi64ELi4ELi33ELi32ELi16Ei19rocblas_complex_numIdEPKS1_PS1_EviT6_lT7_lT5_lS6_lS7_lS5_lT8_i ; -- Begin function _ZL26rocblas_hemvn_kernel_lowerILb1ELi64ELi4ELi33ELi32ELi16Ei19rocblas_complex_numIdEPKS1_PS1_EviT6_lT7_lT5_lS6_lS7_lS5_lT8_i
	.p2align	8
	.type	_ZL26rocblas_hemvn_kernel_lowerILb1ELi64ELi4ELi33ELi32ELi16Ei19rocblas_complex_numIdEPKS1_PS1_EviT6_lT7_lT5_lS6_lS7_lS5_lT8_i,@function
_ZL26rocblas_hemvn_kernel_lowerILb1ELi64ELi4ELi33ELi32ELi16Ei19rocblas_complex_numIdEPKS1_PS1_EviT6_lT7_lT5_lS6_lS7_lS5_lT8_i: ; @_ZL26rocblas_hemvn_kernel_lowerILb1ELi64ELi4ELi33ELi32ELi16Ei19rocblas_complex_numIdEPKS1_PS1_EviT6_lT7_lT5_lS6_lS7_lS5_lT8_i
; %bb.0:
	s_load_dwordx2 s[0:1], s[4:5], 0x94
	s_add_u32 s12, s4, 0x88
	s_addc_u32 s13, s5, 0
	s_waitcnt lgkmcnt(0)
	s_lshr_b32 s2, s0, 16
	s_and_b32 s0, s0, 0xffff
	s_and_b32 s1, s1, 0xffff
	s_mul_i32 s0, s2, s0
	s_mul_i32 s0, s0, s1
	s_cmpk_lg_i32 s0, 0x100
	s_cbranch_scc1 .LBB30_151
; %bb.1:
	s_load_dwordx4 s[0:3], s[4:5], 0x8
	v_mov_b32_e32 v2, v1
	s_waitcnt lgkmcnt(0)
	v_cmp_neq_f64_e64 s[8:9], s[0:1], 0
	v_cmp_neq_f64_e64 s[14:15], s[2:3], 0
	s_load_dwordx4 s[0:3], s[4:5], 0x58
	s_load_dwordx2 s[10:11], s[4:5], 0x68
	s_or_b64 s[8:9], s[8:9], s[14:15]
	s_mov_b64 s[14:15], -1
	s_and_b64 vcc, exec, s[8:9]
	s_cbranch_vccnz .LBB30_3
; %bb.2:
	s_waitcnt lgkmcnt(0)
	v_cmp_neq_f64_e64 s[2:3], s[2:3], 1.0
	v_cmp_neq_f64_e64 s[10:11], s[10:11], 0
	s_or_b64 s[14:15], s[2:3], s[10:11]
.LBB30_3:
	s_andn2_b64 vcc, exec, s[14:15]
	s_cbranch_vccnz .LBB30_151
; %bb.4:
	s_andn2_b64 vcc, exec, s[8:9]
	s_cbranch_vccnz .LBB30_151
; %bb.5:
	s_load_dword s41, s[12:13], 0x0
	s_load_dword s40, s[4:5], 0x0
	s_waitcnt lgkmcnt(0)
	s_load_dwordx4 s[8:11], s[4:5], 0x38
	s_load_dwordx2 s[2:3], s[4:5], 0x48
	s_load_dword s33, s[4:5], 0x50
	s_mul_i32 s1, s1, s7
	s_mul_hi_u32 s12, s0, s7
	s_add_i32 s1, s12, s1
	s_mul_i32 s0, s0, s7
	s_lshl_b64 s[0:1], s[0:1], 4
	s_waitcnt lgkmcnt(0)
	s_add_u32 s10, s10, s0
	s_addc_u32 s11, s11, s1
	s_lshl_b64 s[0:1], s[2:3], 4
	s_add_u32 s0, s10, s0
	s_addc_u32 s1, s11, s1
	s_lshl_b32 s24, s6, 6
	v_add_u32_e32 v143, s24, v0
	v_mul_lo_u32 v3, s33, v143
	s_ashr_i32 s42, s40, 31
	s_lshr_b32 s3, s42, 26
	s_add_i32 s3, s40, s3
	v_ashrrev_i32_e32 v4, 31, v3
	s_andn2_b32 s3, s3, 63
	v_lshlrev_b64 v[3:4], 4, v[3:4]
	s_add_i32 s2, s41, -1
	s_sub_i32 s3, s40, s3
	s_cmp_eq_u32 s6, s2
	v_mov_b32_e32 v1, s1
	v_add_co_u32_e32 v39, vcc, s0, v3
	s_cselect_b32 s22, s3, 0
	v_addc_co_u32_e32 v40, vcc, v1, v4, vcc
	v_cmp_ne_u32_e64 s[0:1], 0, v2
	v_cmp_eq_u32_e64 s[2:3], 0, v2
	s_and_saveexec_b64 s[10:11], s[2:3]
	s_cbranch_execz .LBB30_10
; %bb.6:
	s_cmp_lg_u32 s22, 0
	s_cselect_b64 s[12:13], -1, 0
	v_cmp_le_i32_e32 vcc, s22, v0
	v_mov_b32_e32 v1, 0x4700
	s_and_b64 s[12:13], s[12:13], vcc
	v_lshl_add_u32 v1, v0, 4, v1
	s_and_saveexec_b64 s[14:15], s[12:13]
	s_xor_b64 s[12:13], exec, s[14:15]
; %bb.7:
	v_mov_b32_e32 v3, 0
	v_mov_b32_e32 v4, v3
	;; [unrolled: 1-line block ×4, first 2 shown]
	ds_write_b128 v1, v[3:6]
                                        ; implicit-def: $vgpr1
; %bb.8:
	s_andn2_saveexec_b64 s[12:13], s[12:13]
	s_cbranch_execz .LBB30_10
; %bb.9:
	global_load_dwordx4 v[3:6], v[39:40], off
	s_waitcnt vmcnt(0)
	ds_write2_b64 v1, v[3:4], v[5:6] offset1:1
.LBB30_10:
	s_or_b64 exec, exec, s[10:11]
	s_load_dwordx4 s[12:15], s[4:5], 0x20
	s_load_dword s26, s[4:5], 0x30
	s_mul_i32 s9, s9, s7
	s_mul_hi_u32 s10, s8, s7
	s_add_i32 s9, s10, s9
	s_mul_i32 s8, s8, s7
	s_lshl_b64 s[8:9], s[8:9], 4
	s_waitcnt lgkmcnt(0)
	s_add_u32 s10, s12, s8
	v_lshl_add_u32 v45, v2, 6, v0
	s_addc_u32 s11, s13, s9
	s_lshl_b64 s[8:9], s[14:15], 4
	v_and_b32_e32 v1, 31, v0
	v_lshrrev_b32_e32 v13, 5, v45
	s_add_u32 s10, s10, s8
	s_addc_u32 s11, s11, s9
	v_mad_u64_u32 v[3:4], s[8:9], s26, v13, v[1:2]
	s_ashr_i32 s25, s24, 31
	s_lshl_b64 s[8:9], s[24:25], 4
	v_ashrrev_i32_e32 v4, 31, v3
	v_lshlrev_b64 v[41:42], 4, v[3:4]
	s_add_u32 s8, s10, s8
	s_addc_u32 s9, s11, s9
	v_add_co_u32_e32 v4, vcc, s8, v41
	s_mul_i32 s8, s26, s24
	v_mov_b32_e32 v3, s9
	s_ashr_i32 s9, s8, 31
	v_addc_co_u32_e32 v3, vcc, v3, v42, vcc
	s_lshl_b64 s[28:29], s[8:9], 4
	v_mov_b32_e32 v5, s29
	v_add_co_u32_e32 v7, vcc, s28, v4
	s_cmp_lg_u32 s22, 0
	v_addc_co_u32_e32 v8, vcc, v3, v5, vcc
	s_cselect_b64 s[30:31], -1, 0
	s_cmp_eq_u32 s22, 0
	s_cselect_b64 s[18:19], -1, 0
	s_mov_b64 s[8:9], -1
	s_and_b64 vcc, exec, s[30:31]
	s_cbranch_vccnz .LBB30_12
; %bb.11:
	s_lshl_b32 s8, s26, 3
	s_ashr_i32 s9, s8, 31
	s_lshl_b64 s[8:9], s[8:9], 4
	v_mov_b32_e32 v9, s9
	v_add_co_u32_e32 v18, vcc, s8, v7
	s_ashr_i32 s27, s26, 31
	v_addc_co_u32_e32 v19, vcc, v8, v9, vcc
	s_lshl_b64 s[8:9], s[26:27], 7
	v_mov_b32_e32 v22, s9
	v_add_co_u32_e32 v20, vcc, s8, v18
	global_load_dwordx4 v[3:6], v[7:8], off
	v_addc_co_u32_e32 v21, vcc, v19, v22, vcc
	global_load_dwordx4 v[9:12], v[18:19], off
	global_load_dwordx4 v[14:17], v[20:21], off
	v_add_co_u32_e32 v18, vcc, s8, v20
	v_addc_co_u32_e32 v19, vcc, v21, v22, vcc
	global_load_dwordx4 v[18:21], v[18:19], off
	v_mul_u32_u24_e32 v22, 0x210, v13
	v_lshl_add_u32 v22, v1, 4, v22
	s_mov_b64 s[8:9], 0
	v_add_u32_e32 v23, 0x1080, v22
	v_add_u32_e32 v24, 0x2100, v22
	v_add_u32_e32 v25, 0x3180, v22
	s_waitcnt vmcnt(3)
	ds_write2_b64 v22, v[3:4], v[5:6] offset1:1
	s_waitcnt vmcnt(2)
	ds_write2_b64 v23, v[9:10], v[11:12] offset1:1
	s_waitcnt vmcnt(1)
	ds_write2_b64 v24, v[14:15], v[16:17] offset1:1
	s_waitcnt vmcnt(0)
	ds_write2_b64 v25, v[18:19], v[20:21] offset1:1
.LBB30_12:
	s_andn2_b64 vcc, exec, s[8:9]
	v_lshlrev_b32_e32 v14, 4, v1
	s_cbranch_vccnz .LBB30_30
; %bb.13:
	v_sub_co_u32_e32 v3, vcc, v7, v14
	s_ashr_i32 s23, s22, 31
	v_subbrev_co_u32_e32 v4, vcc, 0, v8, vcc
	s_lshl_b64 s[10:11], s[22:23], 4
	v_mov_b32_e32 v5, s11
	v_add_co_u32_e32 v3, vcc, s10, v3
	v_addc_co_u32_e32 v4, vcc, v4, v5, vcc
	v_add_co_u32_e32 v3, vcc, -16, v3
	v_addc_co_u32_e32 v4, vcc, -1, v4, vcc
	v_cmp_gt_i32_e32 vcc, s22, v1
	s_movk_i32 s12, 0x210
	v_cndmask_b32_e32 v4, v4, v8, vcc
	v_cndmask_b32_e32 v3, v3, v7, vcc
	v_cmp_le_i32_e64 s[8:9], s22, v13
	v_mad_u32_u24 v5, v13, s12, v14
	s_and_saveexec_b64 s[12:13], s[8:9]
	s_xor_b64 s[8:9], exec, s[12:13]
; %bb.14:
	v_mov_b32_e32 v9, 0
	v_mov_b32_e32 v10, v9
	;; [unrolled: 1-line block ×4, first 2 shown]
	ds_write_b128 v5, v[9:12]
                                        ; implicit-def: $vgpr5
; %bb.15:
	s_andn2_saveexec_b64 s[8:9], s[8:9]
	s_cbranch_execz .LBB30_17
; %bb.16:
	global_load_dwordx4 v[9:12], v[3:4], off
	s_waitcnt vmcnt(0)
	ds_write2_b64 v5, v[9:10], v[11:12] offset1:1
.LBB30_17:
	s_or_b64 exec, exec, s[8:9]
	v_add_u32_e32 v6, 8, v13
	v_mul_u32_u24_e32 v5, 0x210, v13
	v_cmp_le_i32_e64 s[8:9], s22, v6
	s_and_saveexec_b64 s[12:13], s[8:9]
	s_xor_b64 s[8:9], exec, s[12:13]
	s_cbranch_execz .LBB30_19
; %bb.18:
	v_mov_b32_e32 v9, 0
	v_add_u32_e32 v6, v5, v14
	v_mov_b32_e32 v10, v9
	v_mov_b32_e32 v11, v9
	;; [unrolled: 1-line block ×3, first 2 shown]
	ds_write_b128 v6, v[9:12] offset:4224
.LBB30_19:
	s_andn2_saveexec_b64 s[12:13], s[8:9]
	s_cbranch_execz .LBB30_21
; %bb.20:
	s_lshl_b32 s8, s26, 3
	s_ashr_i32 s9, s8, 31
	s_lshl_b64 s[8:9], s[8:9], 4
	v_mov_b32_e32 v6, s9
	v_add_co_u32_e64 v9, s[8:9], s8, v3
	v_addc_co_u32_e64 v10, s[8:9], v4, v6, s[8:9]
	global_load_dwordx4 v[9:12], v[9:10], off
	s_movk_i32 s8, 0x1080
	v_add3_u32 v6, v5, v14, s8
	s_waitcnt vmcnt(0)
	ds_write2_b64 v6, v[9:10], v[11:12] offset1:1
.LBB30_21:
	s_or_b64 exec, exec, s[12:13]
	v_add_u32_e32 v6, 16, v13
	v_cmp_le_i32_e64 s[8:9], s22, v6
	s_and_saveexec_b64 s[12:13], s[8:9]
	s_xor_b64 s[8:9], exec, s[12:13]
	s_cbranch_execz .LBB30_23
; %bb.22:
	v_mov_b32_e32 v9, 0
	v_add_u32_e32 v6, v5, v14
	v_mov_b32_e32 v10, v9
	v_mov_b32_e32 v11, v9
	;; [unrolled: 1-line block ×3, first 2 shown]
	ds_write_b128 v6, v[9:12] offset:8448
.LBB30_23:
	s_andn2_saveexec_b64 s[12:13], s[8:9]
	s_cbranch_execz .LBB30_25
; %bb.24:
	s_lshl_b32 s8, s26, 4
	s_ashr_i32 s9, s8, 31
	s_lshl_b64 s[8:9], s[8:9], 4
	v_mov_b32_e32 v6, s9
	v_add_co_u32_e64 v9, s[8:9], s8, v3
	v_addc_co_u32_e64 v10, s[8:9], v4, v6, s[8:9]
	global_load_dwordx4 v[9:12], v[9:10], off
	s_movk_i32 s8, 0x2100
	v_add3_u32 v6, v5, v14, s8
	s_waitcnt vmcnt(0)
	ds_write2_b64 v6, v[9:10], v[11:12] offset1:1
.LBB30_25:
	s_or_b64 exec, exec, s[12:13]
	v_add_u32_e32 v6, 24, v13
	v_cmp_le_i32_e64 s[8:9], s22, v6
	s_and_saveexec_b64 s[12:13], s[8:9]
	s_xor_b64 s[8:9], exec, s[12:13]
	s_cbranch_execz .LBB30_27
; %bb.26:
	v_mov_b32_e32 v9, 0
	v_add_u32_e32 v5, v5, v14
	v_mov_b32_e32 v10, v9
	v_mov_b32_e32 v11, v9
	;; [unrolled: 1-line block ×3, first 2 shown]
	ds_write_b128 v5, v[9:12] offset:12672
                                        ; implicit-def: $vgpr5
.LBB30_27:
	s_andn2_saveexec_b64 s[12:13], s[8:9]
	s_cbranch_execz .LBB30_29
; %bb.28:
	s_mul_i32 s8, s26, 24
	s_ashr_i32 s9, s8, 31
	s_lshl_b64 s[8:9], s[8:9], 4
	v_mov_b32_e32 v6, s9
	v_add_co_u32_e64 v9, s[8:9], s8, v3
	v_addc_co_u32_e64 v10, s[8:9], v4, v6, s[8:9]
	global_load_dwordx4 v[9:12], v[9:10], off
	s_movk_i32 s8, 0x3180
	v_add3_u32 v5, v5, v14, s8
	s_waitcnt vmcnt(0)
	ds_write2_b64 v5, v[9:10], v[11:12] offset1:1
.LBB30_29:
	s_or_b64 exec, exec, s[12:13]
	v_add_co_u32_e64 v3, s[8:9], v3, v14
	v_addc_co_u32_e64 v4, s[8:9], 0, v4, s[8:9]
	v_mov_b32_e32 v5, s11
	v_subrev_co_u32_e64 v3, s[8:9], s10, v3
	v_subb_co_u32_e64 v4, s[8:9], v4, v5, s[8:9]
	v_add_co_u32_e64 v3, s[8:9], 16, v3
	v_addc_co_u32_e64 v4, s[8:9], 0, v4, s[8:9]
	v_cndmask_b32_e32 v8, v4, v8, vcc
	v_cndmask_b32_e32 v7, v3, v7, vcc
.LBB30_30:
	v_lshlrev_b32_e32 v15, 2, v13
	v_mul_u32_u24_e32 v16, 0x210, v1
	v_cmp_ge_u32_e64 s[8:9], v15, v1
	s_mov_b64 s[10:11], 0
	s_waitcnt lgkmcnt(0)
	s_barrier
                                        ; implicit-def: $vgpr10
	s_and_saveexec_b64 s[12:13], s[8:9]
	s_xor_b64 s[12:13], exec, s[12:13]
	s_cbranch_execz .LBB30_34
; %bb.31:
	v_cmp_eq_u32_e32 vcc, v15, v1
                                        ; implicit-def: $vgpr10
	s_and_saveexec_b64 s[14:15], vcc
	s_xor_b64 s[14:15], exec, s[14:15]
; %bb.32:
	s_mov_b64 s[10:11], exec
	v_add_u32_e32 v10, v14, v16
; %bb.33:
	s_or_b64 exec, exec, s[14:15]
	s_and_b64 s[10:11], s[10:11], exec
.LBB30_34:
	s_or_saveexec_b64 s[12:13], s[12:13]
	v_mov_b32_e32 v5, 0
	v_mov_b32_e32 v6, 0
	v_lshl_or_b32 v9, v1, 9, v14
	s_xor_b64 exec, exec, s[12:13]
	s_cbranch_execz .LBB30_36
; %bb.35:
	s_movk_i32 s14, 0x840
	v_mad_u32_u24 v3, v13, s14, v14
	ds_read_b128 v[3:6], v3
	v_lshl_add_u32 v10, v15, 4, v9
	s_or_b64 s[10:11], s[10:11], exec
	s_waitcnt lgkmcnt(0)
	v_xor_b32_e32 v6, 0x80000000, v6
	ds_write_b64 v10, v[3:4]
.LBB30_36:
	s_or_b64 exec, exec, s[12:13]
	s_and_saveexec_b64 s[12:13], s[10:11]
; %bb.37:
	ds_write_b64 v10, v[5:6] offset:8
; %bb.38:
	s_or_b64 exec, exec, s[12:13]
	v_or_b32_e32 v18, 1, v15
	v_cmp_ge_u32_e64 s[10:11], v18, v1
	s_mov_b64 s[12:13], 0
                                        ; implicit-def: $vgpr10
	s_and_saveexec_b64 s[14:15], s[10:11]
	s_xor_b64 s[14:15], exec, s[14:15]
	s_cbranch_execz .LBB30_42
; %bb.39:
	v_cmp_eq_u32_e32 vcc, v18, v1
                                        ; implicit-def: $vgpr10
	s_and_saveexec_b64 s[16:17], vcc
; %bb.40:
	s_mov_b64 s[12:13], exec
	v_add_u32_e32 v10, v14, v16
; %bb.41:
	s_or_b64 exec, exec, s[16:17]
	s_and_b64 s[12:13], s[12:13], exec
.LBB30_42:
	s_or_saveexec_b64 s[14:15], s[14:15]
	v_mov_b32_e32 v5, 0
	v_mov_b32_e32 v6, 0
	s_xor_b64 exec, exec, s[14:15]
	s_cbranch_execz .LBB30_44
; %bb.43:
	s_movk_i32 s16, 0x210
	v_mad_u32_u24 v3, v18, s16, v14
	ds_read_b128 v[3:6], v3
	v_lshl_add_u32 v11, v15, 4, v9
	v_add_u32_e32 v10, 16, v11
	s_or_b64 s[12:13], s[12:13], exec
	s_waitcnt lgkmcnt(0)
	v_xor_b32_e32 v6, 0x80000000, v6
	ds_write_b64 v11, v[3:4] offset:16
.LBB30_44:
	s_or_b64 exec, exec, s[14:15]
	s_and_saveexec_b64 s[14:15], s[12:13]
; %bb.45:
	ds_write_b64 v10, v[5:6] offset:8
; %bb.46:
	s_or_b64 exec, exec, s[14:15]
	v_or_b32_e32 v19, 2, v15
	v_cmp_ge_u32_e64 s[12:13], v19, v1
	s_mov_b64 s[14:15], 0
                                        ; implicit-def: $vgpr10
	s_and_saveexec_b64 s[16:17], s[12:13]
	s_xor_b64 s[16:17], exec, s[16:17]
	s_cbranch_execz .LBB30_50
; %bb.47:
	v_cmp_eq_u32_e32 vcc, v19, v1
                                        ; implicit-def: $vgpr10
	s_and_saveexec_b64 s[20:21], vcc
; %bb.48:
	s_mov_b64 s[14:15], exec
	v_add_u32_e32 v10, v14, v16
; %bb.49:
	s_or_b64 exec, exec, s[20:21]
	s_and_b64 s[14:15], s[14:15], exec
.LBB30_50:
	s_or_saveexec_b64 s[16:17], s[16:17]
	v_mov_b32_e32 v5, 0
	v_mov_b32_e32 v6, 0
	s_xor_b64 exec, exec, s[16:17]
	s_cbranch_execz .LBB30_52
; %bb.51:
	s_movk_i32 s20, 0x210
	v_mad_u32_u24 v3, v19, s20, v14
	ds_read_b128 v[3:6], v3
	v_lshl_add_u32 v11, v15, 4, v9
	v_add_u32_e32 v10, 32, v11
	s_or_b64 s[14:15], s[14:15], exec
	s_waitcnt lgkmcnt(0)
	v_xor_b32_e32 v6, 0x80000000, v6
	ds_write_b64 v11, v[3:4] offset:32
.LBB30_52:
	s_or_b64 exec, exec, s[16:17]
	s_and_saveexec_b64 s[16:17], s[14:15]
; %bb.53:
	ds_write_b64 v10, v[5:6] offset:8
; %bb.54:
	s_or_b64 exec, exec, s[16:17]
	v_or_b32_e32 v20, 3, v15
	v_cmp_ge_u32_e64 s[14:15], v20, v1
	s_mov_b64 s[16:17], 0
                                        ; implicit-def: $vgpr10
	s_and_saveexec_b64 s[20:21], s[14:15]
	s_xor_b64 s[20:21], exec, s[20:21]
	s_cbranch_execz .LBB30_58
; %bb.55:
	v_cmp_eq_u32_e32 vcc, v20, v1
                                        ; implicit-def: $vgpr10
	s_and_saveexec_b64 s[34:35], vcc
; %bb.56:
	s_mov_b64 s[16:17], exec
	v_add_u32_e32 v10, v14, v16
; %bb.57:
	s_or_b64 exec, exec, s[34:35]
	s_and_b64 s[16:17], s[16:17], exec
                                        ; implicit-def: $vgpr9
.LBB30_58:
	s_or_saveexec_b64 s[20:21], s[20:21]
	v_mov_b32_e32 v5, 0
	v_mov_b32_e32 v6, 0
	s_xor_b64 exec, exec, s[20:21]
	s_cbranch_execz .LBB30_60
; %bb.59:
	s_movk_i32 s23, 0x210
	v_mad_u32_u24 v3, v20, s23, v14
	ds_read_b128 v[3:6], v3
	v_lshl_add_u32 v9, v15, 4, v9
	v_add_u32_e32 v10, 48, v9
	s_or_b64 s[16:17], s[16:17], exec
	s_waitcnt lgkmcnt(0)
	v_xor_b32_e32 v6, 0x80000000, v6
	ds_write_b64 v9, v[3:4] offset:48
.LBB30_60:
	s_or_b64 exec, exec, s[20:21]
	s_and_saveexec_b64 s[20:21], s[16:17]
; %bb.61:
	ds_write_b64 v10, v[5:6] offset:8
; %bb.62:
	s_or_b64 exec, exec, s[20:21]
	s_movk_i32 s16, 0x840
	v_lshlrev_b32_e32 v9, 4, v15
	s_waitcnt lgkmcnt(0)
	s_barrier
	v_mad_u32_u24 v10, v13, s16, v14
	ds_read_b128 v[3:6], v9 offset:18176
	ds_read_b128 v[21:24], v10
	ds_read_b128 v[25:28], v9 offset:18192
	s_movk_i32 s16, 0x210
	v_mad_u32_u24 v12, v18, s16, v14
	ds_read_b128 v[29:32], v12
	ds_read_b128 v[33:36], v9 offset:18208
	s_waitcnt lgkmcnt(3)
	v_mul_f64 v[10:11], v[5:6], v[23:24]
	v_mul_f64 v[23:24], v[3:4], v[23:24]
	ds_read_b128 v[46:49], v12 offset:528
	s_waitcnt lgkmcnt(2)
	v_mul_f64 v[37:38], v[27:28], v[31:32]
	v_mul_f64 v[31:32], v[25:26], v[31:32]
	v_cmp_gt_u32_e64 s[20:21], 32, v45
	v_fma_f64 v[10:11], v[3:4], v[21:22], -v[10:11]
	v_fma_f64 v[43:44], v[5:6], v[21:22], v[23:24]
	ds_read_b128 v[3:6], v9 offset:18224
	ds_read_b128 v[21:24], v12 offset:1056
	v_fma_f64 v[25:26], v[25:26], v[29:30], -v[37:38]
	s_waitcnt lgkmcnt(2)
	v_mul_f64 v[37:38], v[35:36], v[48:49]
	v_fma_f64 v[27:28], v[27:28], v[29:30], v[31:32]
	v_mul_f64 v[29:30], v[33:34], v[48:49]
	s_waitcnt lgkmcnt(0)
	v_add_f64 v[10:11], v[10:11], 0
	v_add_f64 v[31:32], v[43:44], 0
	v_mul_f64 v[43:44], v[5:6], v[23:24]
	v_mul_f64 v[23:24], v[3:4], v[23:24]
	v_fma_f64 v[33:34], v[33:34], v[46:47], -v[37:38]
	s_barrier
	v_add_f64 v[10:11], v[10:11], v[25:26]
	v_fma_f64 v[25:26], v[35:36], v[46:47], v[29:30]
	v_add_f64 v[27:28], v[31:32], v[27:28]
	v_fma_f64 v[29:30], v[3:4], v[21:22], -v[43:44]
	v_fma_f64 v[5:6], v[5:6], v[21:22], v[23:24]
	v_mov_b32_e32 v3, 0
	v_mov_b32_e32 v4, 0
	v_add_f64 v[10:11], v[10:11], v[33:34]
	v_add_f64 v[23:24], v[27:28], v[25:26]
	;; [unrolled: 1-line block ×3, first 2 shown]
	v_mul_u32_u24_e32 v10, 33, v1
	v_add_f64 v[23:24], v[23:24], v[5:6]
	v_mov_b32_e32 v5, 0
	v_lshlrev_b32_e32 v46, 4, v10
	v_mov_b32_e32 v6, 0
	v_lshl_add_u32 v47, v13, 4, v46
	ds_write_b128 v47, v[21:24]
	s_waitcnt lgkmcnt(0)
	s_barrier
	s_and_saveexec_b64 s[16:17], s[20:21]
	s_cbranch_execz .LBB30_64
; %bb.63:
	ds_read_b128 v[3:6], v46
	ds_read_b128 v[21:24], v46 offset:16
	s_waitcnt lgkmcnt(0)
	v_add_f64 v[10:11], v[21:22], v[3:4]
	v_add_f64 v[25:26], v[23:24], v[5:6]
	ds_read_b128 v[3:6], v46 offset:32
	ds_read_b128 v[21:24], v46 offset:48
	s_waitcnt lgkmcnt(1)
	v_add_f64 v[3:4], v[10:11], v[3:4]
	v_add_f64 v[5:6], v[25:26], v[5:6]
	s_waitcnt lgkmcnt(0)
	v_add_f64 v[10:11], v[3:4], v[21:22]
	v_add_f64 v[25:26], v[5:6], v[23:24]
	ds_read_b128 v[3:6], v46 offset:64
	ds_read_b128 v[21:24], v46 offset:80
	s_waitcnt lgkmcnt(1)
	v_add_f64 v[3:4], v[10:11], v[3:4]
	v_add_f64 v[5:6], v[25:26], v[5:6]
	;; [unrolled: 8-line block ×3, first 2 shown]
	s_waitcnt lgkmcnt(0)
	v_add_f64 v[3:4], v[3:4], v[21:22]
	v_add_f64 v[5:6], v[5:6], v[23:24]
.LBB30_64:
	s_or_b64 exec, exec, s[16:17]
	s_lshl_b32 s16, s26, 5
	s_ashr_i32 s17, s16, 31
	s_lshl_b64 s[34:35], s[16:17], 4
	v_mov_b32_e32 v10, s35
	v_add_co_u32_e32 v7, vcc, s34, v7
	v_addc_co_u32_e32 v8, vcc, v8, v10, vcc
	v_add_co_u32_e32 v11, vcc, 0x200, v7
	v_addc_co_u32_e32 v12, vcc, 0, v8, vcc
	v_cndmask_b32_e64 v10, 0, 1, s[18:19]
	v_cmp_ne_u32_e64 s[16:17], 1, v10
	s_andn2_b64 vcc, exec, s[18:19]
	s_mov_b64 s[18:19], -1
	s_barrier
	s_cbranch_vccnz .LBB30_66
; %bb.65:
	s_lshl_b32 s18, s26, 3
	s_ashr_i32 s19, s18, 31
	s_lshl_b64 s[18:19], s[18:19], 4
	v_mov_b32_e32 v10, s19
	v_add_co_u32_e32 v33, vcc, s18, v7
	s_ashr_i32 s27, s26, 31
	v_addc_co_u32_e32 v34, vcc, v8, v10, vcc
	s_lshl_b64 s[18:19], s[26:27], 7
	v_mov_b32_e32 v10, s19
	v_add_co_u32_e32 v35, vcc, s18, v33
	global_load_dwordx4 v[21:24], v[11:12], off
	v_addc_co_u32_e32 v36, vcc, v34, v10, vcc
	global_load_dwordx4 v[25:28], v[33:34], off offset:512
	global_load_dwordx4 v[29:32], v[35:36], off offset:512
	v_add_co_u32_e32 v33, vcc, s18, v35
	v_addc_co_u32_e32 v34, vcc, v36, v10, vcc
	global_load_dwordx4 v[33:36], v[33:34], off offset:512
	s_movk_i32 s18, 0x210
	v_mad_u32_u24 v10, v13, s18, v14
	s_mov_b64 s[18:19], 0
	v_add_u32_e32 v17, 0x1080, v10
	v_add_u32_e32 v37, 0x2100, v10
	;; [unrolled: 1-line block ×3, first 2 shown]
	s_waitcnt vmcnt(3)
	ds_write2_b64 v10, v[21:22], v[23:24] offset1:1
	s_waitcnt vmcnt(2)
	ds_write2_b64 v17, v[25:26], v[27:28] offset1:1
	;; [unrolled: 2-line block ×4, first 2 shown]
.LBB30_66:
	s_andn2_b64 vcc, exec, s[18:19]
	s_cbranch_vccnz .LBB30_84
; %bb.67:
	v_sub_co_u32_e32 v7, vcc, v7, v14
	s_ashr_i32 s23, s22, 31
	v_subbrev_co_u32_e32 v8, vcc, 0, v8, vcc
	s_lshl_b64 s[36:37], s[22:23], 4
	v_mov_b32_e32 v17, s37
	v_add_co_u32_e32 v7, vcc, s36, v7
	v_addc_co_u32_e32 v8, vcc, v8, v17, vcc
	v_or_b32_e32 v10, 32, v1
	v_add_co_u32_e32 v7, vcc, -16, v7
	v_addc_co_u32_e32 v8, vcc, -1, v8, vcc
	v_cmp_gt_i32_e64 s[18:19], s22, v10
	s_sub_i32 s23, s22, 32
	s_movk_i32 s25, 0x210
	v_cndmask_b32_e64 v8, v8, v12, s[18:19]
	v_cndmask_b32_e64 v7, v7, v11, s[18:19]
	v_cmp_le_i32_e32 vcc, s23, v13
	v_mad_u32_u24 v10, v13, s25, v14
	s_and_saveexec_b64 s[38:39], vcc
	s_xor_b64 s[38:39], exec, s[38:39]
; %bb.68:
	v_mov_b32_e32 v21, 0
	v_mov_b32_e32 v22, v21
	;; [unrolled: 1-line block ×4, first 2 shown]
	ds_write_b128 v10, v[21:24]
                                        ; implicit-def: $vgpr10
; %bb.69:
	s_andn2_saveexec_b64 s[38:39], s[38:39]
	s_cbranch_execz .LBB30_71
; %bb.70:
	global_load_dwordx4 v[21:24], v[7:8], off
	s_waitcnt vmcnt(0)
	ds_write2_b64 v10, v[21:22], v[23:24] offset1:1
.LBB30_71:
	s_or_b64 exec, exec, s[38:39]
	v_add_u32_e32 v17, 8, v13
	v_mul_u32_u24_e32 v10, 0x210, v13
	v_cmp_le_i32_e32 vcc, s23, v17
	s_and_saveexec_b64 s[38:39], vcc
	s_xor_b64 s[38:39], exec, s[38:39]
	s_cbranch_execz .LBB30_73
; %bb.72:
	v_mov_b32_e32 v21, 0
	v_add_u32_e32 v17, v10, v14
	v_mov_b32_e32 v22, v21
	v_mov_b32_e32 v23, v21
	;; [unrolled: 1-line block ×3, first 2 shown]
	ds_write_b128 v17, v[21:24] offset:4224
.LBB30_73:
	s_andn2_saveexec_b64 s[38:39], s[38:39]
	s_cbranch_execz .LBB30_75
; %bb.74:
	s_lshl_b32 s44, s26, 3
	s_ashr_i32 s45, s44, 31
	s_lshl_b64 s[44:45], s[44:45], 4
	v_mov_b32_e32 v17, s45
	v_add_co_u32_e32 v21, vcc, s44, v7
	v_addc_co_u32_e32 v22, vcc, v8, v17, vcc
	global_load_dwordx4 v[21:24], v[21:22], off
	s_movk_i32 s25, 0x1080
	v_add3_u32 v17, v10, v14, s25
	s_waitcnt vmcnt(0)
	ds_write2_b64 v17, v[21:22], v[23:24] offset1:1
.LBB30_75:
	s_or_b64 exec, exec, s[38:39]
	v_add_u32_e32 v17, 16, v13
	v_cmp_le_i32_e32 vcc, s23, v17
	s_and_saveexec_b64 s[38:39], vcc
	s_xor_b64 s[38:39], exec, s[38:39]
	s_cbranch_execz .LBB30_77
; %bb.76:
	v_mov_b32_e32 v21, 0
	v_add_u32_e32 v17, v10, v14
	v_mov_b32_e32 v22, v21
	v_mov_b32_e32 v23, v21
	;; [unrolled: 1-line block ×3, first 2 shown]
	ds_write_b128 v17, v[21:24] offset:8448
.LBB30_77:
	s_andn2_saveexec_b64 s[38:39], s[38:39]
	s_cbranch_execz .LBB30_79
; %bb.78:
	s_lshl_b32 s44, s26, 4
	s_ashr_i32 s45, s44, 31
	s_lshl_b64 s[44:45], s[44:45], 4
	v_mov_b32_e32 v17, s45
	v_add_co_u32_e32 v21, vcc, s44, v7
	v_addc_co_u32_e32 v22, vcc, v8, v17, vcc
	global_load_dwordx4 v[21:24], v[21:22], off
	s_movk_i32 s25, 0x2100
	v_add3_u32 v17, v10, v14, s25
	s_waitcnt vmcnt(0)
	ds_write2_b64 v17, v[21:22], v[23:24] offset1:1
.LBB30_79:
	s_or_b64 exec, exec, s[38:39]
	v_add_u32_e32 v17, 24, v13
	v_cmp_le_i32_e32 vcc, s23, v17
	s_and_saveexec_b64 s[38:39], vcc
	s_xor_b64 s[38:39], exec, s[38:39]
	s_cbranch_execz .LBB30_81
; %bb.80:
	v_mov_b32_e32 v21, 0
	v_add_u32_e32 v10, v10, v14
	v_mov_b32_e32 v22, v21
	v_mov_b32_e32 v23, v21
	;; [unrolled: 1-line block ×3, first 2 shown]
	ds_write_b128 v10, v[21:24] offset:12672
                                        ; implicit-def: $vgpr10
.LBB30_81:
	s_andn2_saveexec_b64 s[38:39], s[38:39]
	s_cbranch_execz .LBB30_83
; %bb.82:
	s_mul_i32 s44, s26, 24
	s_ashr_i32 s45, s44, 31
	s_lshl_b64 s[44:45], s[44:45], 4
	v_mov_b32_e32 v17, s45
	v_add_co_u32_e32 v21, vcc, s44, v7
	v_addc_co_u32_e32 v22, vcc, v8, v17, vcc
	global_load_dwordx4 v[21:24], v[21:22], off
	s_movk_i32 s23, 0x3180
	v_add3_u32 v10, v10, v14, s23
	s_waitcnt vmcnt(0)
	ds_write2_b64 v10, v[21:22], v[23:24] offset1:1
.LBB30_83:
	s_or_b64 exec, exec, s[38:39]
	v_add_co_u32_e32 v7, vcc, v7, v14
	v_addc_co_u32_e32 v8, vcc, 0, v8, vcc
	v_mov_b32_e32 v10, s37
	v_subrev_co_u32_e32 v7, vcc, s36, v7
	v_subb_co_u32_e32 v8, vcc, v8, v10, vcc
	v_add_co_u32_e32 v7, vcc, 0x210, v7
	v_addc_co_u32_e32 v8, vcc, 0, v8, vcc
	v_cndmask_b32_e64 v12, v8, v12, s[18:19]
	v_cndmask_b32_e64 v11, v7, v11, s[18:19]
.LBB30_84:
	v_mul_u32_u24_e32 v7, 0x840, v13
	v_add_u32_e32 v17, 0x4700, v9
	v_mul_u32_u24_e32 v22, 0x210, v18
	s_mov_b64 s[18:19], 0
	s_waitcnt lgkmcnt(0)
	s_barrier
                                        ; implicit-def: $vgpr23
	s_and_saveexec_b64 s[36:37], s[8:9]
	s_xor_b64 s[8:9], exec, s[36:37]
	s_cbranch_execz .LBB30_88
; %bb.85:
	v_cmp_eq_u32_e32 vcc, v15, v1
                                        ; implicit-def: $vgpr23
	s_and_saveexec_b64 s[36:37], vcc
	s_xor_b64 s[36:37], exec, s[36:37]
; %bb.86:
	s_mov_b64 s[18:19], exec
	v_add_u32_e32 v23, v14, v16
; %bb.87:
	s_or_b64 exec, exec, s[36:37]
	s_and_b64 s[18:19], s[18:19], exec
.LBB30_88:
	s_or_saveexec_b64 s[8:9], s[8:9]
	v_mov_b32_e32 v9, 0
	v_mov_b32_e32 v10, 0
	v_add_u32_e32 v21, v14, v7
	s_xor_b64 exec, exec, s[8:9]
	s_cbranch_execz .LBB30_90
; %bb.89:
	ds_read_b128 v[7:10], v21
	v_lshl_add_u32 v23, v15, 4, v46
	s_or_b64 s[18:19], s[18:19], exec
	s_waitcnt lgkmcnt(0)
	v_xor_b32_e32 v10, 0x80000000, v10
	ds_write_b64 v23, v[7:8]
.LBB30_90:
	s_or_b64 exec, exec, s[8:9]
	s_and_saveexec_b64 s[8:9], s[18:19]
; %bb.91:
	ds_write_b64 v23, v[9:10] offset:8
; %bb.92:
	s_or_b64 exec, exec, s[8:9]
	s_mov_b64 s[8:9], 0
                                        ; implicit-def: $vgpr23
	s_and_saveexec_b64 s[18:19], s[10:11]
	s_xor_b64 s[10:11], exec, s[18:19]
	s_cbranch_execz .LBB30_96
; %bb.93:
	v_cmp_eq_u32_e32 vcc, v18, v1
                                        ; implicit-def: $vgpr23
	s_and_saveexec_b64 s[18:19], vcc
; %bb.94:
	s_mov_b64 s[8:9], exec
	v_add_u32_e32 v23, v14, v16
; %bb.95:
	s_or_b64 exec, exec, s[18:19]
	s_and_b64 s[8:9], s[8:9], exec
.LBB30_96:
	s_or_saveexec_b64 s[10:11], s[10:11]
	v_mov_b32_e32 v9, 0
	v_mov_b32_e32 v10, 0
	v_add_u32_e32 v18, v14, v22
	s_xor_b64 exec, exec, s[10:11]
	s_cbranch_execz .LBB30_98
; %bb.97:
	ds_read_b128 v[7:10], v18
	v_lshl_add_u32 v22, v15, 4, v46
	v_add_u32_e32 v23, 16, v22
	s_or_b64 s[8:9], s[8:9], exec
	s_waitcnt lgkmcnt(0)
	v_xor_b32_e32 v10, 0x80000000, v10
	ds_write_b64 v22, v[7:8] offset:16
.LBB30_98:
	s_or_b64 exec, exec, s[10:11]
	s_and_saveexec_b64 s[10:11], s[8:9]
; %bb.99:
	ds_write_b64 v23, v[9:10] offset:8
; %bb.100:
	s_or_b64 exec, exec, s[10:11]
	s_mov_b64 s[8:9], 0
                                        ; implicit-def: $vgpr22
	s_and_saveexec_b64 s[10:11], s[12:13]
	s_xor_b64 s[10:11], exec, s[10:11]
	s_cbranch_execz .LBB30_104
; %bb.101:
	v_cmp_eq_u32_e32 vcc, v19, v1
                                        ; implicit-def: $vgpr22
	s_and_saveexec_b64 s[12:13], vcc
; %bb.102:
	s_mov_b64 s[8:9], exec
	v_add_u32_e32 v22, v14, v16
; %bb.103:
	s_or_b64 exec, exec, s[12:13]
	s_and_b64 s[8:9], s[8:9], exec
.LBB30_104:
	s_or_saveexec_b64 s[10:11], s[10:11]
	v_mov_b32_e32 v9, 0
	v_mov_b32_e32 v10, 0
	s_xor_b64 exec, exec, s[10:11]
	s_cbranch_execz .LBB30_106
; %bb.105:
	ds_read_b128 v[7:10], v18 offset:528
	v_lshl_add_u32 v19, v15, 4, v46
	v_add_u32_e32 v22, 32, v19
	s_or_b64 s[8:9], s[8:9], exec
	s_waitcnt lgkmcnt(0)
	v_xor_b32_e32 v10, 0x80000000, v10
	ds_write_b64 v19, v[7:8] offset:32
.LBB30_106:
	s_or_b64 exec, exec, s[10:11]
	s_and_saveexec_b64 s[10:11], s[8:9]
; %bb.107:
	ds_write_b64 v22, v[9:10] offset:8
; %bb.108:
	s_or_b64 exec, exec, s[10:11]
	s_mov_b64 s[8:9], 0
                                        ; implicit-def: $vgpr19
	s_and_saveexec_b64 s[10:11], s[14:15]
	s_xor_b64 s[10:11], exec, s[10:11]
	s_cbranch_execz .LBB30_112
; %bb.109:
	v_cmp_eq_u32_e32 vcc, v20, v1
                                        ; implicit-def: $vgpr19
	s_and_saveexec_b64 s[12:13], vcc
; %bb.110:
	s_mov_b64 s[8:9], exec
	v_add_u32_e32 v19, v14, v16
; %bb.111:
	s_or_b64 exec, exec, s[12:13]
	s_and_b64 s[8:9], s[8:9], exec
.LBB30_112:
	s_or_saveexec_b64 s[10:11], s[10:11]
	v_mov_b32_e32 v9, 0
	v_mov_b32_e32 v10, 0
	s_xor_b64 exec, exec, s[10:11]
	s_cbranch_execz .LBB30_114
; %bb.113:
	ds_read_b128 v[7:10], v18 offset:1056
	v_lshl_add_u32 v16, v15, 4, v46
	v_add_u32_e32 v19, 48, v16
	s_or_b64 s[8:9], s[8:9], exec
	s_waitcnt lgkmcnt(0)
	v_xor_b32_e32 v10, 0x80000000, v10
	ds_write_b64 v16, v[7:8] offset:48
.LBB30_114:
	s_or_b64 exec, exec, s[10:11]
	s_and_saveexec_b64 s[10:11], s[8:9]
; %bb.115:
	ds_write_b64 v19, v[9:10] offset:8
; %bb.116:
	s_or_b64 exec, exec, s[10:11]
	s_waitcnt lgkmcnt(0)
	s_barrier
	ds_read_b128 v[7:10], v21
	ds_read_b128 v[19:22], v17 offset:512
	ds_read_b128 v[23:26], v17 offset:528
	;; [unrolled: 1-line block ×3, first 2 shown]
	ds_read_b128 v[31:34], v18
	ds_read_b128 v[35:38], v17 offset:544
	ds_read_b128 v[48:51], v18 offset:528
	v_cmp_eq_u32_e64 s[8:9], 1, v13
	s_waitcnt lgkmcnt(5)
	v_mul_f64 v[43:44], v[21:22], v[9:10]
	v_mul_f64 v[9:10], v[19:20], v[9:10]
	s_waitcnt lgkmcnt(2)
	v_mul_f64 v[52:53], v[25:26], v[33:34]
	v_mul_f64 v[33:34], v[23:24], v[33:34]
	v_fma_f64 v[18:19], v[19:20], v[7:8], -v[43:44]
	v_fma_f64 v[20:21], v[21:22], v[7:8], v[9:10]
	s_waitcnt lgkmcnt(0)
	v_mul_f64 v[43:44], v[37:38], v[50:51]
	v_mul_f64 v[50:51], v[35:36], v[50:51]
	v_fma_f64 v[22:23], v[23:24], v[31:32], -v[52:53]
	v_fma_f64 v[24:25], v[25:26], v[31:32], v[33:34]
	ds_read_b128 v[7:10], v17 offset:560
	s_waitcnt lgkmcnt(0)
	v_add_f64 v[18:19], v[18:19], 0
	v_add_f64 v[20:21], v[20:21], 0
	v_fma_f64 v[33:34], v[35:36], v[48:49], -v[43:44]
	v_mul_f64 v[31:32], v[9:10], v[29:30]
	v_mul_f64 v[29:30], v[7:8], v[29:30]
	v_fma_f64 v[35:36], v[37:38], v[48:49], v[50:51]
	s_barrier
	v_add_f64 v[18:19], v[18:19], v[22:23]
	v_add_f64 v[20:21], v[20:21], v[24:25]
	v_fma_f64 v[7:8], v[7:8], v[27:28], -v[31:32]
	v_fma_f64 v[9:10], v[9:10], v[27:28], v[29:30]
	v_add_f64 v[18:19], v[18:19], v[33:34]
	v_add_f64 v[20:21], v[20:21], v[35:36]
	;; [unrolled: 1-line block ×4, first 2 shown]
	ds_write_b128 v47, v[7:10]
	s_waitcnt lgkmcnt(0)
	s_barrier
	s_and_saveexec_b64 s[10:11], s[8:9]
	s_cbranch_execz .LBB30_118
; %bb.117:
	ds_read_b128 v[3:6], v46
	ds_read_b128 v[7:10], v46 offset:16
	s_waitcnt lgkmcnt(0)
	v_add_f64 v[18:19], v[7:8], v[3:4]
	v_add_f64 v[20:21], v[9:10], v[5:6]
	ds_read_b128 v[3:6], v46 offset:32
	ds_read_b128 v[7:10], v46 offset:48
	s_waitcnt lgkmcnt(1)
	v_add_f64 v[3:4], v[18:19], v[3:4]
	v_add_f64 v[5:6], v[20:21], v[5:6]
	s_waitcnt lgkmcnt(0)
	v_add_f64 v[18:19], v[3:4], v[7:8]
	v_add_f64 v[20:21], v[5:6], v[9:10]
	ds_read_b128 v[3:6], v46 offset:64
	ds_read_b128 v[7:10], v46 offset:80
	s_waitcnt lgkmcnt(1)
	v_add_f64 v[3:4], v[18:19], v[3:4]
	v_add_f64 v[5:6], v[20:21], v[5:6]
	;; [unrolled: 8-line block ×3, first 2 shown]
	s_waitcnt lgkmcnt(0)
	v_add_f64 v[3:4], v[3:4], v[7:8]
	v_add_f64 v[5:6], v[5:6], v[9:10]
.LBB30_118:
	s_or_b64 exec, exec, s[10:11]
	v_mov_b32_e32 v7, s35
	v_subrev_co_u32_e64 v43, s[10:11], s34, v11
	s_and_b64 vcc, exec, s[16:17]
	v_subb_co_u32_e64 v44, s[10:11], v12, v7, s[10:11]
	s_barrier
	s_cbranch_vccnz .LBB30_120
; %bb.119:
	s_lshl_b32 s10, s26, 3
	s_ashr_i32 s11, s10, 31
	s_lshl_b64 s[10:11], s[10:11], 4
	v_mov_b32_e32 v8, s11
	v_add_co_u32_e32 v7, vcc, s10, v43
	s_ashr_i32 s27, s26, 31
	v_addc_co_u32_e32 v8, vcc, v44, v8, vcc
	s_lshl_b64 s[10:11], s[26:27], 7
	v_mov_b32_e32 v11, s11
	v_add_co_u32_e32 v9, vcc, s10, v7
	global_load_dwordx4 v[18:21], v[43:44], off
	v_addc_co_u32_e32 v10, vcc, v8, v11, vcc
	global_load_dwordx4 v[22:25], v[7:8], off
	global_load_dwordx4 v[26:29], v[9:10], off
	v_add_co_u32_e32 v7, vcc, s10, v9
	v_addc_co_u32_e32 v8, vcc, v10, v11, vcc
	global_load_dwordx4 v[30:33], v[7:8], off
	s_movk_i32 s10, 0x210
	v_mov_b32_e32 v7, 0x1080
	v_mov_b32_e32 v16, 0x2100
	;; [unrolled: 1-line block ×3, first 2 shown]
	v_mul_u32_u24_e32 v11, 0x210, v13
	v_add_u32_e32 v10, 8, v13
	v_add_u32_e32 v9, 16, v13
	;; [unrolled: 1-line block ×3, first 2 shown]
	v_mad_u32_u24 v35, v13, s10, v14
	v_mad_u32_u24 v8, v13, s10, v7
	;; [unrolled: 1-line block ×4, first 2 shown]
	v_add_u32_e32 v34, v14, v8
	v_add_u32_e32 v36, v14, v7
	;; [unrolled: 1-line block ×3, first 2 shown]
	s_waitcnt vmcnt(3)
	ds_write2_b64 v35, v[18:19], v[20:21] offset1:1
	s_waitcnt vmcnt(2)
	ds_write2_b64 v34, v[22:23], v[24:25] offset1:1
	;; [unrolled: 2-line block ×4, first 2 shown]
	s_cbranch_execz .LBB30_121
	s_branch .LBB30_138
.LBB30_120:
                                        ; implicit-def: $vgpr11
                                        ; implicit-def: $vgpr10
                                        ; implicit-def: $vgpr8
                                        ; implicit-def: $vgpr9
                                        ; implicit-def: $vgpr7
                                        ; implicit-def: $vgpr12
                                        ; implicit-def: $vgpr16
.LBB30_121:
	v_sub_co_u32_e32 v7, vcc, v43, v14
	s_ashr_i32 s23, s22, 31
	v_subbrev_co_u32_e32 v8, vcc, 0, v44, vcc
	s_lshl_b64 s[12:13], s[22:23], 4
	v_mov_b32_e32 v9, s13
	v_add_co_u32_e32 v7, vcc, s12, v7
	v_addc_co_u32_e32 v8, vcc, v8, v9, vcc
	v_or_b32_e32 v1, 32, v1
	v_add_co_u32_e32 v7, vcc, 0xfffffdf0, v7
	v_addc_co_u32_e32 v8, vcc, -1, v8, vcc
	v_cmp_gt_i32_e64 s[10:11], s22, v1
	s_movk_i32 s14, 0x210
	v_cndmask_b32_e64 v8, v8, v44, s[10:11]
	v_cndmask_b32_e64 v7, v7, v43, s[10:11]
	v_cmp_le_i32_e32 vcc, s22, v13
	v_mad_u32_u24 v1, v13, s14, v14
	s_and_saveexec_b64 s[14:15], vcc
	s_xor_b64 s[14:15], exec, s[14:15]
; %bb.122:
	v_mov_b32_e32 v9, 0
	v_mov_b32_e32 v10, v9
	v_mov_b32_e32 v11, v9
	v_mov_b32_e32 v12, v9
	ds_write_b128 v1, v[9:12]
                                        ; implicit-def: $vgpr1
; %bb.123:
	s_andn2_saveexec_b64 s[14:15], s[14:15]
	s_cbranch_execz .LBB30_125
; %bb.124:
	global_load_dwordx4 v[9:12], v[7:8], off
	s_waitcnt vmcnt(0)
	ds_write2_b64 v1, v[9:10], v[11:12] offset1:1
.LBB30_125:
	s_or_b64 exec, exec, s[14:15]
	v_add_u32_e32 v10, 8, v13
	v_mul_u32_u24_e32 v11, 0x210, v13
	v_cmp_le_i32_e32 vcc, s22, v10
	s_and_saveexec_b64 s[14:15], vcc
	s_xor_b64 s[14:15], exec, s[14:15]
	s_cbranch_execz .LBB30_127
; %bb.126:
	v_mov_b32_e32 v18, 0
	v_add_u32_e32 v1, v11, v14
	v_mov_b32_e32 v19, v18
	v_mov_b32_e32 v20, v18
	;; [unrolled: 1-line block ×3, first 2 shown]
	ds_write_b128 v1, v[18:21] offset:4224
.LBB30_127:
	s_andn2_saveexec_b64 s[14:15], s[14:15]
	s_cbranch_execz .LBB30_129
; %bb.128:
	s_lshl_b32 s16, s26, 3
	s_ashr_i32 s17, s16, 31
	s_lshl_b64 s[16:17], s[16:17], 4
	v_mov_b32_e32 v1, s17
	v_add_co_u32_e32 v18, vcc, s16, v7
	v_addc_co_u32_e32 v19, vcc, v8, v1, vcc
	global_load_dwordx4 v[18:21], v[18:19], off
	s_movk_i32 s16, 0x1080
	v_add3_u32 v1, v11, v14, s16
	s_waitcnt vmcnt(0)
	ds_write2_b64 v1, v[18:19], v[20:21] offset1:1
.LBB30_129:
	s_or_b64 exec, exec, s[14:15]
	v_add_u32_e32 v9, 16, v13
	v_cmp_le_i32_e32 vcc, s22, v9
	s_and_saveexec_b64 s[14:15], vcc
	s_xor_b64 s[14:15], exec, s[14:15]
	s_cbranch_execz .LBB30_131
; %bb.130:
	v_mov_b32_e32 v18, 0
	v_add_u32_e32 v1, v11, v14
	v_mov_b32_e32 v19, v18
	v_mov_b32_e32 v20, v18
	;; [unrolled: 1-line block ×3, first 2 shown]
	ds_write_b128 v1, v[18:21] offset:8448
.LBB30_131:
	s_andn2_saveexec_b64 s[14:15], s[14:15]
	s_cbranch_execz .LBB30_133
; %bb.132:
	s_lshl_b32 s16, s26, 4
	s_ashr_i32 s17, s16, 31
	s_lshl_b64 s[16:17], s[16:17], 4
	v_mov_b32_e32 v1, s17
	v_add_co_u32_e32 v18, vcc, s16, v7
	v_addc_co_u32_e32 v19, vcc, v8, v1, vcc
	global_load_dwordx4 v[18:21], v[18:19], off
	s_movk_i32 s16, 0x2100
	v_add3_u32 v1, v11, v14, s16
	s_waitcnt vmcnt(0)
	ds_write2_b64 v1, v[18:19], v[20:21] offset1:1
.LBB30_133:
	s_or_b64 exec, exec, s[14:15]
	v_add_u32_e32 v12, 24, v13
	v_cmp_le_i32_e32 vcc, s22, v12
                                        ; implicit-def: $vgpr16
	s_and_saveexec_b64 s[14:15], vcc
	s_xor_b64 s[14:15], exec, s[14:15]
	s_cbranch_execz .LBB30_135
; %bb.134:
	v_add_u32_e32 v16, 0x3180, v11
	v_mov_b32_e32 v18, 0
	v_add_u32_e32 v1, v14, v16
	v_mov_b32_e32 v19, v18
	v_mov_b32_e32 v20, v18
	;; [unrolled: 1-line block ×3, first 2 shown]
	ds_write_b128 v1, v[18:21]
.LBB30_135:
	s_andn2_saveexec_b64 s[14:15], s[14:15]
	s_cbranch_execz .LBB30_137
; %bb.136:
	s_mul_i32 s16, s26, 24
	s_ashr_i32 s17, s16, 31
	s_lshl_b64 s[16:17], s[16:17], 4
	v_mov_b32_e32 v1, s17
	v_add_co_u32_e32 v18, vcc, s16, v7
	v_addc_co_u32_e32 v19, vcc, v8, v1, vcc
	global_load_dwordx4 v[18:21], v[18:19], off
	v_add_u32_e32 v16, 0x3180, v11
	v_add_u32_e32 v1, v14, v16
	s_waitcnt vmcnt(0)
	ds_write2_b64 v1, v[18:19], v[20:21] offset1:1
.LBB30_137:
	s_or_b64 exec, exec, s[14:15]
	v_add_co_u32_e32 v1, vcc, v7, v14
	v_addc_co_u32_e32 v7, vcc, 0, v8, vcc
	v_mov_b32_e32 v8, s13
	v_subrev_co_u32_e32 v1, vcc, s12, v1
	v_subb_co_u32_e32 v7, vcc, v7, v8, vcc
	v_add_co_u32_e32 v1, vcc, 0x210, v1
	v_addc_co_u32_e32 v7, vcc, 0, v7, vcc
	v_cndmask_b32_e64 v44, v7, v44, s[10:11]
	v_cndmask_b32_e64 v43, v1, v43, s[10:11]
	v_add_u32_e32 v8, 0x1080, v11
	v_add_u32_e32 v7, 0x2100, v11
.LBB30_138:
	v_add_u32_e32 v1, v14, v11
	v_lshlrev_b32_e32 v11, 4, v13
	s_waitcnt lgkmcnt(0)
	s_barrier
	ds_read_b128 v[18:21], v11 offset:18176
	ds_read_b128 v[22:25], v1
	v_add_u32_e32 v1, v14, v8
	v_lshlrev_b32_e32 v8, 4, v10
	ds_read_b128 v[26:29], v8 offset:18176
	ds_read_b128 v[30:33], v1
	v_add_u32_e32 v1, v14, v7
	s_waitcnt lgkmcnt(2)
	v_mul_f64 v[34:35], v[20:21], v[24:25]
	v_mul_f64 v[24:25], v[18:19], v[24:25]
	v_lshlrev_b32_e32 v7, 4, v9
	s_waitcnt lgkmcnt(0)
	v_mul_f64 v[48:49], v[28:29], v[32:33]
	v_mul_f64 v[32:33], v[26:27], v[32:33]
	v_lshlrev_b32_e32 v11, 4, v12
	v_fma_f64 v[18:19], v[18:19], v[22:23], -v[34:35]
	v_fma_f64 v[22:23], v[20:21], v[22:23], v[24:25]
	ds_read_b128 v[7:10], v7 offset:18176
	ds_read_b128 v[34:37], v1
	v_fma_f64 v[26:27], v[26:27], v[30:31], -v[48:49]
	v_fma_f64 v[28:29], v[28:29], v[30:31], v[32:33]
	v_add_u32_e32 v1, v14, v16
	s_waitcnt lgkmcnt(0)
	v_mul_f64 v[48:49], v[9:10], v[36:37]
	v_add_f64 v[24:25], v[18:19], 0
	v_mul_f64 v[36:37], v[7:8], v[36:37]
	v_add_f64 v[22:23], v[22:23], 0
	ds_read_b128 v[11:14], v11 offset:18176
	ds_read2_b64 v[18:21], v1 offset1:1
	v_lshl_add_u32 v1, v15, 4, v46
	v_fma_f64 v[7:8], v[7:8], v[34:35], -v[48:49]
	v_add_f64 v[24:25], v[24:25], v[26:27]
	s_waitcnt lgkmcnt(0)
	v_mul_f64 v[26:27], v[13:14], v[20:21]
	v_fma_f64 v[9:10], v[9:10], v[34:35], v[36:37]
	v_mul_f64 v[20:21], v[11:12], v[20:21]
	v_add_f64 v[22:23], v[22:23], v[28:29]
	v_add_f64 v[29:30], v[24:25], v[7:8]
	v_fma_f64 v[27:28], v[11:12], v[18:19], -v[26:27]
	v_fma_f64 v[18:19], v[13:14], v[18:19], v[20:21]
	v_add_f64 v[20:21], v[22:23], v[9:10]
	ds_read_b128 v[31:34], v1
	ds_read_b128 v[23:26], v1 offset:16
	ds_read_b128 v[11:14], v1 offset:32
	;; [unrolled: 1-line block ×3, first 2 shown]
	v_add_f64 v[48:49], v[29:30], v[27:28]
	v_add_f64 v[50:51], v[20:21], v[18:19]
	ds_read_b128 v[35:38], v17 offset:512
	ds_read_b128 v[27:30], v17 offset:528
	;; [unrolled: 1-line block ×4, first 2 shown]
	s_waitcnt lgkmcnt(0)
	s_barrier
	ds_write_b128 v47, v[48:51]
	s_waitcnt lgkmcnt(0)
	s_barrier
	s_and_saveexec_b64 s[10:11], s[8:9]
	s_cbranch_execz .LBB30_140
; %bb.139:
	ds_read_b128 v[48:51], v46
	ds_read_b128 v[52:55], v46 offset:16
	s_waitcnt lgkmcnt(1)
	v_add_f64 v[3:4], v[3:4], v[48:49]
	v_add_f64 v[5:6], v[5:6], v[50:51]
	s_waitcnt lgkmcnt(0)
	v_add_f64 v[52:53], v[3:4], v[52:53]
	v_add_f64 v[54:55], v[5:6], v[54:55]
	ds_read_b128 v[3:6], v46 offset:32
	ds_read_b128 v[48:51], v46 offset:48
	s_waitcnt lgkmcnt(1)
	v_add_f64 v[3:4], v[52:53], v[3:4]
	v_add_f64 v[5:6], v[54:55], v[5:6]
	s_waitcnt lgkmcnt(0)
	v_add_f64 v[52:53], v[3:4], v[48:49]
	v_add_f64 v[54:55], v[5:6], v[50:51]
	ds_read_b128 v[3:6], v46 offset:64
	;; [unrolled: 8-line block ×3, first 2 shown]
	ds_read_b128 v[48:51], v46 offset:112
	s_waitcnt lgkmcnt(1)
	v_add_f64 v[3:4], v[52:53], v[3:4]
	v_add_f64 v[5:6], v[54:55], v[5:6]
	s_waitcnt lgkmcnt(0)
	v_add_f64 v[3:4], v[3:4], v[48:49]
	v_add_f64 v[5:6], v[5:6], v[50:51]
.LBB30_140:
	s_or_b64 exec, exec, s[10:11]
	v_mul_f64 v[48:49], v[33:34], v[37:38]
	v_mul_f64 v[33:34], v[33:34], v[35:36]
	;; [unrolled: 1-line block ×4, first 2 shown]
	s_barrier
	v_fma_f64 v[35:36], v[31:32], v[35:36], v[48:49]
	v_fma_f64 v[31:32], v[31:32], v[37:38], -v[33:34]
	v_mul_f64 v[33:34], v[13:14], v[21:22]
	v_mul_f64 v[13:14], v[13:14], v[19:20]
	v_fma_f64 v[27:28], v[23:24], v[27:28], v[50:51]
	v_fma_f64 v[23:24], v[23:24], v[29:30], -v[25:26]
	v_add_f64 v[25:26], v[35:36], 0
	v_add_f64 v[29:30], v[31:32], 0
	v_mul_f64 v[31:32], v[9:10], v[17:18]
	v_mul_f64 v[9:10], v[9:10], v[15:16]
	v_fma_f64 v[19:20], v[11:12], v[19:20], v[33:34]
	v_fma_f64 v[11:12], v[11:12], v[21:22], -v[13:14]
	v_add_f64 v[13:14], v[25:26], v[27:28]
	v_add_f64 v[21:22], v[29:30], v[23:24]
	v_fma_f64 v[15:16], v[7:8], v[15:16], v[31:32]
	v_fma_f64 v[9:10], v[7:8], v[17:18], -v[9:10]
	v_add_f64 v[7:8], v[13:14], v[19:20]
	v_add_f64 v[11:12], v[21:22], v[11:12]
	;; [unrolled: 1-line block ×4, first 2 shown]
	ds_write_b128 v47, v[7:10]
	s_waitcnt lgkmcnt(0)
	s_barrier
	s_and_saveexec_b64 s[8:9], s[20:21]
	s_cbranch_execz .LBB30_142
; %bb.141:
	ds_read_b128 v[7:10], v46
	ds_read_b128 v[11:14], v46 offset:16
	s_waitcnt lgkmcnt(1)
	v_add_f64 v[3:4], v[3:4], v[7:8]
	v_add_f64 v[5:6], v[5:6], v[9:10]
	s_waitcnt lgkmcnt(0)
	v_add_f64 v[11:12], v[3:4], v[11:12]
	v_add_f64 v[13:14], v[5:6], v[13:14]
	ds_read_b128 v[3:6], v46 offset:32
	ds_read_b128 v[7:10], v46 offset:48
	s_waitcnt lgkmcnt(1)
	v_add_f64 v[3:4], v[11:12], v[3:4]
	v_add_f64 v[5:6], v[13:14], v[5:6]
	s_waitcnt lgkmcnt(0)
	v_add_f64 v[11:12], v[3:4], v[7:8]
	v_add_f64 v[13:14], v[5:6], v[9:10]
	ds_read_b128 v[3:6], v46 offset:64
	;; [unrolled: 8-line block ×3, first 2 shown]
	ds_read_b128 v[7:10], v46 offset:112
	s_waitcnt lgkmcnt(1)
	v_add_f64 v[3:4], v[11:12], v[3:4]
	v_add_f64 v[5:6], v[13:14], v[5:6]
	s_waitcnt lgkmcnt(0)
	v_add_f64 v[3:4], v[3:4], v[7:8]
	v_add_f64 v[5:6], v[5:6], v[9:10]
.LBB30_142:
	s_or_b64 exec, exec, s[8:9]
	s_load_dwordx2 s[4:5], s[4:5], 0x78
	s_mul_hi_u32 s8, s40, s7
	s_mul_i32 s42, s42, s7
	s_add_i32 s8, s8, s42
	s_mul_i32 s7, s40, s7
	s_mul_i32 s8, s8, s41
	s_mul_hi_u32 s9, s7, s41
	s_add_i32 s9, s9, s8
	s_mul_i32 s8, s7, s41
	s_lshl_b64 s[8:9], s[8:9], 4
	s_waitcnt lgkmcnt(0)
	s_add_u32 s7, s4, s8
	s_mul_i32 s4, s40, s6
	s_addc_u32 s8, s5, s9
	s_ashr_i32 s5, s4, 31
	s_lshl_b64 s[4:5], s[4:5], 4
	s_add_u32 s7, s7, s4
	v_cmp_le_i32_e32 vcc, s22, v0
	s_addc_u32 s16, s8, s5
	s_and_b64 vcc, s[30:31], vcc
	s_cmp_lt_i32 s6, 1
	v_lshlrev_b32_e32 v146, 4, v0
	s_barrier
	s_cbranch_scc1 .LBB30_149
; %bb.143:
	s_mul_i32 s4, s33, s24
	s_ashr_i32 s5, s4, 31
	s_lshl_b64 s[4:5], s[4:5], 4
	v_mov_b32_e32 v1, s5
	v_subrev_co_u32_e64 v147, s[4:5], s4, v39
	v_mul_lo_u32 v8, v2, s26
	v_subb_co_u32_e64 v148, s[4:5], v40, v1, s[4:5]
	v_mov_b32_e32 v1, s29
	v_subrev_co_u32_e64 v7, s[4:5], s28, v43
	v_subb_co_u32_e64 v1, s[4:5], v44, v1, s[4:5]
	v_sub_co_u32_e64 v11, s[4:5], v7, v41
	v_lshl_add_u32 v7, v8, 2, v0
	v_ashrrev_i32_e32 v8, 31, v7
	v_lshlrev_b64 v[7:8], 4, v[7:8]
	v_subb_co_u32_e64 v1, s[4:5], v1, v42, s[4:5]
	v_add_co_u32_e64 v7, s[4:5], v11, v7
	v_addc_co_u32_e64 v8, s[4:5], v1, v8, s[4:5]
	s_movk_i32 s4, 0xfe00
	v_add_co_u32_e64 v11, s[4:5], s4, v7
	v_addc_co_u32_e64 v12, s[4:5], -1, v8, s[4:5]
	v_sub_co_u32_e64 v7, s[4:5], v7, v146
	v_subbrev_co_u32_e64 v8, s[4:5], 0, v8, s[4:5]
	s_ashr_i32 s23, s22, 31
	s_lshl_b64 s[4:5], s[22:23], 4
	v_mov_b32_e32 v13, s5
	v_add_co_u32_e64 v7, s[4:5], s4, v7
	v_addc_co_u32_e64 v8, s[4:5], v8, v13, s[4:5]
	s_movk_i32 s4, 0xfdf0
	v_add_co_u32_e64 v7, s[4:5], s4, v7
	v_addc_co_u32_e64 v8, s[4:5], -1, v8, s[4:5]
	v_lshrrev_b32_e32 v9, 4, v45
	v_cndmask_b32_e32 v12, v12, v8, vcc
	v_cndmask_b32_e32 v11, v11, v7, vcc
	v_mov_b32_e32 v7, 0x4300
	v_and_b32_e32 v8, 48, v0
	v_and_b32_e32 v10, 15, v0
	v_lshl_add_u32 v150, v2, 6, v7
	v_lshlrev_b32_e32 v7, 6, v9
	s_movk_i32 s8, 0x430
	v_lshlrev_b32_e32 v8, 4, v8
	s_ashr_i32 s27, s26, 31
	s_movk_i32 s4, 0x10c0
	v_mad_u32_u24 v153, v10, s8, v7
	v_mul_i32_i24_e32 v7, 0xffffffd0, v9
	v_mad_u32_u24 v154, v10, s8, v8
	v_or_b32_e32 v8, 0xf0, v146
	s_lshl_b64 s[10:11], s[26:27], 4
	s_mul_hi_i32 s18, s26, 0xd0
	v_mov_b32_e32 v1, 0
	s_lshl_b32 s17, s33, 6
	v_add_u32_e32 v149, 0x4300, v146
	v_add_u32_e32 v151, 0x4700, v146
	v_mad_u32_u24 v152, v2, s4, v146
	v_cmp_gt_u32_e64 s[4:5], 64, v45
	v_mad_u32_u24 v155, v10, s8, v8
	s_mul_i32 s19, s26, 0xd0
	s_mov_b32 s12, 0
	v_mov_b32_e32 v156, s11
	v_mov_b32_e32 v157, s18
	v_add_u32_e32 v158, v153, v7
	s_branch .LBB30_145
.LBB30_144:                             ;   in Loop: Header=BB30_145 Depth=1
	s_or_b64 exec, exec, s[14:15]
	v_mul_f64 v[87:88], v[9:10], v[37:38]
	v_mul_f64 v[37:38], v[7:8], v[37:38]
	;; [unrolled: 1-line block ×4, first 2 shown]
	s_add_i32 s6, s6, -1
	s_add_i32 s12, s12, s17
	v_add_u32_e32 v0, 64, v0
	s_cmp_eq_u32 s6, 0
	v_fma_f64 v[7:8], v[7:8], v[35:36], -v[87:88]
	v_fma_f64 v[9:10], v[9:10], v[35:36], v[37:38]
	v_mul_f64 v[35:36], v[17:18], v[29:30]
	v_mul_f64 v[29:30], v[15:16], v[29:30]
	v_fma_f64 v[19:20], v[19:20], v[31:32], -v[89:90]
	v_fma_f64 v[21:22], v[21:22], v[31:32], v[33:34]
	s_waitcnt vmcnt(0)
	s_barrier
	v_add_f64 v[3:4], v[3:4], v[7:8]
	v_add_f64 v[5:6], v[5:6], v[9:10]
	v_mul_f64 v[7:8], v[13:14], v[25:26]
	v_mul_f64 v[9:10], v[11:12], v[25:26]
	v_fma_f64 v[15:16], v[15:16], v[27:28], -v[35:36]
	v_fma_f64 v[17:18], v[17:18], v[27:28], v[29:30]
	v_add_f64 v[3:4], v[3:4], v[19:20]
	v_add_f64 v[5:6], v[5:6], v[21:22]
	v_mul_f64 v[19:20], v[49:50], v[85:86]
	v_mul_f64 v[21:22], v[47:48], v[85:86]
	v_fma_f64 v[7:8], v[11:12], v[23:24], -v[7:8]
	v_fma_f64 v[9:10], v[13:14], v[23:24], v[9:10]
	v_mul_f64 v[11:12], v[53:54], v[81:82]
	v_mul_f64 v[13:14], v[51:52], v[81:82]
	v_add_f64 v[3:4], v[3:4], v[15:16]
	v_add_f64 v[5:6], v[5:6], v[17:18]
	v_fma_f64 v[15:16], v[47:48], v[83:84], -v[19:20]
	v_fma_f64 v[17:18], v[49:50], v[83:84], v[21:22]
	v_fma_f64 v[11:12], v[51:52], v[79:80], -v[11:12]
	v_fma_f64 v[13:14], v[53:54], v[79:80], v[13:14]
	v_add_f64 v[3:4], v[3:4], v[7:8]
	v_add_f64 v[5:6], v[5:6], v[9:10]
	v_mul_f64 v[7:8], v[45:46], v[77:78]
	v_mul_f64 v[9:10], v[43:44], v[77:78]
	v_add_f64 v[3:4], v[3:4], v[15:16]
	v_add_f64 v[5:6], v[5:6], v[17:18]
	v_mul_f64 v[15:16], v[41:42], v[73:74]
	v_mul_f64 v[17:18], v[39:40], v[73:74]
	v_fma_f64 v[7:8], v[43:44], v[75:76], -v[7:8]
	v_fma_f64 v[9:10], v[45:46], v[75:76], v[9:10]
	v_add_f64 v[3:4], v[3:4], v[11:12]
	v_add_f64 v[5:6], v[5:6], v[13:14]
	v_mul_f64 v[11:12], v[65:66], v[125:126]
	v_mul_f64 v[13:14], v[63:64], v[125:126]
	v_fma_f64 v[15:16], v[39:40], v[71:72], -v[15:16]
	v_fma_f64 v[17:18], v[41:42], v[71:72], v[17:18]
	;; [unrolled: 6-line block ×9, first 2 shown]
	v_add_f64 v[3:4], v[3:4], v[15:16]
	v_add_f64 v[5:6], v[5:6], v[17:18]
	v_fma_f64 v[7:8], v[107:108], v[127:128], -v[7:8]
	v_fma_f64 v[9:10], v[109:110], v[127:128], v[9:10]
	v_add_f64 v[3:4], v[3:4], v[11:12]
	v_add_f64 v[5:6], v[5:6], v[13:14]
	v_add_co_u32_e64 v11, s[8:9], s19, v144
	v_add_f64 v[3:4], v[3:4], v[7:8]
	v_add_f64 v[5:6], v[5:6], v[9:10]
	v_mov_b32_e32 v7, s18
	v_addc_co_u32_e64 v12, s[8:9], v145, v7, s[8:9]
	s_cbranch_scc1 .LBB30_149
.LBB30_145:                             ; =>This Inner Loop Header: Depth=1
	s_and_saveexec_b64 s[14:15], s[2:3]
	s_cbranch_execz .LBB30_147
; %bb.146:                              ;   in Loop: Header=BB30_145 Depth=1
	s_ashr_i32 s13, s12, 31
	s_lshl_b64 s[8:9], s[12:13], 4
	v_mov_b32_e32 v8, s9
	v_add_co_u32_e64 v7, s[8:9], s8, v147
	v_addc_co_u32_e64 v8, s[8:9], v148, v8, s[8:9]
	global_load_dwordx4 v[7:10], v[7:8], off
	s_waitcnt vmcnt(0)
	ds_write2_b64 v149, v[7:8], v[9:10] offset1:1
.LBB30_147:                             ;   in Loop: Header=BB30_145 Depth=1
	s_or_b64 exec, exec, s[14:15]
	s_waitcnt lgkmcnt(0)
	s_barrier
	global_load_dwordx4 v[7:10], v[11:12], off
	v_add_co_u32_e64 v11, s[8:9], s10, v11
	v_addc_co_u32_e64 v12, s[8:9], v12, v156, s[8:9]
	v_add_co_u32_e64 v13, s[8:9], s10, v11
	v_addc_co_u32_e64 v14, s[8:9], v12, v156, s[8:9]
	v_add_co_u32_e64 v43, s[8:9], s10, v13
	global_load_dwordx4 v[19:22], v[11:12], off
	global_load_dwordx4 v[15:18], v[13:14], off
	v_addc_co_u32_e64 v44, s[8:9], v14, v156, s[8:9]
	global_load_dwordx4 v[11:14], v[43:44], off
	ds_read_b128 v[39:42], v151
	ds_read_b128 v[35:38], v150
	ds_read_b128 v[31:34], v150 offset:16
	ds_read_b128 v[27:30], v150 offset:32
	;; [unrolled: 1-line block ×3, first 2 shown]
	v_add_co_u32_e64 v55, s[8:9], s19, v43
	v_addc_co_u32_e64 v56, s[8:9], v44, v157, s[8:9]
	v_add_co_u32_e64 v57, s[8:9], s10, v55
	v_addc_co_u32_e64 v58, s[8:9], v56, v156, s[8:9]
	s_waitcnt vmcnt(3) lgkmcnt(4)
	v_mul_f64 v[43:44], v[9:10], v[41:42]
	v_mul_f64 v[45:46], v[9:10], v[39:40]
	v_fma_f64 v[43:44], v[7:8], v[39:40], v[43:44]
	v_fma_f64 v[45:46], v[7:8], v[41:42], -v[45:46]
	s_waitcnt vmcnt(2)
	v_mul_f64 v[47:48], v[21:22], v[41:42]
	v_mul_f64 v[49:50], v[21:22], v[39:40]
	s_waitcnt vmcnt(1)
	v_mul_f64 v[51:52], v[17:18], v[41:42]
	v_mul_f64 v[53:54], v[17:18], v[39:40]
	;; [unrolled: 3-line block ×3, first 2 shown]
	v_fma_f64 v[47:48], v[19:20], v[39:40], v[47:48]
	v_fma_f64 v[49:50], v[19:20], v[41:42], -v[49:50]
	v_fma_f64 v[51:52], v[15:16], v[39:40], v[51:52]
	v_fma_f64 v[53:54], v[15:16], v[41:42], -v[53:54]
	;; [unrolled: 2-line block ×3, first 2 shown]
	v_add_co_u32_e64 v59, s[8:9], s10, v57
	v_addc_co_u32_e64 v60, s[8:9], v58, v156, s[8:9]
	ds_write_b128 v152, v[43:46]
	ds_write_b128 v152, v[47:50] offset:1072
	ds_write_b128 v152, v[51:54] offset:2144
	;; [unrolled: 1-line block ×3, first 2 shown]
	s_waitcnt lgkmcnt(0)
	s_barrier
	ds_read_b128 v[127:130], v153
	ds_read_b128 v[131:134], v153 offset:16
	ds_read_b128 v[91:94], v153 offset:32
	;; [unrolled: 1-line block ×3, first 2 shown]
	s_waitcnt lgkmcnt(0)
	s_barrier
	global_load_dwordx4 v[47:50], v[55:56], off
	global_load_dwordx4 v[51:54], v[57:58], off
	;; [unrolled: 1-line block ×3, first 2 shown]
	v_add_co_u32_e64 v55, s[8:9], s10, v59
	v_addc_co_u32_e64 v56, s[8:9], v60, v156, s[8:9]
	global_load_dwordx4 v[39:42], v[55:56], off
	v_add_co_u32_e64 v95, s[8:9], s19, v55
	v_addc_co_u32_e64 v96, s[8:9], v56, v157, s[8:9]
	ds_read_b128 v[55:58], v151
	v_add_co_u32_e64 v97, s[8:9], s10, v95
	v_addc_co_u32_e64 v98, s[8:9], v96, v156, s[8:9]
	v_add_co_u32_e64 v99, s[8:9], s10, v97
	v_addc_co_u32_e64 v100, s[8:9], v98, v156, s[8:9]
	s_waitcnt vmcnt(3) lgkmcnt(0)
	v_mul_f64 v[59:60], v[49:50], v[57:58]
	v_mul_f64 v[61:62], v[49:50], v[55:56]
	s_waitcnt vmcnt(2)
	v_mul_f64 v[63:64], v[53:54], v[57:58]
	v_mul_f64 v[65:66], v[53:54], v[55:56]
	s_waitcnt vmcnt(1)
	;; [unrolled: 3-line block ×3, first 2 shown]
	v_mul_f64 v[71:72], v[41:42], v[57:58]
	v_mul_f64 v[73:74], v[41:42], v[55:56]
	v_fma_f64 v[59:60], v[47:48], v[55:56], v[59:60]
	v_fma_f64 v[61:62], v[47:48], v[57:58], -v[61:62]
	v_fma_f64 v[63:64], v[51:52], v[55:56], v[63:64]
	v_fma_f64 v[65:66], v[51:52], v[57:58], -v[65:66]
	;; [unrolled: 2-line block ×4, first 2 shown]
	ds_read_b128 v[83:86], v150 offset:256
	ds_read_b128 v[79:82], v150 offset:272
	;; [unrolled: 1-line block ×4, first 2 shown]
	ds_write_b128 v152, v[59:62]
	ds_write_b128 v152, v[63:66] offset:1072
	ds_write_b128 v152, v[67:70] offset:2144
	;; [unrolled: 1-line block ×3, first 2 shown]
	s_waitcnt lgkmcnt(0)
	s_barrier
	ds_read_b128 v[159:162], v153
	ds_read_b128 v[163:166], v153 offset:16
	ds_read_b128 v[167:170], v153 offset:32
	ds_read_b128 v[171:174], v153 offset:48
	s_waitcnt lgkmcnt(0)
	s_barrier
	global_load_dwordx4 v[63:66], v[95:96], off
	global_load_dwordx4 v[59:62], v[97:98], off
	;; [unrolled: 1-line block ×3, first 2 shown]
	v_add_co_u32_e64 v95, s[8:9], s10, v99
	v_addc_co_u32_e64 v96, s[8:9], v100, v156, s[8:9]
	global_load_dwordx4 v[67:70], v[95:96], off
	v_add_co_u32_e64 v135, s[8:9], s19, v95
	v_addc_co_u32_e64 v136, s[8:9], v96, v157, s[8:9]
	ds_read_b128 v[95:98], v151
	v_add_co_u32_e64 v137, s[8:9], s10, v135
	v_addc_co_u32_e64 v138, s[8:9], v136, v156, s[8:9]
	v_add_co_u32_e64 v139, s[8:9], s10, v137
	v_addc_co_u32_e64 v140, s[8:9], v138, v156, s[8:9]
	;; [unrolled: 2-line block ×3, first 2 shown]
	v_add_f64 v[211:212], v[159:160], 0
	v_add_f64 v[163:164], v[211:212], v[163:164]
	;; [unrolled: 1-line block ×3, first 2 shown]
	s_waitcnt vmcnt(3) lgkmcnt(0)
	v_mul_f64 v[99:100], v[65:66], v[97:98]
	v_mul_f64 v[101:102], v[65:66], v[95:96]
	s_waitcnt vmcnt(2)
	v_mul_f64 v[103:104], v[61:62], v[97:98]
	v_mul_f64 v[105:106], v[61:62], v[95:96]
	s_waitcnt vmcnt(1)
	v_mul_f64 v[107:108], v[57:58], v[97:98]
	v_mul_f64 v[109:110], v[57:58], v[95:96]
	s_waitcnt vmcnt(0)
	v_mul_f64 v[111:112], v[69:70], v[97:98]
	v_mul_f64 v[113:114], v[69:70], v[95:96]
	v_fma_f64 v[99:100], v[63:64], v[95:96], v[99:100]
	v_fma_f64 v[101:102], v[63:64], v[97:98], -v[101:102]
	v_fma_f64 v[103:104], v[59:60], v[95:96], v[103:104]
	v_fma_f64 v[105:106], v[59:60], v[97:98], -v[105:106]
	;; [unrolled: 2-line block ×4, first 2 shown]
	ds_read_b128 v[123:126], v150 offset:512
	ds_read_b128 v[119:122], v150 offset:528
	;; [unrolled: 1-line block ×4, first 2 shown]
	ds_write_b128 v152, v[99:102]
	ds_write_b128 v152, v[103:106] offset:1072
	ds_write_b128 v152, v[107:110] offset:2144
	;; [unrolled: 1-line block ×3, first 2 shown]
	s_waitcnt lgkmcnt(0)
	s_barrier
	ds_read_b128 v[175:178], v153
	ds_read_b128 v[179:182], v153 offset:16
	ds_read_b128 v[183:186], v153 offset:32
	;; [unrolled: 1-line block ×3, first 2 shown]
	s_waitcnt lgkmcnt(0)
	s_barrier
	global_load_dwordx4 v[99:102], v[135:136], off
	global_load_dwordx4 v[95:98], v[137:138], off
	;; [unrolled: 1-line block ×4, first 2 shown]
	v_add_f64 v[135:136], v[127:128], 0
	v_add_f64 v[137:138], v[129:130], 0
	ds_read_b128 v[127:130], v151
	v_add_f64 v[175:176], v[175:176], 0
	v_add_f64 v[177:178], v[177:178], 0
	;; [unrolled: 1-line block ×9, first 2 shown]
	s_waitcnt vmcnt(3) lgkmcnt(0)
	v_mul_f64 v[131:132], v[101:102], v[129:130]
	v_mul_f64 v[133:134], v[101:102], v[127:128]
	s_waitcnt vmcnt(2)
	v_mul_f64 v[135:136], v[97:98], v[129:130]
	v_mul_f64 v[137:138], v[97:98], v[127:128]
	s_waitcnt vmcnt(1)
	v_mul_f64 v[139:140], v[105:106], v[129:130]
	v_mul_f64 v[141:142], v[105:106], v[127:128]
	s_waitcnt vmcnt(0)
	v_mul_f64 v[159:160], v[109:110], v[129:130]
	v_mul_f64 v[205:206], v[109:110], v[127:128]
	v_fma_f64 v[191:192], v[99:100], v[127:128], v[131:132]
	v_fma_f64 v[193:194], v[99:100], v[129:130], -v[133:134]
	v_fma_f64 v[195:196], v[95:96], v[127:128], v[135:136]
	v_fma_f64 v[197:198], v[95:96], v[129:130], -v[137:138]
	;; [unrolled: 2-line block ×4, first 2 shown]
	ds_read_b128 v[139:142], v150 offset:768
	ds_read_b128 v[135:138], v150 offset:784
	;; [unrolled: 1-line block ×4, first 2 shown]
	ds_write_b128 v152, v[191:194]
	ds_write_b128 v152, v[195:198] offset:1072
	ds_write_b128 v152, v[199:202] offset:2144
	ds_write_b128 v152, v[203:206] offset:3216
	s_waitcnt lgkmcnt(0)
	s_barrier
	ds_read_b128 v[191:194], v153
	v_add_f64 v[195:196], v[161:162], 0
	ds_read_b128 v[159:162], v153 offset:16
	v_add_f64 v[197:198], v[207:208], v[91:92]
	ds_read_b128 v[91:94], v153 offset:32
	s_waitcnt lgkmcnt(2)
	v_add_f64 v[191:192], v[191:192], 0
	v_add_f64 v[193:194], v[193:194], 0
	;; [unrolled: 1-line block ×4, first 2 shown]
	s_waitcnt lgkmcnt(1)
	v_add_f64 v[181:182], v[191:192], v[159:160]
	v_add_f64 v[191:192], v[193:194], v[161:162]
	ds_read_b128 v[159:162], v153 offset:48
	s_waitcnt lgkmcnt(0)
	v_add_f64 v[165:166], v[165:166], v[169:170]
	v_add_f64 v[169:170], v[177:178], v[185:186]
	s_barrier
	v_add_f64 v[175:176], v[181:182], v[91:92]
	v_add_f64 v[177:178], v[191:192], v[93:94]
	;; [unrolled: 1-line block ×8, first 2 shown]
	ds_write_b128 v158, v[87:90]
	ds_write_b128 v158, v[91:94] offset:256
	ds_write_b128 v158, v[163:166] offset:512
	;; [unrolled: 1-line block ×3, first 2 shown]
	s_waitcnt lgkmcnt(0)
	s_barrier
	s_and_saveexec_b64 s[14:15], s[4:5]
	s_cbranch_execz .LBB30_144
; %bb.148:                              ;   in Loop: Header=BB30_145 Depth=1
	ds_read_b128 v[87:90], v154
	ds_read_b128 v[91:94], v154 offset:16
	s_waitcnt lgkmcnt(0)
	v_add_f64 v[159:160], v[91:92], v[87:88]
	v_add_f64 v[161:162], v[93:94], v[89:90]
	ds_read_b128 v[87:90], v154 offset:32
	ds_read_b128 v[91:94], v154 offset:48
	s_waitcnt lgkmcnt(1)
	v_add_f64 v[87:88], v[159:160], v[87:88]
	v_add_f64 v[89:90], v[161:162], v[89:90]
	s_waitcnt lgkmcnt(0)
	v_add_f64 v[159:160], v[87:88], v[91:92]
	v_add_f64 v[161:162], v[89:90], v[93:94]
	ds_read_b128 v[87:90], v154 offset:64
	ds_read_b128 v[91:94], v154 offset:80
	s_waitcnt lgkmcnt(1)
	v_add_f64 v[87:88], v[159:160], v[87:88]
	v_add_f64 v[89:90], v[161:162], v[89:90]
	;; [unrolled: 8-line block ×6, first 2 shown]
	s_waitcnt lgkmcnt(0)
	v_add_f64 v[159:160], v[87:88], v[91:92]
	v_add_f64 v[161:162], v[89:90], v[93:94]
	ds_read_b128 v[87:90], v154 offset:224
	ds_read_b128 v[91:94], v155
	s_waitcnt lgkmcnt(1)
	v_add_f64 v[87:88], v[159:160], v[87:88]
	v_add_f64 v[89:90], v[161:162], v[89:90]
	s_waitcnt lgkmcnt(0)
	v_add_f64 v[87:88], v[87:88], v[91:92]
	v_add_f64 v[89:90], v[89:90], v[93:94]
	v_lshlrev_b64 v[91:92], 4, v[0:1]
	v_mov_b32_e32 v93, s16
	v_add_co_u32_e64 v91, s[8:9], s7, v91
	v_addc_co_u32_e64 v92, s[8:9], v93, v92, s[8:9]
	global_store_dwordx4 v[91:92], v[87:90], off
	s_branch .LBB30_144
.LBB30_149:
	s_movk_i32 s2, 0x430
	v_mad_u32_u24 v0, v2, s2, v146
	s_nor_b64 s[0:1], s[0:1], vcc
	ds_write_b128 v0, v[3:6]
	s_waitcnt lgkmcnt(0)
	s_barrier
	s_and_saveexec_b64 s[2:3], s[0:1]
	s_cbranch_execz .LBB30_151
; %bb.150:
	ds_read_b128 v[0:3], v146 offset:1072
	ds_read_b128 v[4:7], v146
	v_ashrrev_i32_e32 v144, 31, v143
	s_waitcnt lgkmcnt(0)
	v_add_f64 v[8:9], v[0:1], v[4:5]
	v_add_f64 v[10:11], v[2:3], v[6:7]
	ds_read_b128 v[0:3], v146 offset:2144
	ds_read_b128 v[4:7], v146 offset:3216
	s_waitcnt lgkmcnt(1)
	v_add_f64 v[0:1], v[8:9], v[0:1]
	v_add_f64 v[2:3], v[10:11], v[2:3]
	s_waitcnt lgkmcnt(0)
	v_add_f64 v[0:1], v[0:1], v[4:5]
	v_add_f64 v[2:3], v[2:3], v[6:7]
	v_lshlrev_b64 v[4:5], 4, v[143:144]
	v_mov_b32_e32 v6, s16
	v_add_co_u32_e32 v4, vcc, s7, v4
	v_addc_co_u32_e32 v5, vcc, v6, v5, vcc
	global_store_dwordx4 v[4:5], v[0:3], off
.LBB30_151:
	s_endpgm
	.section	.rodata,"a",@progbits
	.p2align	6, 0x0
	.amdhsa_kernel _ZL26rocblas_hemvn_kernel_lowerILb1ELi64ELi4ELi33ELi32ELi16Ei19rocblas_complex_numIdEPKS1_PS1_EviT6_lT7_lT5_lS6_lS7_lS5_lT8_i
		.amdhsa_group_segment_fixed_size 19200
		.amdhsa_private_segment_fixed_size 0
		.amdhsa_kernarg_size 392
		.amdhsa_user_sgpr_count 6
		.amdhsa_user_sgpr_private_segment_buffer 1
		.amdhsa_user_sgpr_dispatch_ptr 0
		.amdhsa_user_sgpr_queue_ptr 0
		.amdhsa_user_sgpr_kernarg_segment_ptr 1
		.amdhsa_user_sgpr_dispatch_id 0
		.amdhsa_user_sgpr_flat_scratch_init 0
		.amdhsa_user_sgpr_private_segment_size 0
		.amdhsa_uses_dynamic_stack 0
		.amdhsa_system_sgpr_private_segment_wavefront_offset 0
		.amdhsa_system_sgpr_workgroup_id_x 1
		.amdhsa_system_sgpr_workgroup_id_y 0
		.amdhsa_system_sgpr_workgroup_id_z 1
		.amdhsa_system_sgpr_workgroup_info 0
		.amdhsa_system_vgpr_workitem_id 1
		.amdhsa_next_free_vgpr 213
		.amdhsa_next_free_sgpr 98
		.amdhsa_reserve_vcc 1
		.amdhsa_reserve_flat_scratch 0
		.amdhsa_float_round_mode_32 0
		.amdhsa_float_round_mode_16_64 0
		.amdhsa_float_denorm_mode_32 3
		.amdhsa_float_denorm_mode_16_64 3
		.amdhsa_dx10_clamp 1
		.amdhsa_ieee_mode 1
		.amdhsa_fp16_overflow 0
		.amdhsa_exception_fp_ieee_invalid_op 0
		.amdhsa_exception_fp_denorm_src 0
		.amdhsa_exception_fp_ieee_div_zero 0
		.amdhsa_exception_fp_ieee_overflow 0
		.amdhsa_exception_fp_ieee_underflow 0
		.amdhsa_exception_fp_ieee_inexact 0
		.amdhsa_exception_int_div_zero 0
	.end_amdhsa_kernel
	.section	.text._ZL26rocblas_hemvn_kernel_lowerILb1ELi64ELi4ELi33ELi32ELi16Ei19rocblas_complex_numIdEPKS1_PS1_EviT6_lT7_lT5_lS6_lS7_lS5_lT8_i,"axG",@progbits,_ZL26rocblas_hemvn_kernel_lowerILb1ELi64ELi4ELi33ELi32ELi16Ei19rocblas_complex_numIdEPKS1_PS1_EviT6_lT7_lT5_lS6_lS7_lS5_lT8_i,comdat
.Lfunc_end30:
	.size	_ZL26rocblas_hemvn_kernel_lowerILb1ELi64ELi4ELi33ELi32ELi16Ei19rocblas_complex_numIdEPKS1_PS1_EviT6_lT7_lT5_lS6_lS7_lS5_lT8_i, .Lfunc_end30-_ZL26rocblas_hemvn_kernel_lowerILb1ELi64ELi4ELi33ELi32ELi16Ei19rocblas_complex_numIdEPKS1_PS1_EviT6_lT7_lT5_lS6_lS7_lS5_lT8_i
                                        ; -- End function
	.set _ZL26rocblas_hemvn_kernel_lowerILb1ELi64ELi4ELi33ELi32ELi16Ei19rocblas_complex_numIdEPKS1_PS1_EviT6_lT7_lT5_lS6_lS7_lS5_lT8_i.num_vgpr, 213
	.set _ZL26rocblas_hemvn_kernel_lowerILb1ELi64ELi4ELi33ELi32ELi16Ei19rocblas_complex_numIdEPKS1_PS1_EviT6_lT7_lT5_lS6_lS7_lS5_lT8_i.num_agpr, 0
	.set _ZL26rocblas_hemvn_kernel_lowerILb1ELi64ELi4ELi33ELi32ELi16Ei19rocblas_complex_numIdEPKS1_PS1_EviT6_lT7_lT5_lS6_lS7_lS5_lT8_i.numbered_sgpr, 46
	.set _ZL26rocblas_hemvn_kernel_lowerILb1ELi64ELi4ELi33ELi32ELi16Ei19rocblas_complex_numIdEPKS1_PS1_EviT6_lT7_lT5_lS6_lS7_lS5_lT8_i.num_named_barrier, 0
	.set _ZL26rocblas_hemvn_kernel_lowerILb1ELi64ELi4ELi33ELi32ELi16Ei19rocblas_complex_numIdEPKS1_PS1_EviT6_lT7_lT5_lS6_lS7_lS5_lT8_i.private_seg_size, 0
	.set _ZL26rocblas_hemvn_kernel_lowerILb1ELi64ELi4ELi33ELi32ELi16Ei19rocblas_complex_numIdEPKS1_PS1_EviT6_lT7_lT5_lS6_lS7_lS5_lT8_i.uses_vcc, 1
	.set _ZL26rocblas_hemvn_kernel_lowerILb1ELi64ELi4ELi33ELi32ELi16Ei19rocblas_complex_numIdEPKS1_PS1_EviT6_lT7_lT5_lS6_lS7_lS5_lT8_i.uses_flat_scratch, 0
	.set _ZL26rocblas_hemvn_kernel_lowerILb1ELi64ELi4ELi33ELi32ELi16Ei19rocblas_complex_numIdEPKS1_PS1_EviT6_lT7_lT5_lS6_lS7_lS5_lT8_i.has_dyn_sized_stack, 0
	.set _ZL26rocblas_hemvn_kernel_lowerILb1ELi64ELi4ELi33ELi32ELi16Ei19rocblas_complex_numIdEPKS1_PS1_EviT6_lT7_lT5_lS6_lS7_lS5_lT8_i.has_recursion, 0
	.set _ZL26rocblas_hemvn_kernel_lowerILb1ELi64ELi4ELi33ELi32ELi16Ei19rocblas_complex_numIdEPKS1_PS1_EviT6_lT7_lT5_lS6_lS7_lS5_lT8_i.has_indirect_call, 0
	.section	.AMDGPU.csdata,"",@progbits
; Kernel info:
; codeLenInByte = 10116
; TotalNumSgprs: 50
; NumVgprs: 213
; ScratchSize: 0
; MemoryBound: 0
; FloatMode: 240
; IeeeMode: 1
; LDSByteSize: 19200 bytes/workgroup (compile time only)
; SGPRBlocks: 12
; VGPRBlocks: 53
; NumSGPRsForWavesPerEU: 102
; NumVGPRsForWavesPerEU: 213
; Occupancy: 1
; WaveLimiterHint : 1
; COMPUTE_PGM_RSRC2:SCRATCH_EN: 0
; COMPUTE_PGM_RSRC2:USER_SGPR: 6
; COMPUTE_PGM_RSRC2:TRAP_HANDLER: 0
; COMPUTE_PGM_RSRC2:TGID_X_EN: 1
; COMPUTE_PGM_RSRC2:TGID_Y_EN: 0
; COMPUTE_PGM_RSRC2:TGID_Z_EN: 1
; COMPUTE_PGM_RSRC2:TIDIG_COMP_CNT: 1
	.section	.text._ZL36rocblas_hemvn_kernel_lower_block_sumILi64Ei19rocblas_complex_numIdEPS1_S1_EviT1_lS3_lT2_lT0_lPT3_i,"axG",@progbits,_ZL36rocblas_hemvn_kernel_lower_block_sumILi64Ei19rocblas_complex_numIdEPS1_S1_EviT1_lS3_lT2_lT0_lPT3_i,comdat
	.globl	_ZL36rocblas_hemvn_kernel_lower_block_sumILi64Ei19rocblas_complex_numIdEPS1_S1_EviT1_lS3_lT2_lT0_lPT3_i ; -- Begin function _ZL36rocblas_hemvn_kernel_lower_block_sumILi64Ei19rocblas_complex_numIdEPS1_S1_EviT1_lS3_lT2_lT0_lPT3_i
	.p2align	8
	.type	_ZL36rocblas_hemvn_kernel_lower_block_sumILi64Ei19rocblas_complex_numIdEPS1_S1_EviT1_lS3_lT2_lT0_lPT3_i,@function
_ZL36rocblas_hemvn_kernel_lower_block_sumILi64Ei19rocblas_complex_numIdEPS1_S1_EviT1_lS3_lT2_lT0_lPT3_i: ; @_ZL36rocblas_hemvn_kernel_lower_block_sumILi64Ei19rocblas_complex_numIdEPS1_S1_EviT1_lS3_lT2_lT0_lPT3_i
; %bb.0:
	s_load_dwordx4 s[12:15], s[4:5], 0x8
	s_load_dwordx4 s[8:11], s[4:5], 0x20
	s_waitcnt lgkmcnt(0)
	v_cmp_neq_f64_e64 s[0:1], s[12:13], 0
	v_cmp_neq_f64_e64 s[2:3], s[14:15], 0
	s_or_b64 s[0:1], s[0:1], s[2:3]
	s_mov_b64 s[2:3], -1
	s_and_b64 vcc, exec, s[0:1]
	s_cbranch_vccnz .LBB31_2
; %bb.1:
	v_cmp_neq_f64_e64 s[2:3], s[8:9], 1.0
	v_cmp_neq_f64_e64 s[16:17], s[10:11], 0
	s_or_b64 s[2:3], s[2:3], s[16:17]
.LBB31_2:
	s_andn2_b64 vcc, exec, s[2:3]
	s_cbranch_vccnz .LBB31_22
; %bb.3:
	s_load_dwordx2 s[18:19], s[4:5], 0x50
	s_xor_b64 s[20:21], s[0:1], -1
	s_load_dwordx4 s[0:3], s[4:5], 0x38
	s_load_dword s24, s[4:5], 0x48
	s_load_dword s16, s[4:5], 0x0
	v_lshl_or_b32 v6, s6, 6, v0
	s_waitcnt lgkmcnt(0)
	s_mul_i32 s17, s19, s7
	s_mul_hi_u32 s19, s18, s7
	s_add_i32 s19, s19, s17
	s_mul_i32 s18, s18, s7
	s_lshl_b64 s[18:19], s[18:19], 4
	s_add_u32 s17, s0, s18
	s_addc_u32 s18, s1, s19
	s_lshl_b64 s[0:1], s[2:3], 4
	s_add_u32 s22, s17, s0
	s_addc_u32 s23, s18, s1
	s_andn2_b64 vcc, exec, s[20:21]
	v_cmp_gt_i32_e64 s[0:1], s16, v6
	s_cbranch_vccnz .LBB31_8
; %bb.4:
	s_mov_b64 s[18:19], 0
	s_mov_b64 s[2:3], 0
                                        ; implicit-def: $vgpr2_vgpr3
                                        ; implicit-def: $vgpr4_vgpr5
	s_and_saveexec_b64 s[20:21], s[0:1]
	s_cbranch_execz .LBB31_9
; %bb.5:
	v_cmp_neq_f64_e64 s[0:1], s[8:9], 0
	v_cmp_neq_f64_e64 s[2:3], s[10:11], 0
	v_mul_lo_u32 v4, s24, v6
	v_mov_b32_e32 v2, 0
	v_mov_b32_e32 v0, 0
	;; [unrolled: 1-line block ×4, first 2 shown]
	v_ashrrev_i32_e32 v5, 31, v4
	s_or_b64 s[0:1], s[0:1], s[2:3]
	s_andn2_b64 vcc, exec, s[0:1]
	s_cbranch_vccnz .LBB31_7
; %bb.6:
	v_lshlrev_b64 v[0:1], 4, v[4:5]
	v_mov_b32_e32 v2, s23
	v_add_co_u32_e32 v0, vcc, s22, v0
	v_addc_co_u32_e32 v1, vcc, v2, v1, vcc
	global_load_dwordx4 v[7:10], v[0:1], off
	s_waitcnt vmcnt(0)
	v_mul_f64 v[0:1], s[10:11], v[9:10]
	v_mul_f64 v[2:3], s[8:9], v[9:10]
	v_fma_f64 v[0:1], s[8:9], v[7:8], -v[0:1]
	v_fma_f64 v[2:3], s[10:11], v[7:8], v[2:3]
.LBB31_7:
	s_mov_b64 s[2:3], exec
	s_or_b64 exec, exec, s[20:21]
	s_and_b64 vcc, exec, s[18:19]
	s_cbranch_vccnz .LBB31_10
	s_branch .LBB31_20
.LBB31_8:
	s_mov_b64 s[2:3], 0
                                        ; implicit-def: $vgpr2_vgpr3
                                        ; implicit-def: $vgpr4_vgpr5
	s_cbranch_execnz .LBB31_10
	s_branch .LBB31_20
.LBB31_9:
	s_or_b64 exec, exec, s[20:21]
	s_and_b64 vcc, exec, s[18:19]
	s_cbranch_vccz .LBB31_20
.LBB31_10:
	v_cmp_gt_i32_e32 vcc, s16, v6
                                        ; implicit-def: $vgpr2_vgpr3
                                        ; implicit-def: $vgpr4_vgpr5
	s_and_saveexec_b64 s[0:1], vcc
	s_cbranch_execz .LBB31_19
; %bb.11:
	s_load_dword s18, s[4:5], 0x68
	v_mov_b32_e32 v0, 0
	v_mov_b32_e32 v2, 0
	;; [unrolled: 1-line block ×4, first 2 shown]
	s_waitcnt lgkmcnt(0)
	s_cmp_ge_i32 s6, s18
	s_cbranch_scc1 .LBB31_14
; %bb.12:
	s_ashr_i32 s17, s16, 31
	s_mul_i32 s19, s16, s6
	s_load_dwordx2 s[4:5], s[4:5], 0x58
	v_add_u32_e32 v0, s19, v6
	s_mul_hi_u32 s19, s16, s7
	s_mul_i32 s20, s17, s7
	s_add_i32 s19, s19, s20
	s_mul_i32 s7, s16, s7
	s_mul_i32 s19, s19, s18
	s_mul_hi_u32 s20, s7, s18
	s_add_i32 s21, s20, s19
	s_mul_i32 s20, s7, s18
	v_ashrrev_i32_e32 v1, 31, v0
	s_lshl_b64 s[20:21], s[20:21], 4
	v_lshlrev_b64 v[0:1], 4, v[0:1]
	s_waitcnt lgkmcnt(0)
	s_add_u32 s4, s4, s20
	s_addc_u32 s5, s5, s21
	v_mov_b32_e32 v2, s5
	v_add_co_u32_e32 v0, vcc, s4, v0
	v_addc_co_u32_e32 v1, vcc, v2, v1, vcc
	v_add_co_u32_e32 v4, vcc, 8, v0
	v_addc_co_u32_e32 v5, vcc, 0, v1, vcc
	s_lshl_b64 s[4:5], s[16:17], 4
	v_mov_b32_e32 v0, 0
	v_mov_b32_e32 v2, 0
	;; [unrolled: 1-line block ×5, first 2 shown]
.LBB31_13:                              ; =>This Inner Loop Header: Depth=1
	global_load_dwordx4 v[8:11], v[4:5], off offset:-8
	s_add_i32 s6, s6, 1
	v_add_co_u32_e32 v4, vcc, s4, v4
	s_cmp_ge_i32 s6, s18
	v_addc_co_u32_e32 v5, vcc, v5, v7, vcc
	s_waitcnt vmcnt(0)
	v_add_f64 v[2:3], v[2:3], v[8:9]
	v_add_f64 v[0:1], v[0:1], v[10:11]
	s_cbranch_scc0 .LBB31_13
.LBB31_14:
	v_mul_f64 v[4:5], s[14:15], v[0:1]
	v_mul_f64 v[7:8], s[12:13], v[0:1]
	v_cmp_neq_f64_e64 s[6:7], s[8:9], 0
	v_cmp_neq_f64_e64 s[16:17], s[10:11], 0
	s_mov_b64 s[4:5], 0
	v_fma_f64 v[0:1], s[12:13], v[2:3], -v[4:5]
	v_fma_f64 v[2:3], s[14:15], v[2:3], v[7:8]
	v_mul_lo_u32 v4, s24, v6
	s_or_b64 s[6:7], s[6:7], s[16:17]
	s_andn2_b64 vcc, exec, s[6:7]
	v_ashrrev_i32_e32 v5, 31, v4
	s_cbranch_vccnz .LBB31_16
; %bb.15:
	s_mov_b64 s[4:5], -1
.LBB31_16:
	s_andn2_b64 vcc, exec, s[4:5]
	s_cbranch_vccnz .LBB31_18
; %bb.17:
	v_lshlrev_b64 v[6:7], 4, v[4:5]
	v_mov_b32_e32 v8, s23
	v_add_co_u32_e32 v6, vcc, s22, v6
	v_addc_co_u32_e32 v7, vcc, v8, v7, vcc
	global_load_dwordx4 v[6:9], v[6:7], off
	s_waitcnt vmcnt(0)
	v_mul_f64 v[10:11], s[10:11], v[8:9]
	v_mul_f64 v[8:9], s[8:9], v[8:9]
	v_fma_f64 v[10:11], s[8:9], v[6:7], -v[10:11]
	v_fma_f64 v[6:7], s[10:11], v[6:7], v[8:9]
	v_add_f64 v[0:1], v[0:1], v[10:11]
	v_add_f64 v[2:3], v[2:3], v[6:7]
.LBB31_18:
	s_or_b64 s[2:3], s[2:3], exec
.LBB31_19:
	s_or_b64 exec, exec, s[0:1]
.LBB31_20:
	s_and_saveexec_b64 s[0:1], s[2:3]
	s_cbranch_execz .LBB31_22
; %bb.21:
	v_lshlrev_b64 v[4:5], 4, v[4:5]
	v_mov_b32_e32 v6, s23
	v_add_co_u32_e32 v4, vcc, s22, v4
	v_addc_co_u32_e32 v5, vcc, v6, v5, vcc
	global_store_dwordx4 v[4:5], v[0:3], off
.LBB31_22:
	s_endpgm
	.section	.rodata,"a",@progbits
	.p2align	6, 0x0
	.amdhsa_kernel _ZL36rocblas_hemvn_kernel_lower_block_sumILi64Ei19rocblas_complex_numIdEPS1_S1_EviT1_lS3_lT2_lT0_lPT3_i
		.amdhsa_group_segment_fixed_size 0
		.amdhsa_private_segment_fixed_size 0
		.amdhsa_kernarg_size 360
		.amdhsa_user_sgpr_count 6
		.amdhsa_user_sgpr_private_segment_buffer 1
		.amdhsa_user_sgpr_dispatch_ptr 0
		.amdhsa_user_sgpr_queue_ptr 0
		.amdhsa_user_sgpr_kernarg_segment_ptr 1
		.amdhsa_user_sgpr_dispatch_id 0
		.amdhsa_user_sgpr_flat_scratch_init 0
		.amdhsa_user_sgpr_private_segment_size 0
		.amdhsa_uses_dynamic_stack 0
		.amdhsa_system_sgpr_private_segment_wavefront_offset 0
		.amdhsa_system_sgpr_workgroup_id_x 1
		.amdhsa_system_sgpr_workgroup_id_y 0
		.amdhsa_system_sgpr_workgroup_id_z 1
		.amdhsa_system_sgpr_workgroup_info 0
		.amdhsa_system_vgpr_workitem_id 0
		.amdhsa_next_free_vgpr 12
		.amdhsa_next_free_sgpr 25
		.amdhsa_reserve_vcc 1
		.amdhsa_reserve_flat_scratch 0
		.amdhsa_float_round_mode_32 0
		.amdhsa_float_round_mode_16_64 0
		.amdhsa_float_denorm_mode_32 3
		.amdhsa_float_denorm_mode_16_64 3
		.amdhsa_dx10_clamp 1
		.amdhsa_ieee_mode 1
		.amdhsa_fp16_overflow 0
		.amdhsa_exception_fp_ieee_invalid_op 0
		.amdhsa_exception_fp_denorm_src 0
		.amdhsa_exception_fp_ieee_div_zero 0
		.amdhsa_exception_fp_ieee_overflow 0
		.amdhsa_exception_fp_ieee_underflow 0
		.amdhsa_exception_fp_ieee_inexact 0
		.amdhsa_exception_int_div_zero 0
	.end_amdhsa_kernel
	.section	.text._ZL36rocblas_hemvn_kernel_lower_block_sumILi64Ei19rocblas_complex_numIdEPS1_S1_EviT1_lS3_lT2_lT0_lPT3_i,"axG",@progbits,_ZL36rocblas_hemvn_kernel_lower_block_sumILi64Ei19rocblas_complex_numIdEPS1_S1_EviT1_lS3_lT2_lT0_lPT3_i,comdat
.Lfunc_end31:
	.size	_ZL36rocblas_hemvn_kernel_lower_block_sumILi64Ei19rocblas_complex_numIdEPS1_S1_EviT1_lS3_lT2_lT0_lPT3_i, .Lfunc_end31-_ZL36rocblas_hemvn_kernel_lower_block_sumILi64Ei19rocblas_complex_numIdEPS1_S1_EviT1_lS3_lT2_lT0_lPT3_i
                                        ; -- End function
	.set _ZL36rocblas_hemvn_kernel_lower_block_sumILi64Ei19rocblas_complex_numIdEPS1_S1_EviT1_lS3_lT2_lT0_lPT3_i.num_vgpr, 12
	.set _ZL36rocblas_hemvn_kernel_lower_block_sumILi64Ei19rocblas_complex_numIdEPS1_S1_EviT1_lS3_lT2_lT0_lPT3_i.num_agpr, 0
	.set _ZL36rocblas_hemvn_kernel_lower_block_sumILi64Ei19rocblas_complex_numIdEPS1_S1_EviT1_lS3_lT2_lT0_lPT3_i.numbered_sgpr, 25
	.set _ZL36rocblas_hemvn_kernel_lower_block_sumILi64Ei19rocblas_complex_numIdEPS1_S1_EviT1_lS3_lT2_lT0_lPT3_i.num_named_barrier, 0
	.set _ZL36rocblas_hemvn_kernel_lower_block_sumILi64Ei19rocblas_complex_numIdEPS1_S1_EviT1_lS3_lT2_lT0_lPT3_i.private_seg_size, 0
	.set _ZL36rocblas_hemvn_kernel_lower_block_sumILi64Ei19rocblas_complex_numIdEPS1_S1_EviT1_lS3_lT2_lT0_lPT3_i.uses_vcc, 1
	.set _ZL36rocblas_hemvn_kernel_lower_block_sumILi64Ei19rocblas_complex_numIdEPS1_S1_EviT1_lS3_lT2_lT0_lPT3_i.uses_flat_scratch, 0
	.set _ZL36rocblas_hemvn_kernel_lower_block_sumILi64Ei19rocblas_complex_numIdEPS1_S1_EviT1_lS3_lT2_lT0_lPT3_i.has_dyn_sized_stack, 0
	.set _ZL36rocblas_hemvn_kernel_lower_block_sumILi64Ei19rocblas_complex_numIdEPS1_S1_EviT1_lS3_lT2_lT0_lPT3_i.has_recursion, 0
	.set _ZL36rocblas_hemvn_kernel_lower_block_sumILi64Ei19rocblas_complex_numIdEPS1_S1_EviT1_lS3_lT2_lT0_lPT3_i.has_indirect_call, 0
	.section	.AMDGPU.csdata,"",@progbits
; Kernel info:
; codeLenInByte = 800
; TotalNumSgprs: 29
; NumVgprs: 12
; ScratchSize: 0
; MemoryBound: 0
; FloatMode: 240
; IeeeMode: 1
; LDSByteSize: 0 bytes/workgroup (compile time only)
; SGPRBlocks: 3
; VGPRBlocks: 2
; NumSGPRsForWavesPerEU: 29
; NumVGPRsForWavesPerEU: 12
; Occupancy: 10
; WaveLimiterHint : 0
; COMPUTE_PGM_RSRC2:SCRATCH_EN: 0
; COMPUTE_PGM_RSRC2:USER_SGPR: 6
; COMPUTE_PGM_RSRC2:TRAP_HANDLER: 0
; COMPUTE_PGM_RSRC2:TGID_X_EN: 1
; COMPUTE_PGM_RSRC2:TGID_Y_EN: 0
; COMPUTE_PGM_RSRC2:TGID_Z_EN: 1
; COMPUTE_PGM_RSRC2:TIDIG_COMP_CNT: 0
	.section	.text._ZL26rocblas_hemvn_kernel_upperILb1ELi64ELi4ELi33ELi32ELi16ElPK19rocblas_complex_numIfEPKS3_PS1_EviT6_lT7_lT5_lS8_lS9_lS7_lT8_i,"axG",@progbits,_ZL26rocblas_hemvn_kernel_upperILb1ELi64ELi4ELi33ELi32ELi16ElPK19rocblas_complex_numIfEPKS3_PS1_EviT6_lT7_lT5_lS8_lS9_lS7_lT8_i,comdat
	.globl	_ZL26rocblas_hemvn_kernel_upperILb1ELi64ELi4ELi33ELi32ELi16ElPK19rocblas_complex_numIfEPKS3_PS1_EviT6_lT7_lT5_lS8_lS9_lS7_lT8_i ; -- Begin function _ZL26rocblas_hemvn_kernel_upperILb1ELi64ELi4ELi33ELi32ELi16ElPK19rocblas_complex_numIfEPKS3_PS1_EviT6_lT7_lT5_lS8_lS9_lS7_lT8_i
	.p2align	8
	.type	_ZL26rocblas_hemvn_kernel_upperILb1ELi64ELi4ELi33ELi32ELi16ElPK19rocblas_complex_numIfEPKS3_PS1_EviT6_lT7_lT5_lS8_lS9_lS7_lT8_i,@function
_ZL26rocblas_hemvn_kernel_upperILb1ELi64ELi4ELi33ELi32ELi16ElPK19rocblas_complex_numIfEPKS3_PS1_EviT6_lT7_lT5_lS8_lS9_lS7_lT8_i: ; @_ZL26rocblas_hemvn_kernel_upperILb1ELi64ELi4ELi33ELi32ELi16ElPK19rocblas_complex_numIfEPKS3_PS1_EviT6_lT7_lT5_lS8_lS9_lS7_lT8_i
; %bb.0:
	s_load_dwordx2 s[0:1], s[4:5], 0x84
	s_add_u32 s18, s4, 0x78
	s_addc_u32 s19, s5, 0
	s_waitcnt lgkmcnt(0)
	s_lshr_b32 s2, s0, 16
	s_and_b32 s0, s0, 0xffff
	s_and_b32 s1, s1, 0xffff
	s_mul_i32 s0, s2, s0
	s_mul_i32 s0, s0, s1
	s_cmpk_lg_i32 s0, 0x100
	s_cbranch_scc1 .LBB32_201
; %bb.1:
	s_load_dwordx8 s[8:15], s[4:5], 0x8
	s_mov_b32 s26, s7
	s_mov_b32 s27, 0
	s_waitcnt lgkmcnt(0)
	s_mul_i32 s0, s11, s7
	s_mul_hi_u32 s1, s10, s7
	s_add_i32 s1, s1, s0
	s_mul_i32 s0, s10, s7
	s_lshl_b64 s[0:1], s[0:1], 3
	s_add_u32 s8, s8, s0
	s_addc_u32 s9, s9, s1
	s_load_dwordx2 s[10:11], s[8:9], 0x0
	s_load_dwordx2 s[28:29], s[4:5], 0x68
	s_load_dwordx4 s[0:3], s[4:5], 0x58
	s_mov_b64 s[8:9], -1
	s_waitcnt lgkmcnt(0)
	s_or_b32 s7, s10, s11
	s_bitset0_b32 s7, 31
	s_cmp_lg_u32 s7, 0
	s_cbranch_scc1 .LBB32_3
; %bb.2:
	s_mul_i32 s3, s3, s26
	s_mul_hi_u32 s7, s2, s26
	s_add_i32 s3, s7, s3
	s_mul_i32 s2, s2, s26
	s_lshl_b64 s[2:3], s[2:3], 3
	s_add_u32 s0, s0, s2
	s_addc_u32 s1, s1, s3
	s_load_dwordx2 s[2:3], s[0:1], 0x0
	s_mov_b64 s[8:9], 0
	s_waitcnt lgkmcnt(0)
	v_cmp_eq_f32_e64 s[0:1], s2, 1.0
	v_cmp_eq_f32_e64 s[2:3], s3, 0
	s_and_b64 s[0:1], s[0:1], s[2:3]
	s_andn2_b64 vcc, exec, s[0:1]
.LBB32_3:
	s_andn2_b64 vcc, exec, s[8:9]
	s_cbranch_vccnz .LBB32_201
; %bb.4:
	s_load_dword s7, s[18:19], 0x0
	s_load_dwordx4 s[8:11], s[4:5], 0x38
	s_load_dwordx2 s[16:17], s[4:5], 0x48
	s_lshl_b64 s[0:1], s[26:27], 3
	s_add_u32 s12, s12, s0
	s_addc_u32 s13, s13, s1
	s_waitcnt lgkmcnt(0)
	s_add_u32 s0, s8, s0
	s_addc_u32 s1, s9, s1
	s_load_dwordx2 s[8:9], s[0:1], 0x0
	s_load_dwordx2 s[22:23], s[4:5], 0x28
	s_load_dword s33, s[4:5], 0x0
	s_load_dwordx2 s[2:3], s[12:13], 0x0
	s_lshl_b64 s[0:1], s[10:11], 3
	s_waitcnt lgkmcnt(0)
	s_add_u32 s4, s8, s0
	s_addc_u32 s5, s9, s1
	s_lshl_b32 s24, s6, 6
	s_ashr_i32 s38, s33, 31
	s_lshr_b32 s0, s38, 26
	v_add_u32_e32 v50, s24, v0
	s_add_i32 s0, s33, s0
	v_ashrrev_i32_e32 v51, 31, v50
	s_and_b32 s9, s0, 0xffffffc0
	v_mul_lo_u32 v4, s16, v51
	v_mul_lo_u32 v5, s17, v50
	v_mad_u64_u32 v[2:3], s[0:1], s16, v50, 0
	s_add_i32 s8, s7, -1
	s_sub_i32 s27, s33, s9
	v_add3_u32 v3, v3, v4, v5
	v_lshlrev_b64 v[2:3], 3, v[2:3]
	s_cmp_eq_u32 s6, s8
	v_mov_b32_e32 v4, s5
	v_add_co_u32_e32 v14, vcc, s4, v2
	s_cselect_b32 s18, s27, 0
	v_addc_co_u32_e32 v15, vcc, v4, v3, vcc
	v_cmp_eq_u32_e64 s[0:1], 0, v1
	s_and_saveexec_b64 s[4:5], s[0:1]
	s_cbranch_execz .LBB32_9
; %bb.5:
	s_cmp_lg_u32 s18, 0
	s_cselect_b64 s[8:9], -1, 0
	v_cmp_le_i32_e32 vcc, s18, v0
	v_mov_b32_e32 v2, 0x2380
	s_and_b64 s[8:9], s[8:9], vcc
	v_lshl_add_u32 v2, v0, 3, v2
	s_and_saveexec_b64 s[10:11], s[8:9]
	s_xor_b64 s[8:9], exec, s[10:11]
; %bb.6:
	v_mov_b32_e32 v3, 0
	v_mov_b32_e32 v4, v3
	ds_write_b64 v2, v[3:4]
                                        ; implicit-def: $vgpr2
; %bb.7:
	s_andn2_saveexec_b64 s[8:9], s[8:9]
	s_cbranch_execz .LBB32_9
; %bb.8:
	flat_load_dwordx2 v[3:4], v[14:15]
	s_waitcnt vmcnt(0) lgkmcnt(0)
	ds_write_b64 v2, v[3:4]
.LBB32_9:
	s_or_b64 exec, exec, s[4:5]
	v_lshl_add_u32 v24, v1, 6, v0
	v_and_b32_e32 v2, 31, v0
	v_lshrrev_b32_e32 v9, 5, v24
	v_mov_b32_e32 v3, 0
	v_mad_u64_u32 v[3:4], s[8:9], s22, v9, v[2:3]
	s_lshl_b64 s[4:5], s[14:15], 3
	s_add_u32 s4, s2, s4
	s_addc_u32 s5, s3, s5
	v_mad_u64_u32 v[4:5], s[2:3], s23, v9, v[4:5]
	s_ashr_i32 s25, s24, 31
	s_lshl_b64 s[2:3], s[24:25], 3
	s_add_u32 s2, s4, s2
	v_lshlrev_b64 v[16:17], 3, v[3:4]
	s_addc_u32 s3, s5, s3
	v_mov_b32_e32 v3, s3
	v_add_co_u32_e32 v4, vcc, s2, v16
	s_mul_hi_u32 s2, s22, s24
	s_mul_i32 s3, s22, s25
	s_add_i32 s2, s2, s3
	s_mul_i32 s3, s23, s24
	s_add_i32 s3, s2, s3
	s_mul_i32 s2, s22, s24
	s_lshl_b64 s[2:3], s[2:3], 3
	v_addc_co_u32_e32 v3, vcc, v3, v17, vcc
	s_cmp_eq_u32 s18, 0
	v_mov_b32_e32 v6, s3
	v_add_co_u32_e32 v5, vcc, s2, v4
	s_cselect_b64 s[20:21], -1, 0
	s_cmp_lg_u32 s18, 0
	v_addc_co_u32_e32 v6, vcc, v3, v6, vcc
	s_cselect_b64 s[30:31], -1, 0
	s_and_b64 vcc, exec, s[30:31]
	v_cmp_gt_i32_e64 s[2:3], s18, v2
	v_lshlrev_b32_e32 v11, 3, v2
	v_lshlrev_b32_e32 v10, 3, v2
	s_cbranch_vccz .LBB32_27
; %bb.10:
	v_sub_co_u32_e32 v3, vcc, v5, v11
	s_ashr_i32 s19, s18, 31
	v_subbrev_co_u32_e32 v4, vcc, 0, v6, vcc
	s_lshl_b64 s[4:5], s[18:19], 3
	v_mov_b32_e32 v7, s5
	v_add_co_u32_e32 v3, vcc, s4, v3
	v_addc_co_u32_e32 v4, vcc, v4, v7, vcc
	v_add_co_u32_e32 v3, vcc, -8, v3
	v_addc_co_u32_e32 v4, vcc, -1, v4, vcc
	v_mul_u32_u24_e32 v7, 0x108, v9
	v_cndmask_b32_e64 v4, v4, v6, s[2:3]
	v_cndmask_b32_e64 v3, v3, v5, s[2:3]
	v_cmp_le_i32_e32 vcc, s18, v9
	v_add_u32_e32 v7, v10, v7
	s_and_saveexec_b64 s[8:9], vcc
	s_xor_b64 s[8:9], exec, s[8:9]
; %bb.11:
	v_mov_b32_e32 v12, 0
	v_mov_b32_e32 v13, v12
	ds_write_b64 v7, v[12:13]
; %bb.12:
	s_andn2_saveexec_b64 s[8:9], s[8:9]
	s_cbranch_execz .LBB32_14
; %bb.13:
	flat_load_dwordx2 v[12:13], v[3:4]
	s_waitcnt vmcnt(0) lgkmcnt(0)
	ds_write_b64 v7, v[12:13]
.LBB32_14:
	s_or_b64 exec, exec, s[8:9]
	v_add_u32_e32 v8, 8, v9
	v_cmp_le_i32_e32 vcc, s18, v8
	s_and_saveexec_b64 s[8:9], vcc
	s_xor_b64 s[8:9], exec, s[8:9]
; %bb.15:
	v_mov_b32_e32 v12, 0
	v_mov_b32_e32 v13, v12
	ds_write_b64 v7, v[12:13] offset:2112
; %bb.16:
	s_andn2_saveexec_b64 s[8:9], s[8:9]
	s_cbranch_execz .LBB32_18
; %bb.17:
	s_lshl_b64 s[10:11], s[22:23], 6
	v_mov_b32_e32 v8, s11
	v_add_co_u32_e32 v12, vcc, s10, v3
	v_addc_co_u32_e32 v13, vcc, v4, v8, vcc
	flat_load_dwordx2 v[12:13], v[12:13]
	s_waitcnt vmcnt(0) lgkmcnt(0)
	ds_write_b64 v7, v[12:13] offset:2112
.LBB32_18:
	s_or_b64 exec, exec, s[8:9]
	v_add_u32_e32 v8, 16, v9
	v_cmp_le_i32_e32 vcc, s18, v8
	s_and_saveexec_b64 s[8:9], vcc
	s_xor_b64 s[8:9], exec, s[8:9]
; %bb.19:
	v_mov_b32_e32 v12, 0
	v_mov_b32_e32 v13, v12
	ds_write_b64 v7, v[12:13] offset:4224
; %bb.20:
	s_andn2_saveexec_b64 s[8:9], s[8:9]
	s_cbranch_execz .LBB32_22
; %bb.21:
	s_lshl_b64 s[10:11], s[22:23], 7
	v_mov_b32_e32 v8, s11
	v_add_co_u32_e32 v12, vcc, s10, v3
	v_addc_co_u32_e32 v13, vcc, v4, v8, vcc
	flat_load_dwordx2 v[12:13], v[12:13]
	s_waitcnt vmcnt(0) lgkmcnt(0)
	ds_write_b64 v7, v[12:13] offset:4224
.LBB32_22:
	s_or_b64 exec, exec, s[8:9]
	v_add_u32_e32 v8, 24, v9
	v_cmp_le_i32_e32 vcc, s18, v8
	s_and_saveexec_b64 s[8:9], vcc
	s_xor_b64 s[8:9], exec, s[8:9]
; %bb.23:
	v_mov_b32_e32 v12, 0
	v_mov_b32_e32 v13, v12
	ds_write_b64 v7, v[12:13] offset:6336
                                        ; implicit-def: $vgpr7
; %bb.24:
	s_andn2_saveexec_b64 s[8:9], s[8:9]
	s_cbranch_execz .LBB32_26
; %bb.25:
	v_mov_b32_e32 v8, 0xc0
	v_mad_u64_u32 v[12:13], s[10:11], s22, v8, v[3:4]
	s_mul_i32 s10, s23, 0xc0
	v_add_u32_e32 v13, s10, v13
	flat_load_dwordx2 v[12:13], v[12:13]
	s_waitcnt vmcnt(0) lgkmcnt(0)
	ds_write_b64 v7, v[12:13] offset:6336
.LBB32_26:
	s_or_b64 exec, exec, s[8:9]
	v_add_co_u32_e32 v3, vcc, v3, v11
	v_addc_co_u32_e32 v4, vcc, 0, v4, vcc
	v_mov_b32_e32 v7, s5
	v_subrev_co_u32_e32 v3, vcc, s4, v3
	v_subb_co_u32_e32 v4, vcc, v4, v7, vcc
	v_add_co_u32_e32 v3, vcc, 8, v3
	v_addc_co_u32_e32 v4, vcc, 0, v4, vcc
	v_cndmask_b32_e64 v4, v4, v6, s[2:3]
	v_cndmask_b32_e64 v3, v3, v5, s[2:3]
	s_branch .LBB32_29
.LBB32_27:
                                        ; implicit-def: $vgpr3_vgpr4
	s_cbranch_execz .LBB32_29
; %bb.28:
	s_lshl_b64 s[2:3], s[22:23], 6
	v_mov_b32_e32 v13, s3
	v_add_co_u32_e32 v3, vcc, s2, v5
	v_addc_co_u32_e32 v4, vcc, v6, v13, vcc
	v_add_co_u32_e32 v7, vcc, s2, v3
	v_addc_co_u32_e32 v8, vcc, v4, v13, vcc
	;; [unrolled: 2-line block ×3, first 2 shown]
	flat_load_dwordx2 v[18:19], v[5:6]
	flat_load_dwordx2 v[20:21], v[3:4]
	;; [unrolled: 1-line block ×4, first 2 shown]
	v_mul_u32_u24_e32 v3, 0x108, v9
	v_lshl_add_u32 v3, v2, 3, v3
	s_waitcnt vmcnt(0) lgkmcnt(0)
	ds_write_b64 v3, v[18:19]
	ds_write_b64 v3, v[20:21] offset:2112
	ds_write_b64 v3, v[22:23] offset:4224
	;; [unrolled: 1-line block ×3, first 2 shown]
	v_mov_b32_e32 v3, v5
	v_mov_b32_e32 v4, v6
.LBB32_29:
	v_lshlrev_b32_e32 v13, 2, v9
	v_mul_u32_u24_e32 v12, 0x108, v2
	v_cmp_le_u32_e64 s[4:5], v13, v2
	s_mov_b64 s[2:3], 0
	s_waitcnt lgkmcnt(0)
	s_barrier
                                        ; implicit-def: $vgpr6
	s_and_saveexec_b64 s[8:9], s[4:5]
	s_xor_b64 s[8:9], exec, s[8:9]
	s_cbranch_execz .LBB32_33
; %bb.30:
	v_cmp_eq_u32_e32 vcc, v13, v2
                                        ; implicit-def: $vgpr6
	s_and_saveexec_b64 s[10:11], vcc
	s_xor_b64 s[10:11], exec, s[10:11]
; %bb.31:
	s_mov_b64 s[2:3], exec
	v_add_u32_e32 v6, v10, v12
; %bb.32:
	s_or_b64 exec, exec, s[10:11]
	s_and_b64 s[2:3], s[2:3], exec
.LBB32_33:
	s_or_saveexec_b64 s[8:9], s[8:9]
	v_lshl_or_b32 v5, v2, 8, v10
	v_mov_b32_e32 v7, 0
	v_lshl_add_u32 v5, v13, 3, v5
	s_xor_b64 exec, exec, s[8:9]
	s_cbranch_execz .LBB32_35
; %bb.34:
	s_movk_i32 s10, 0x420
	v_mad_u32_u24 v6, v9, s10, v10
	ds_read_b64 v[6:7], v6
	s_or_b64 s[2:3], s[2:3], exec
	s_waitcnt lgkmcnt(0)
	v_xor_b32_e32 v7, 0x80000000, v7
	ds_write_b32 v5, v6
	v_mov_b32_e32 v6, v5
.LBB32_35:
	s_or_b64 exec, exec, s[8:9]
	s_and_saveexec_b64 s[8:9], s[2:3]
; %bb.36:
	ds_write_b32 v6, v7 offset:4
; %bb.37:
	s_or_b64 exec, exec, s[8:9]
	v_or_b32_e32 v18, 1, v13
	v_cmp_ge_u32_e64 s[14:15], v13, v2
	s_mov_b64 s[2:3], 0
                                        ; implicit-def: $vgpr7
                                        ; implicit-def: $vgpr6
	s_and_saveexec_b64 s[8:9], s[14:15]
	s_xor_b64 s[8:9], exec, s[8:9]
	s_cbranch_execz .LBB32_73
; %bb.38:
	s_movk_i32 s10, 0x108
	v_mad_u32_u24 v6, v18, s10, v10
	ds_read_b64 v[19:20], v6
	s_mov_b64 s[2:3], exec
	v_add_u32_e32 v6, 8, v5
	s_waitcnt lgkmcnt(0)
	v_xor_b32_e32 v7, 0x80000000, v20
	ds_write_b32 v5, v19 offset:8
	s_andn2_saveexec_b64 s[8:9], s[8:9]
	s_cbranch_execnz .LBB32_74
.LBB32_39:
	s_or_b64 exec, exec, s[8:9]
	s_and_saveexec_b64 s[8:9], s[2:3]
.LBB32_40:
	ds_write_b32 v6, v7 offset:4
.LBB32_41:
	s_or_b64 exec, exec, s[8:9]
	v_or_b32_e32 v19, 2, v13
	v_cmp_le_u32_e64 s[8:9], v19, v2
	s_mov_b64 s[2:3], 0
                                        ; implicit-def: $vgpr6
	s_and_saveexec_b64 s[10:11], s[8:9]
	s_xor_b64 s[10:11], exec, s[10:11]
	s_cbranch_execz .LBB32_77
; %bb.42:
	v_cmp_eq_u32_e32 vcc, v19, v2
                                        ; implicit-def: $vgpr6
	s_and_saveexec_b64 s[12:13], vcc
; %bb.43:
	s_mov_b64 s[2:3], exec
	v_add_u32_e32 v6, v10, v12
; %bb.44:
	s_or_b64 exec, exec, s[12:13]
	s_and_b64 s[2:3], s[2:3], exec
	s_or_saveexec_b64 s[10:11], s[10:11]
	v_mov_b32_e32 v7, 0
	s_xor_b64 exec, exec, s[10:11]
	s_cbranch_execnz .LBB32_78
.LBB32_45:
	s_or_b64 exec, exec, s[10:11]
	s_and_saveexec_b64 s[10:11], s[2:3]
.LBB32_46:
	ds_write_b32 v6, v7 offset:4
.LBB32_47:
	s_or_b64 exec, exec, s[10:11]
	v_or_b32_e32 v21, 3, v13
	v_cmp_le_u32_e64 s[10:11], v21, v2
	s_mov_b64 s[2:3], 0
                                        ; implicit-def: $vgpr6
	s_and_saveexec_b64 s[12:13], s[10:11]
	s_xor_b64 s[12:13], exec, s[12:13]
	s_cbranch_execz .LBB32_79
; %bb.48:
	v_cmp_eq_u32_e32 vcc, v21, v2
                                        ; implicit-def: $vgpr6
	s_and_saveexec_b64 s[34:35], vcc
; %bb.49:
	s_mov_b64 s[2:3], exec
	v_add_u32_e32 v6, v10, v12
; %bb.50:
	s_or_b64 exec, exec, s[34:35]
	s_and_b64 s[2:3], s[2:3], exec
                                        ; implicit-def: $vgpr5
	s_or_saveexec_b64 s[12:13], s[12:13]
	v_mov_b32_e32 v7, 0
	s_xor_b64 exec, exec, s[12:13]
	s_cbranch_execnz .LBB32_80
.LBB32_51:
	s_or_b64 exec, exec, s[12:13]
	s_and_saveexec_b64 s[12:13], s[2:3]
.LBB32_52:
	ds_write_b32 v6, v7 offset:4
.LBB32_53:
	s_or_b64 exec, exec, s[12:13]
	s_movk_i32 s2, 0x420
	v_mad_u32_u24 v5, v9, s2, v10
	s_movk_i32 s2, 0x108
	s_waitcnt lgkmcnt(0)
	s_barrier
	v_lshlrev_b32_e32 v22, 3, v13
	ds_read_b64 v[33:34], v5
	ds_read_b128 v[5:8], v22 offset:9088
	ds_read_b128 v[25:28], v22 offset:9104
	v_mad_u32_u24 v23, v18, s2, v10
	ds_read2_b64 v[29:32], v23 offset1:33
	v_mov_b32_e32 v52, 0
	s_waitcnt lgkmcnt(2)
	v_mul_f32_e32 v20, v6, v34
	v_fma_f32 v20, v5, v33, -v20
	v_mul_f32_e32 v5, v5, v34
	v_fmac_f32_e32 v5, v6, v33
	v_add_f32_e32 v6, 0, v20
	s_waitcnt lgkmcnt(0)
	v_mul_f32_e32 v20, v8, v30
	v_fma_f32 v20, v7, v29, -v20
	v_mul_f32_e32 v7, v7, v30
	v_add_f32_e32 v5, 0, v5
	v_fmac_f32_e32 v7, v8, v29
	v_add_f32_e32 v8, v6, v20
	v_add_f32_e32 v7, v5, v7
	ds_read_b64 v[5:6], v23 offset:528
	v_mul_f32_e32 v20, v26, v32
	v_fma_f32 v20, v25, v31, -v20
	v_mul_f32_e32 v23, v25, v32
	v_fmac_f32_e32 v23, v26, v31
	v_add_f32_e32 v8, v8, v20
	s_waitcnt lgkmcnt(0)
	v_mul_f32_e32 v20, v28, v6
	v_mul_f32_e32 v6, v27, v6
	v_add_f32_e32 v7, v7, v23
	v_fmac_f32_e32 v6, v28, v5
	v_add_f32_e32 v6, v7, v6
	v_mul_u32_u24_e32 v7, 33, v2
	v_fma_f32 v20, v27, v5, -v20
	v_lshlrev_b32_e32 v25, 3, v7
	v_add_f32_e32 v5, v8, v20
	v_lshl_add_u32 v26, v9, 3, v25
	v_cmp_gt_u32_e64 s[2:3], 32, v24
	v_mov_b32_e32 v53, 0
	s_barrier
	ds_write_b64 v26, v[5:6]
	s_waitcnt lgkmcnt(0)
	s_barrier
	s_and_saveexec_b64 s[12:13], s[2:3]
	s_cbranch_execz .LBB32_55
; %bb.54:
	ds_read2_b64 v[5:8], v25 offset1:7
	ds_read2_b64 v[27:30], v25 offset0:1 offset1:2
	ds_read2_b64 v[31:34], v25 offset0:3 offset1:4
	s_waitcnt lgkmcnt(1)
	v_add_f32_e32 v5, v27, v5
	v_add_f32_e32 v6, v28, v6
	v_add_f32_e32 v5, v29, v5
	v_add_f32_e32 v6, v30, v6
	ds_read2_b64 v[27:30], v25 offset0:5 offset1:6
	s_waitcnt lgkmcnt(1)
	v_add_f32_e32 v5, v5, v31
	v_add_f32_e32 v6, v6, v32
	;; [unrolled: 1-line block ×4, first 2 shown]
	s_waitcnt lgkmcnt(0)
	v_add_f32_e32 v5, v5, v27
	v_add_f32_e32 v6, v6, v28
	v_add_f32_e32 v5, v5, v29
	v_add_f32_e32 v6, v6, v30
	v_add_f32_e32 v52, v5, v7
	v_add_f32_e32 v53, v6, v8
.LBB32_55:
	s_or_b64 exec, exec, s[12:13]
	s_lshl_b64 s[12:13], s[22:23], 8
	v_mov_b32_e32 v5, s13
	v_add_co_u32_e32 v7, vcc, s12, v3
	v_addc_co_u32_e32 v8, vcc, v4, v5, vcc
	v_add_co_u32_e32 v5, vcc, 0x100, v7
	v_addc_co_u32_e32 v6, vcc, 0, v8, vcc
	s_and_b64 vcc, exec, s[30:31]
	s_barrier
	s_cbranch_vccz .LBB32_81
; %bb.56:
	v_sub_co_u32_e32 v4, vcc, v7, v11
	s_ashr_i32 s19, s18, 31
	v_subbrev_co_u32_e32 v20, vcc, 0, v8, vcc
	s_lshl_b64 s[34:35], s[18:19], 3
	v_mov_b32_e32 v23, s35
	v_add_co_u32_e32 v4, vcc, s34, v4
	v_addc_co_u32_e32 v20, vcc, v20, v23, vcc
	v_or_b32_e32 v3, 32, v2
	v_add_co_u32_e32 v23, vcc, -8, v4
	v_addc_co_u32_e32 v4, vcc, -1, v20, vcc
	v_cmp_gt_i32_e64 s[12:13], s18, v3
	s_sub_i32 s19, s18, 32
	v_mul_u32_u24_e32 v20, 0x108, v9
	v_cndmask_b32_e64 v4, v4, v6, s[12:13]
	v_cndmask_b32_e64 v3, v23, v5, s[12:13]
	v_cmp_le_i32_e32 vcc, s19, v9
	v_add_u32_e32 v20, v10, v20
	s_and_saveexec_b64 s[36:37], vcc
	s_xor_b64 s[36:37], exec, s[36:37]
; %bb.57:
	v_mov_b32_e32 v27, 0
	v_mov_b32_e32 v28, v27
	ds_write_b64 v20, v[27:28]
; %bb.58:
	s_andn2_saveexec_b64 s[36:37], s[36:37]
	s_cbranch_execz .LBB32_60
; %bb.59:
	flat_load_dwordx2 v[27:28], v[3:4]
	s_waitcnt vmcnt(0) lgkmcnt(0)
	ds_write_b64 v20, v[27:28]
.LBB32_60:
	s_or_b64 exec, exec, s[36:37]
	v_add_u32_e32 v23, 8, v9
	v_cmp_le_i32_e32 vcc, s19, v23
	s_and_saveexec_b64 s[36:37], vcc
	s_xor_b64 s[36:37], exec, s[36:37]
; %bb.61:
	v_mov_b32_e32 v27, 0
	v_mov_b32_e32 v28, v27
	ds_write_b64 v20, v[27:28] offset:2112
; %bb.62:
	s_andn2_saveexec_b64 s[36:37], s[36:37]
	s_cbranch_execz .LBB32_64
; %bb.63:
	s_lshl_b64 s[40:41], s[22:23], 6
	v_mov_b32_e32 v23, s41
	v_add_co_u32_e32 v27, vcc, s40, v3
	v_addc_co_u32_e32 v28, vcc, v4, v23, vcc
	flat_load_dwordx2 v[27:28], v[27:28]
	s_waitcnt vmcnt(0) lgkmcnt(0)
	ds_write_b64 v20, v[27:28] offset:2112
.LBB32_64:
	s_or_b64 exec, exec, s[36:37]
	v_add_u32_e32 v23, 16, v9
	v_cmp_le_i32_e32 vcc, s19, v23
	s_and_saveexec_b64 s[36:37], vcc
	s_xor_b64 s[36:37], exec, s[36:37]
; %bb.65:
	v_mov_b32_e32 v27, 0
	v_mov_b32_e32 v28, v27
	ds_write_b64 v20, v[27:28] offset:4224
; %bb.66:
	s_andn2_saveexec_b64 s[36:37], s[36:37]
	s_cbranch_execz .LBB32_68
; %bb.67:
	s_lshl_b64 s[40:41], s[22:23], 7
	v_mov_b32_e32 v23, s41
	v_add_co_u32_e32 v27, vcc, s40, v3
	v_addc_co_u32_e32 v28, vcc, v4, v23, vcc
	flat_load_dwordx2 v[27:28], v[27:28]
	s_waitcnt vmcnt(0) lgkmcnt(0)
	ds_write_b64 v20, v[27:28] offset:4224
.LBB32_68:
	s_or_b64 exec, exec, s[36:37]
	v_add_u32_e32 v23, 24, v9
	v_cmp_le_i32_e32 vcc, s19, v23
	s_and_saveexec_b64 s[36:37], vcc
	s_xor_b64 s[36:37], exec, s[36:37]
; %bb.69:
	v_mov_b32_e32 v27, 0
	v_mov_b32_e32 v28, v27
	ds_write_b64 v20, v[27:28] offset:6336
                                        ; implicit-def: $vgpr20
; %bb.70:
	s_andn2_saveexec_b64 s[36:37], s[36:37]
	s_cbranch_execz .LBB32_72
; %bb.71:
	v_mov_b32_e32 v23, 0xc0
	v_mad_u64_u32 v[27:28], s[40:41], s22, v23, v[3:4]
	s_mul_i32 s19, s23, 0xc0
	v_add_u32_e32 v28, s19, v28
	flat_load_dwordx2 v[27:28], v[27:28]
	s_waitcnt vmcnt(0) lgkmcnt(0)
	ds_write_b64 v20, v[27:28] offset:6336
.LBB32_72:
	s_or_b64 exec, exec, s[36:37]
	v_add_co_u32_e32 v3, vcc, v3, v11
	v_addc_co_u32_e32 v4, vcc, 0, v4, vcc
	v_mov_b32_e32 v20, s35
	v_subrev_co_u32_e32 v3, vcc, s34, v3
	v_subb_co_u32_e32 v4, vcc, v4, v20, vcc
	v_add_co_u32_e32 v3, vcc, 0x108, v3
	v_addc_co_u32_e32 v4, vcc, 0, v4, vcc
	v_cndmask_b32_e64 v4, v4, v6, s[12:13]
	v_cndmask_b32_e64 v3, v3, v5, s[12:13]
	s_branch .LBB32_83
.LBB32_73:
	s_andn2_saveexec_b64 s[8:9], s[8:9]
	s_cbranch_execz .LBB32_39
.LBB32_74:
	v_cmp_eq_u32_e32 vcc, v18, v2
	s_mov_b64 s[10:11], s[2:3]
                                        ; implicit-def: $vgpr6
	s_and_saveexec_b64 s[12:13], vcc
; %bb.75:
	v_add_u32_e32 v6, v10, v12
	s_or_b64 s[10:11], s[2:3], exec
; %bb.76:
	s_or_b64 exec, exec, s[12:13]
	s_andn2_b64 s[2:3], s[2:3], exec
	s_and_b64 s[10:11], s[10:11], exec
	v_mov_b32_e32 v7, 0
	s_or_b64 s[2:3], s[2:3], s[10:11]
	s_or_b64 exec, exec, s[8:9]
	s_and_saveexec_b64 s[8:9], s[2:3]
	s_cbranch_execnz .LBB32_40
	s_branch .LBB32_41
.LBB32_77:
	s_or_saveexec_b64 s[10:11], s[10:11]
	v_mov_b32_e32 v7, 0
	s_xor_b64 exec, exec, s[10:11]
	s_cbranch_execz .LBB32_45
.LBB32_78:
	s_movk_i32 s12, 0x108
	v_mad_u32_u24 v6, v19, s12, v10
	ds_read_b64 v[20:21], v6
	v_add_u32_e32 v6, 16, v5
	s_or_b64 s[2:3], s[2:3], exec
	s_waitcnt lgkmcnt(0)
	v_xor_b32_e32 v7, 0x80000000, v21
	ds_write_b32 v5, v20 offset:16
	s_or_b64 exec, exec, s[10:11]
	s_and_saveexec_b64 s[10:11], s[2:3]
	s_cbranch_execnz .LBB32_46
	s_branch .LBB32_47
.LBB32_79:
	s_or_saveexec_b64 s[12:13], s[12:13]
	v_mov_b32_e32 v7, 0
	s_xor_b64 exec, exec, s[12:13]
	s_cbranch_execz .LBB32_51
.LBB32_80:
	s_movk_i32 s19, 0x108
	v_mad_u32_u24 v6, v21, s19, v10
	ds_read_b64 v[22:23], v6
	v_add_u32_e32 v6, 24, v5
	s_or_b64 s[2:3], s[2:3], exec
	s_waitcnt lgkmcnt(0)
	v_xor_b32_e32 v7, 0x80000000, v23
	ds_write_b32 v5, v22 offset:24
	s_or_b64 exec, exec, s[12:13]
	s_and_saveexec_b64 s[12:13], s[2:3]
	s_cbranch_execnz .LBB32_52
	s_branch .LBB32_53
.LBB32_81:
                                        ; implicit-def: $vgpr3_vgpr4
	s_cbranch_execz .LBB32_83
; %bb.82:
	s_lshl_b64 s[12:13], s[22:23], 6
	v_mov_b32_e32 v20, s13
	v_add_co_u32_e32 v3, vcc, s12, v7
	v_addc_co_u32_e32 v4, vcc, v8, v20, vcc
	v_add_co_u32_e32 v27, vcc, s12, v3
	v_addc_co_u32_e32 v28, vcc, v4, v20, vcc
	;; [unrolled: 2-line block ×3, first 2 shown]
	flat_load_dwordx2 v[31:32], v[7:8] offset:256
	flat_load_dwordx2 v[33:34], v[3:4] offset:256
	;; [unrolled: 1-line block ×4, first 2 shown]
	s_movk_i32 s12, 0x108
	v_mad_u32_u24 v3, v9, s12, v10
	s_waitcnt vmcnt(0) lgkmcnt(0)
	ds_write_b64 v3, v[31:32]
	ds_write_b64 v3, v[33:34] offset:2112
	ds_write_b64 v3, v[35:36] offset:4224
	ds_write_b64 v3, v[37:38] offset:6336
	v_mov_b32_e32 v3, v5
	v_mov_b32_e32 v4, v6
.LBB32_83:
	v_mul_u32_u24_e32 v5, 0x420, v9
	s_mov_b64 s[12:13], 0
	s_waitcnt lgkmcnt(0)
	s_barrier
                                        ; implicit-def: $vgpr6
	s_and_saveexec_b64 s[34:35], s[4:5]
	s_xor_b64 s[4:5], exec, s[34:35]
	s_cbranch_execz .LBB32_87
; %bb.84:
	v_cmp_eq_u32_e32 vcc, v13, v2
                                        ; implicit-def: $vgpr6
	s_and_saveexec_b64 s[34:35], vcc
	s_xor_b64 s[34:35], exec, s[34:35]
; %bb.85:
	s_mov_b64 s[12:13], exec
	v_add_u32_e32 v6, v10, v12
; %bb.86:
	s_or_b64 exec, exec, s[34:35]
	s_and_b64 s[12:13], s[12:13], exec
.LBB32_87:
	s_or_saveexec_b64 s[4:5], s[4:5]
	v_mov_b32_e32 v7, 0
	v_add_u32_e32 v20, v10, v5
	v_lshl_add_u32 v5, v13, 3, v25
	s_xor_b64 exec, exec, s[4:5]
	s_cbranch_execz .LBB32_89
; %bb.88:
	ds_read_b64 v[6:7], v20
	s_or_b64 s[12:13], s[12:13], exec
	s_waitcnt lgkmcnt(0)
	v_xor_b32_e32 v7, 0x80000000, v7
	ds_write_b32 v5, v6
	v_mov_b32_e32 v6, v5
.LBB32_89:
	s_or_b64 exec, exec, s[4:5]
	v_mul_u32_u24_e32 v8, 0x108, v18
	s_and_saveexec_b64 s[4:5], s[12:13]
; %bb.90:
	ds_write_b32 v6, v7 offset:4
; %bb.91:
	s_or_b64 exec, exec, s[4:5]
	s_mov_b64 s[4:5], 0
	v_add_u32_e32 v27, v10, v8
                                        ; implicit-def: $vgpr7
                                        ; implicit-def: $vgpr6
	s_and_saveexec_b64 s[12:13], s[14:15]
	s_xor_b64 s[12:13], exec, s[12:13]
	s_cbranch_execz .LBB32_127
; %bb.92:
	ds_read_b64 v[28:29], v27
	s_mov_b64 s[4:5], exec
	v_add_u32_e32 v6, 8, v5
                                        ; implicit-def: $vgpr18
	s_waitcnt lgkmcnt(0)
	v_xor_b32_e32 v7, 0x80000000, v29
	ds_write_b32 v5, v28 offset:8
	s_andn2_saveexec_b64 s[12:13], s[12:13]
	s_cbranch_execnz .LBB32_128
.LBB32_93:
	s_or_b64 exec, exec, s[12:13]
	s_and_saveexec_b64 s[12:13], s[4:5]
.LBB32_94:
	ds_write_b32 v6, v7 offset:4
.LBB32_95:
	s_or_b64 exec, exec, s[12:13]
	s_mov_b64 s[4:5], 0
                                        ; implicit-def: $vgpr6
	s_and_saveexec_b64 s[12:13], s[8:9]
	s_xor_b64 s[8:9], exec, s[12:13]
	s_cbranch_execz .LBB32_131
; %bb.96:
	v_cmp_eq_u32_e32 vcc, v19, v2
                                        ; implicit-def: $vgpr6
	s_and_saveexec_b64 s[12:13], vcc
; %bb.97:
	s_mov_b64 s[4:5], exec
	v_add_u32_e32 v6, v10, v12
; %bb.98:
	s_or_b64 exec, exec, s[12:13]
	s_and_b64 s[4:5], s[4:5], exec
	s_or_saveexec_b64 s[8:9], s[8:9]
	v_mov_b32_e32 v7, 0
	s_xor_b64 exec, exec, s[8:9]
	s_cbranch_execnz .LBB32_132
.LBB32_99:
	s_or_b64 exec, exec, s[8:9]
	s_and_saveexec_b64 s[8:9], s[4:5]
.LBB32_100:
	ds_write_b32 v6, v7 offset:4
.LBB32_101:
	s_or_b64 exec, exec, s[8:9]
	s_mov_b64 s[4:5], 0
                                        ; implicit-def: $vgpr6
	s_and_saveexec_b64 s[8:9], s[10:11]
	s_xor_b64 s[8:9], exec, s[8:9]
	s_cbranch_execz .LBB32_133
; %bb.102:
	v_cmp_eq_u32_e32 vcc, v21, v2
                                        ; implicit-def: $vgpr6
	s_and_saveexec_b64 s[10:11], vcc
; %bb.103:
	s_mov_b64 s[4:5], exec
	v_add_u32_e32 v6, v10, v12
; %bb.104:
	s_or_b64 exec, exec, s[10:11]
	s_and_b64 s[4:5], s[4:5], exec
                                        ; implicit-def: $vgpr5
	s_or_saveexec_b64 s[8:9], s[8:9]
	v_mov_b32_e32 v7, 0
	s_xor_b64 exec, exec, s[8:9]
	s_cbranch_execnz .LBB32_134
.LBB32_105:
	s_or_b64 exec, exec, s[8:9]
	v_add_u32_e32 v12, 0x2380, v22
	s_and_saveexec_b64 s[8:9], s[4:5]
.LBB32_106:
	ds_write_b32 v6, v7 offset:4
.LBB32_107:
	s_or_b64 exec, exec, s[8:9]
	s_waitcnt lgkmcnt(0)
	s_barrier
	ds_read_b64 v[18:19], v20
	ds_read_b128 v[5:8], v12 offset:256
	ds_read_b128 v[28:31], v12 offset:272
	ds_read_b64 v[21:22], v27 offset:528
	ds_read2_b64 v[32:35], v27 offset1:33
	v_cmp_eq_u32_e64 s[4:5], 1, v9
	s_waitcnt lgkmcnt(3)
	v_mul_f32_e32 v13, v6, v19
	v_fma_f32 v13, v5, v18, -v13
	v_mul_f32_e32 v5, v5, v19
	v_fmac_f32_e32 v5, v6, v18
	v_add_f32_e32 v6, 0, v13
	s_waitcnt lgkmcnt(0)
	v_mul_f32_e32 v13, v8, v33
	v_fma_f32 v13, v7, v32, -v13
	v_mul_f32_e32 v7, v7, v33
	v_add_f32_e32 v5, 0, v5
	v_fmac_f32_e32 v7, v8, v32
	v_add_f32_e32 v5, v5, v7
	v_mul_f32_e32 v7, v29, v35
	v_mul_f32_e32 v8, v28, v35
	v_add_f32_e32 v6, v6, v13
	v_fma_f32 v7, v28, v34, -v7
	v_fmac_f32_e32 v8, v29, v34
	v_add_f32_e32 v6, v6, v7
	v_add_f32_e32 v7, v5, v8
	v_mul_f32_e32 v5, v31, v22
	v_mul_f32_e32 v8, v30, v22
	v_fma_f32 v5, v30, v21, -v5
	v_fmac_f32_e32 v8, v31, v21
	v_add_f32_e32 v5, v6, v5
	v_add_f32_e32 v6, v7, v8
	s_barrier
	ds_write_b64 v26, v[5:6]
	s_waitcnt lgkmcnt(0)
	s_barrier
	s_and_saveexec_b64 s[8:9], s[4:5]
	s_cbranch_execz .LBB32_109
; %bb.108:
	ds_read2_b64 v[5:8], v25 offset1:7
	ds_read2_b64 v[28:31], v25 offset0:1 offset1:2
	ds_read2_b64 v[32:35], v25 offset0:3 offset1:4
	s_waitcnt lgkmcnt(1)
	v_add_f32_e32 v5, v28, v5
	v_add_f32_e32 v6, v29, v6
	;; [unrolled: 1-line block ×4, first 2 shown]
	ds_read2_b64 v[28:31], v25 offset0:5 offset1:6
	s_waitcnt lgkmcnt(1)
	v_add_f32_e32 v5, v5, v32
	v_add_f32_e32 v6, v6, v33
	;; [unrolled: 1-line block ×4, first 2 shown]
	s_waitcnt lgkmcnt(0)
	v_add_f32_e32 v5, v5, v28
	v_add_f32_e32 v6, v6, v29
	;; [unrolled: 1-line block ×6, first 2 shown]
.LBB32_109:
	s_or_b64 exec, exec, s[8:9]
	v_add_co_u32_e32 v3, vcc, 0xffffff00, v3
	v_addc_co_u32_e32 v4, vcc, -1, v4, vcc
	s_and_b64 vcc, exec, s[30:31]
	s_barrier
	s_cbranch_vccz .LBB32_135
; %bb.110:
	v_sub_co_u32_e32 v5, vcc, v3, v11
	s_ashr_i32 s19, s18, 31
	v_subbrev_co_u32_e32 v6, vcc, 0, v4, vcc
	s_lshl_b64 s[10:11], s[18:19], 3
	v_mov_b32_e32 v7, s11
	v_add_co_u32_e32 v5, vcc, s10, v5
	v_addc_co_u32_e32 v6, vcc, v6, v7, vcc
	v_add_co_u32_e32 v5, vcc, -8, v5
	v_addc_co_u32_e32 v6, vcc, -1, v6, vcc
	v_cmp_gt_i32_e32 vcc, s18, v2
	s_sub_i32 s14, s18, 32
	v_mul_u32_u24_e32 v2, 0x108, v9
	v_cndmask_b32_e32 v6, v6, v4, vcc
	v_cndmask_b32_e32 v5, v5, v3, vcc
	v_cmp_le_i32_e64 s[8:9], s14, v9
	v_add_u32_e32 v13, v10, v2
	s_and_saveexec_b64 s[12:13], s[8:9]
	s_xor_b64 s[8:9], exec, s[12:13]
; %bb.111:
	v_mov_b32_e32 v7, 0
	v_mov_b32_e32 v8, v7
	ds_write_b64 v13, v[7:8]
; %bb.112:
	s_andn2_saveexec_b64 s[8:9], s[8:9]
	s_cbranch_execz .LBB32_114
; %bb.113:
	flat_load_dwordx2 v[7:8], v[5:6]
	s_waitcnt vmcnt(0) lgkmcnt(0)
	ds_write_b64 v13, v[7:8]
.LBB32_114:
	s_or_b64 exec, exec, s[8:9]
	v_add_u32_e32 v2, 8, v9
	v_cmp_le_i32_e64 s[8:9], s14, v2
	s_and_saveexec_b64 s[12:13], s[8:9]
	s_xor_b64 s[8:9], exec, s[12:13]
; %bb.115:
	v_mov_b32_e32 v7, 0
	v_mov_b32_e32 v8, v7
	ds_write_b64 v13, v[7:8] offset:2112
; %bb.116:
	s_andn2_saveexec_b64 s[12:13], s[8:9]
	s_cbranch_execz .LBB32_118
; %bb.117:
	s_lshl_b64 s[8:9], s[22:23], 6
	v_mov_b32_e32 v8, s9
	v_add_co_u32_e64 v7, s[8:9], s8, v5
	v_addc_co_u32_e64 v8, s[8:9], v6, v8, s[8:9]
	flat_load_dwordx2 v[7:8], v[7:8]
	s_waitcnt vmcnt(0) lgkmcnt(0)
	ds_write_b64 v13, v[7:8] offset:2112
.LBB32_118:
	s_or_b64 exec, exec, s[12:13]
	v_add_u32_e32 v7, 16, v9
	v_cmp_le_i32_e64 s[8:9], s14, v7
	s_and_saveexec_b64 s[12:13], s[8:9]
	s_xor_b64 s[8:9], exec, s[12:13]
; %bb.119:
	v_mov_b32_e32 v18, 0
	v_mov_b32_e32 v19, v18
	ds_write_b64 v13, v[18:19] offset:4224
; %bb.120:
	s_andn2_saveexec_b64 s[12:13], s[8:9]
	s_cbranch_execz .LBB32_122
; %bb.121:
	s_lshl_b64 s[8:9], s[22:23], 7
	v_mov_b32_e32 v8, s9
	v_add_co_u32_e64 v18, s[8:9], s8, v5
	v_addc_co_u32_e64 v19, s[8:9], v6, v8, s[8:9]
	flat_load_dwordx2 v[18:19], v[18:19]
	s_waitcnt vmcnt(0) lgkmcnt(0)
	ds_write_b64 v13, v[18:19] offset:4224
.LBB32_122:
	s_or_b64 exec, exec, s[12:13]
	v_add_u32_e32 v8, 24, v9
	v_cmp_le_i32_e64 s[8:9], s14, v8
	s_and_saveexec_b64 s[12:13], s[8:9]
	s_xor_b64 s[8:9], exec, s[12:13]
; %bb.123:
	v_mov_b32_e32 v18, 0
	v_mov_b32_e32 v19, v18
	ds_write_b64 v13, v[18:19] offset:6336
                                        ; implicit-def: $vgpr13
; %bb.124:
	s_andn2_saveexec_b64 s[8:9], s[8:9]
	s_cbranch_execz .LBB32_126
; %bb.125:
	v_mov_b32_e32 v18, 0xc0
	v_mad_u64_u32 v[18:19], s[12:13], s22, v18, v[5:6]
	s_mul_i32 s12, s23, 0xc0
	v_add_u32_e32 v19, s12, v19
	flat_load_dwordx2 v[18:19], v[18:19]
	s_waitcnt vmcnt(0) lgkmcnt(0)
	ds_write_b64 v13, v[18:19] offset:6336
.LBB32_126:
	s_or_b64 exec, exec, s[8:9]
	v_add_co_u32_e64 v5, s[8:9], v5, v11
	v_addc_co_u32_e64 v6, s[8:9], 0, v6, s[8:9]
	v_mov_b32_e32 v11, s11
	v_subrev_co_u32_e64 v5, s[8:9], s10, v5
	v_subb_co_u32_e64 v6, s[8:9], v6, v11, s[8:9]
	v_add_co_u32_e64 v5, s[8:9], 8, v5
	v_addc_co_u32_e64 v6, s[8:9], 0, v6, s[8:9]
	v_cndmask_b32_e32 v19, v6, v4, vcc
	v_cndmask_b32_e32 v18, v5, v3, vcc
	s_branch .LBB32_137
.LBB32_127:
	s_andn2_saveexec_b64 s[12:13], s[12:13]
	s_cbranch_execz .LBB32_93
.LBB32_128:
	v_cmp_eq_u32_e32 vcc, v18, v2
	s_mov_b64 s[14:15], s[4:5]
                                        ; implicit-def: $vgpr6
	s_and_saveexec_b64 s[34:35], vcc
; %bb.129:
	v_add_u32_e32 v6, v10, v12
	s_or_b64 s[14:15], s[4:5], exec
; %bb.130:
	s_or_b64 exec, exec, s[34:35]
	s_andn2_b64 s[4:5], s[4:5], exec
	s_and_b64 s[14:15], s[14:15], exec
	v_mov_b32_e32 v7, 0
	s_or_b64 s[4:5], s[4:5], s[14:15]
	s_or_b64 exec, exec, s[12:13]
	s_and_saveexec_b64 s[12:13], s[4:5]
	s_cbranch_execnz .LBB32_94
	s_branch .LBB32_95
.LBB32_131:
	s_or_saveexec_b64 s[8:9], s[8:9]
	v_mov_b32_e32 v7, 0
	s_xor_b64 exec, exec, s[8:9]
	s_cbranch_execz .LBB32_99
.LBB32_132:
	ds_read_b64 v[18:19], v27 offset:264
	v_add_u32_e32 v6, 16, v5
	s_or_b64 s[4:5], s[4:5], exec
	s_waitcnt lgkmcnt(0)
	v_xor_b32_e32 v7, 0x80000000, v19
	ds_write_b32 v5, v18 offset:16
	s_or_b64 exec, exec, s[8:9]
	s_and_saveexec_b64 s[8:9], s[4:5]
	s_cbranch_execnz .LBB32_100
	s_branch .LBB32_101
.LBB32_133:
	s_or_saveexec_b64 s[8:9], s[8:9]
	v_mov_b32_e32 v7, 0
	s_xor_b64 exec, exec, s[8:9]
	s_cbranch_execz .LBB32_105
.LBB32_134:
	ds_read_b64 v[12:13], v27 offset:528
	v_add_u32_e32 v6, 24, v5
	s_or_b64 s[4:5], s[4:5], exec
	s_waitcnt lgkmcnt(0)
	v_xor_b32_e32 v7, 0x80000000, v13
	ds_write_b32 v5, v12 offset:24
	s_or_b64 exec, exec, s[8:9]
	v_add_u32_e32 v12, 0x2380, v22
	s_and_saveexec_b64 s[8:9], s[4:5]
	s_cbranch_execnz .LBB32_106
	s_branch .LBB32_107
.LBB32_135:
                                        ; implicit-def: $vgpr18_vgpr19
                                        ; implicit-def: $vgpr2
                                        ; implicit-def: $vgpr7
                                        ; implicit-def: $vgpr8
	s_cbranch_execz .LBB32_137
; %bb.136:
	s_lshl_b64 s[8:9], s[22:23], 6
	v_mov_b32_e32 v2, s9
	v_add_co_u32_e32 v5, vcc, s8, v3
	v_addc_co_u32_e32 v6, vcc, v4, v2, vcc
	v_add_co_u32_e32 v7, vcc, s8, v5
	v_addc_co_u32_e32 v8, vcc, v6, v2, vcc
	v_add_co_u32_e32 v18, vcc, s8, v7
	v_addc_co_u32_e32 v19, vcc, v8, v2, vcc
	flat_load_dwordx2 v[21:22], v[3:4]
	flat_load_dwordx2 v[28:29], v[5:6]
	;; [unrolled: 1-line block ×4, first 2 shown]
	s_movk_i32 s8, 0x108
	v_mov_b32_e32 v19, v4
	v_add_u32_e32 v2, 8, v9
	v_add_u32_e32 v7, 16, v9
	;; [unrolled: 1-line block ×3, first 2 shown]
	v_mad_u32_u24 v5, v9, s8, v10
	v_mov_b32_e32 v18, v3
	s_waitcnt vmcnt(0) lgkmcnt(0)
	ds_write_b64 v5, v[21:22]
	ds_write_b64 v5, v[28:29] offset:2112
	ds_write_b64 v5, v[30:31] offset:4224
	;; [unrolled: 1-line block ×3, first 2 shown]
.LBB32_137:
	v_lshlrev_b32_e32 v3, 3, v9
	v_add_u32_e32 v4, v25, v3
	v_lshlrev_b32_e32 v2, 3, v2
	s_waitcnt lgkmcnt(0)
	s_barrier
	v_add_u32_e32 v5, v25, v2
	ds_read_b64 v[10:11], v4
	ds_read_b64 v[28:29], v2 offset:9088
	ds_read_b64 v[30:31], v5
	ds_read_b64 v[21:22], v3 offset:9088
	v_lshlrev_b32_e32 v3, 3, v7
	v_add_u32_e32 v4, v25, v3
	v_lshlrev_b32_e32 v5, 3, v8
	v_add_u32_e32 v6, v25, v5
	ds_read_b64 v[32:33], v4
	ds_read_b64 v[34:35], v6
	ds_read_b64 v[36:37], v5 offset:9088
	ds_read_b64 v[38:39], v3 offset:9088
	s_waitcnt lgkmcnt(4)
	v_mul_f32_e32 v2, v11, v22
	v_fmac_f32_e32 v2, v10, v21
	v_mul_f32_e32 v3, v31, v29
	v_add_f32_e32 v2, 0, v2
	v_fmac_f32_e32 v3, v30, v28
	v_add_f32_e32 v2, v2, v3
	s_waitcnt lgkmcnt(0)
	v_mul_f32_e32 v3, v33, v39
	v_fmac_f32_e32 v3, v32, v38
	v_add_f32_e32 v2, v2, v3
	v_mul_f32_e32 v3, v35, v37
	v_mul_f32_e32 v11, v11, v21
	v_fmac_f32_e32 v3, v34, v36
	v_mul_f32_e32 v31, v31, v28
	v_mul_f32_e32 v35, v35, v36
	v_add_f32_e32 v28, v2, v3
	ds_read_b128 v[6:9], v12 offset:256
	ds_read_b128 v[2:5], v12 offset:272
	v_fma_f32 v36, v10, v22, -v11
	ds_read2_b64 v[10:13], v27 offset1:33
	ds_read_b64 v[22:23], v20
	ds_read_b64 v[20:21], v27 offset:528
	v_mul_f32_e32 v33, v33, v38
	v_add_f32_e32 v27, 0, v36
	v_fma_f32 v29, v30, v29, -v31
	v_add_f32_e32 v27, v27, v29
	v_fma_f32 v29, v32, v39, -v33
	;; [unrolled: 2-line block ×3, first 2 shown]
	v_add_f32_e32 v29, v27, v29
	s_waitcnt lgkmcnt(0)
	s_barrier
	ds_write_b64 v26, v[28:29]
	s_waitcnt lgkmcnt(0)
	s_barrier
	s_and_saveexec_b64 s[8:9], s[4:5]
	s_cbranch_execz .LBB32_139
; %bb.138:
	ds_read2_b64 v[27:30], v25 offset1:1
	ds_read2_b64 v[31:34], v25 offset0:2 offset1:3
	ds_read2_b64 v[35:38], v25 offset0:4 offset1:5
	s_waitcnt lgkmcnt(2)
	v_add_f32_e32 v27, v52, v27
	v_add_f32_e32 v28, v53, v28
	;; [unrolled: 1-line block ×4, first 2 shown]
	s_waitcnt lgkmcnt(1)
	v_add_f32_e32 v27, v27, v31
	v_add_f32_e32 v28, v28, v32
	;; [unrolled: 1-line block ×4, first 2 shown]
	ds_read2_b64 v[27:30], v25 offset0:6 offset1:7
	s_waitcnt lgkmcnt(1)
	v_add_f32_e32 v31, v31, v35
	v_add_f32_e32 v32, v32, v36
	;; [unrolled: 1-line block ×4, first 2 shown]
	s_waitcnt lgkmcnt(0)
	v_add_f32_e32 v27, v31, v27
	v_add_f32_e32 v28, v32, v28
	;; [unrolled: 1-line block ×4, first 2 shown]
.LBB32_139:
	s_or_b64 exec, exec, s[8:9]
	v_mul_f32_e32 v27, v7, v23
	v_fma_f32 v27, v6, v22, -v27
	v_mul_f32_e32 v6, v6, v23
	v_fmac_f32_e32 v6, v7, v22
	v_mul_f32_e32 v22, v9, v11
	v_fma_f32 v22, v8, v10, -v22
	v_mul_f32_e32 v8, v8, v11
	v_add_f32_e32 v6, 0, v6
	v_fmac_f32_e32 v8, v9, v10
	v_add_f32_e32 v6, v6, v8
	v_mul_f32_e32 v8, v3, v13
	v_fma_f32 v8, v2, v12, -v8
	v_mul_f32_e32 v2, v2, v13
	v_fmac_f32_e32 v2, v3, v12
	v_add_f32_e32 v7, 0, v27
	v_add_f32_e32 v6, v6, v2
	v_mul_f32_e32 v2, v5, v21
	v_add_f32_e32 v7, v7, v22
	v_fma_f32 v2, v4, v20, -v2
	v_mul_f32_e32 v4, v4, v21
	v_add_f32_e32 v3, v7, v8
	v_fmac_f32_e32 v4, v5, v20
	v_add_f32_e32 v2, v3, v2
	v_add_f32_e32 v3, v6, v4
	s_barrier
	ds_write_b64 v26, v[2:3]
	s_waitcnt lgkmcnt(0)
	s_barrier
	s_and_saveexec_b64 s[4:5], s[2:3]
	s_cbranch_execz .LBB32_141
; %bb.140:
	ds_read2_b64 v[2:5], v25 offset1:1
	ds_read2_b64 v[6:9], v25 offset0:2 offset1:3
	ds_read2_b64 v[10:13], v25 offset0:4 offset1:5
	s_waitcnt lgkmcnt(2)
	v_add_f32_e32 v2, v52, v2
	v_add_f32_e32 v3, v53, v3
	;; [unrolled: 1-line block ×4, first 2 shown]
	s_waitcnt lgkmcnt(1)
	v_add_f32_e32 v2, v2, v6
	v_add_f32_e32 v3, v3, v7
	;; [unrolled: 1-line block ×4, first 2 shown]
	ds_read2_b64 v[2:5], v25 offset0:6 offset1:7
	s_waitcnt lgkmcnt(1)
	v_add_f32_e32 v6, v6, v10
	v_add_f32_e32 v7, v7, v11
	;; [unrolled: 1-line block ×4, first 2 shown]
	s_waitcnt lgkmcnt(0)
	v_add_f32_e32 v2, v6, v2
	v_add_f32_e32 v3, v7, v3
	;; [unrolled: 1-line block ×4, first 2 shown]
.LBB32_141:
	s_or_b64 exec, exec, s[4:5]
	s_mul_hi_u32 s2, s33, s26
	s_mul_i32 s38, s38, s26
	s_add_i32 s2, s2, s38
	s_mul_i32 s4, s33, s26
	s_mul_i32 s2, s2, s7
	s_mul_hi_u32 s3, s4, s7
	s_add_i32 s3, s3, s2
	s_mul_i32 s2, s4, s7
	s_lshl_b64 s[2:3], s[2:3], 3
	s_add_u32 s4, s28, s2
	s_addc_u32 s5, s29, s3
	s_mul_hi_i32 s3, s33, s6
	s_mul_i32 s2, s33, s6
	s_lshl_b64 s[2:3], s[2:3], 3
	s_add_u32 s19, s4, s2
	s_addc_u32 s26, s5, s3
	s_add_i32 s2, s6, 1
	s_cmp_ge_u32 s2, s7
	v_lshlrev_b32_e32 v87, 3, v0
	s_barrier
	s_cbranch_scc1 .LBB32_199
; %bb.142:
	v_lshlrev_b32_e32 v7, 5, v1
	v_add_u32_e32 v4, 0x110, v7
	v_mad_u64_u32 v[2:3], s[2:3], s22, v4, 0
	v_add_u32_e32 v6, 0x298, v7
	v_add_u32_e32 v20, 0x100, v7
	v_mad_u64_u32 v[3:4], s[2:3], s23, v4, v[3:4]
	v_mad_u64_u32 v[4:5], s[2:3], s22, v6, 0
	v_sub_co_u32_e32 v8, vcc, v2, v16
	v_mov_b32_e32 v2, v5
	v_subb_co_u32_e32 v9, vcc, v3, v17, vcc
	v_mad_u64_u32 v[2:3], s[2:3], s23, v6, v[2:3]
	v_add_u32_e32 v3, 0x108, v7
	v_mad_u64_u32 v[5:6], s[2:3], s22, v3, 0
	v_sub_co_u32_e32 v10, vcc, v4, v16
	v_subb_co_u32_e32 v11, vcc, v2, v17, vcc
	v_mov_b32_e32 v2, v6
	v_mad_u64_u32 v[2:3], s[2:3], s23, v3, v[2:3]
	v_add_u32_e32 v6, 0x280, v7
	v_mad_u64_u32 v[3:4], s[2:3], s22, v6, 0
	v_sub_co_u32_e32 v12, vcc, v5, v16
	v_subb_co_u32_e32 v13, vcc, v2, v17, vcc
	v_mov_b32_e32 v2, v4
	v_mad_u64_u32 v[4:5], s[2:3], s23, v6, v[2:3]
	v_mad_u64_u32 v[5:6], s[2:3], s22, v20, 0
	v_sub_co_u32_e32 v21, vcc, v3, v16
	v_mov_b32_e32 v2, v6
	v_mad_u64_u32 v[2:3], s[2:3], s23, v20, v[2:3]
	v_add_u32_e32 v6, 0x288, v7
	v_subb_co_u32_e32 v22, vcc, v4, v17, vcc
	v_mad_u64_u32 v[3:4], s[2:3], s22, v6, 0
	v_sub_co_u32_e32 v20, vcc, v5, v16
	v_subb_co_u32_e32 v23, vcc, v2, v17, vcc
	v_mov_b32_e32 v2, v4
	v_mad_u64_u32 v[4:5], s[2:3], s23, v6, v[2:3]
	v_add_u32_e32 v25, 0x118, v7
	v_mad_u64_u32 v[5:6], s[2:3], s22, v25, 0
	v_sub_co_u32_e32 v26, vcc, v3, v16
	v_mov_b32_e32 v2, v6
	v_mad_u64_u32 v[2:3], s[2:3], s23, v25, v[2:3]
	v_add_u32_e32 v6, 0x190, v7
	v_subb_co_u32_e32 v27, vcc, v4, v17, vcc
	v_mad_u64_u32 v[3:4], s[2:3], s22, v6, 0
	v_sub_co_u32_e32 v25, vcc, v5, v16
	v_subb_co_u32_e32 v28, vcc, v2, v17, vcc
	v_mov_b32_e32 v2, v4
	v_mad_u64_u32 v[4:5], s[2:3], s23, v6, v[2:3]
	v_add_u32_e32 v29, 0x290, v7
	v_mad_u64_u32 v[5:6], s[2:3], s22, v29, 0
	v_sub_co_u32_e32 v30, vcc, v3, v16
	v_mov_b32_e32 v2, v6
	v_mad_u64_u32 v[2:3], s[2:3], s23, v29, v[2:3]
	v_add_u32_e32 v6, 0x218, v7
	v_subb_co_u32_e32 v31, vcc, v4, v17, vcc
	v_mad_u64_u32 v[3:4], s[2:3], s22, v6, 0
	v_sub_co_u32_e32 v29, vcc, v5, v16
	v_subb_co_u32_e32 v32, vcc, v2, v17, vcc
	v_mov_b32_e32 v2, v4
	v_mad_u64_u32 v[4:5], s[2:3], s23, v6, v[2:3]
	v_add_u32_e32 v33, 0x188, v7
	v_mad_u64_u32 v[5:6], s[2:3], s22, v33, 0
	v_sub_co_u32_e32 v34, vcc, v3, v16
	v_mov_b32_e32 v2, v6
	v_mad_u64_u32 v[2:3], s[2:3], s23, v33, v[2:3]
	v_add_u32_e32 v6, 0x200, v7
	v_subb_co_u32_e32 v35, vcc, v4, v17, vcc
	v_mad_u64_u32 v[3:4], s[2:3], s22, v6, 0
	v_sub_co_u32_e32 v33, vcc, v5, v16
	v_subb_co_u32_e32 v36, vcc, v2, v17, vcc
	v_mov_b32_e32 v2, v4
	v_mad_u64_u32 v[4:5], s[2:3], s23, v6, v[2:3]
	v_add_u32_e32 v37, 0x180, v7
	v_mad_u64_u32 v[5:6], s[2:3], s22, v37, 0
	v_sub_co_u32_e32 v38, vcc, v3, v16
	v_mov_b32_e32 v2, v6
	v_mad_u64_u32 v[2:3], s[2:3], s23, v37, v[2:3]
	v_add_u32_e32 v6, 0x208, v7
	v_subb_co_u32_e32 v39, vcc, v4, v17, vcc
	v_mad_u64_u32 v[3:4], s[2:3], s22, v6, 0
	v_sub_co_u32_e32 v37, vcc, v5, v16
	v_subb_co_u32_e32 v40, vcc, v2, v17, vcc
	v_mov_b32_e32 v2, v4
	v_mad_u64_u32 v[4:5], s[2:3], s23, v6, v[2:3]
	v_add_u32_e32 v41, 0x198, v7
	v_mad_u64_u32 v[5:6], s[2:3], s22, v41, 0
	v_sub_co_u32_e32 v42, vcc, v3, v16
	v_mov_b32_e32 v2, v6
	v_mad_u64_u32 v[2:3], s[2:3], s23, v41, v[2:3]
	v_add_u32_e32 v6, 0x210, v7
	v_subb_co_u32_e32 v43, vcc, v4, v17, vcc
	v_mad_u64_u32 v[3:4], s[2:3], s22, v6, 0
	v_sub_co_u32_e32 v41, vcc, v5, v16
	v_subb_co_u32_e32 v44, vcc, v2, v17, vcc
	v_mov_b32_e32 v2, v4
	v_mad_u64_u32 v[4:5], s[2:3], s23, v6, v[2:3]
	s_mul_i32 s2, s16, s25
	s_mul_hi_u32 s3, s16, s24
	s_add_i32 s2, s3, s2
	s_mul_i32 s3, s17, s24
	v_sub_co_u32_e32 v2, vcc, v3, v16
	s_add_i32 s3, s2, s3
	s_mul_i32 s2, s16, s24
	v_subb_co_u32_e32 v3, vcc, v4, v17, vcc
	s_lshl_b64 s[2:3], s[2:3], 3
	v_mov_b32_e32 v4, s3
	v_subrev_co_u32_e32 v89, vcc, s2, v14
	v_subb_co_u32_e32 v90, vcc, v15, v4, vcc
	v_add_co_u32_e32 v92, vcc, v18, v8
	v_addc_co_u32_e32 v93, vcc, v19, v9, vcc
	v_add_co_u32_e32 v94, vcc, v18, v10
	v_addc_co_u32_e32 v95, vcc, v19, v11, vcc
	;; [unrolled: 2-line block ×15, first 2 shown]
	v_add_co_u32_e32 v122, vcc, v18, v2
	v_and_b32_e32 v2, 48, v0
	v_lshrrev_b32_e32 v4, 4, v24
	v_and_b32_e32 v5, 15, v0
	s_movk_i32 s4, 0x218
	v_lshlrev_b32_e32 v2, 3, v2
	v_lshlrev_b32_e32 v6, 5, v4
	v_mad_u32_u24 v124, v5, s4, v2
	v_or_b32_e32 v2, 0x78, v87
	v_lshlrev_b32_e32 v88, 2, v1
	v_mad_u32_u24 v91, v5, s4, v6
	v_mad_u32_u24 v125, v5, s4, v2
	s_movk_i32 s4, 0x860
	v_mul_i32_i24_e32 v2, 0xffffffe8, v4
	s_add_i32 s25, s7, -2
	v_cmp_gt_u32_e64 s[2:3], 64, v24
	v_addc_co_u32_e32 v123, vcc, v19, v3, vcc
	v_add_u32_e32 v126, 0x2180, v87
	v_add_u32_e32 v127, 0x2180, v7
	s_add_i32 s24, s24, 64
	s_lshl_b64 s[10:11], s[22:23], 9
	v_add_u32_e32 v128, v91, v2
	v_add_u32_e32 v129, 0x2380, v87
	v_mad_u32_u24 v130, v1, s4, v87
	v_or_b32_e32 v131, 1, v88
	v_or_b32_e32 v132, 2, v88
	;; [unrolled: 1-line block ×3, first 2 shown]
	v_add_u32_e32 v134, 16, v88
	v_add_u32_e32 v135, 17, v88
	;; [unrolled: 1-line block ×12, first 2 shown]
	v_mov_b32_e32 v54, 0
	s_cmp_eq_u32 s25, s6
	s_cselect_b32 s22, s27, 0
	s_and_saveexec_b64 s[4:5], s[0:1]
	s_cbranch_execz .LBB32_148
	s_branch .LBB32_144
.LBB32_143:                             ;   in Loop: Header=BB32_148 Depth=1
	s_mov_b32 s6, s4
	s_cmp_eq_u32 s25, s6
	s_cselect_b32 s22, s27, 0
	s_and_saveexec_b64 s[4:5], s[0:1]
	s_cbranch_execz .LBB32_148
.LBB32_144:
	s_cmp_lg_u32 s22, 0
	s_cselect_b64 s[8:9], -1, 0
	v_cmp_le_i32_e32 vcc, s22, v0
	s_and_b64 s[8:9], s[8:9], vcc
	s_and_saveexec_b64 s[12:13], s[8:9]
	s_xor_b64 s[8:9], exec, s[12:13]
; %bb.145:
	v_mov_b32_e32 v55, v54
	ds_write_b64 v126, v[54:55]
; %bb.146:
	s_andn2_saveexec_b64 s[8:9], s[8:9]
	s_cbranch_execz .LBB32_148
; %bb.147:
	s_ashr_i32 s8, s24, 31
	s_mul_hi_u32 s9, s16, s24
	s_mul_i32 s8, s16, s8
	s_add_i32 s8, s9, s8
	s_mul_i32 s9, s17, s24
	s_add_i32 s9, s8, s9
	s_mul_i32 s8, s16, s24
	s_lshl_b64 s[8:9], s[8:9], 3
	v_mov_b32_e32 v3, s9
	v_add_co_u32_e32 v2, vcc, s8, v89
	v_addc_co_u32_e32 v3, vcc, v90, v3, vcc
	flat_load_dwordx2 v[2:3], v[2:3]
	s_waitcnt vmcnt(0) lgkmcnt(0)
	ds_write_b64 v126, v[2:3]
.LBB32_148:                             ; =>This Inner Loop Header: Depth=1
	s_or_b64 exec, exec, s[4:5]
	s_cmp_eq_u32 s22, 0
	v_add_co_u32_e32 v2, vcc, v100, v87
	s_cselect_b64 s[12:13], -1, 0
	s_cmp_lg_u32 s22, 0
	v_addc_co_u32_e32 v3, vcc, 0, v101, vcc
	s_cselect_b64 s[8:9], -1, 0
	s_and_b64 vcc, exec, s[8:9]
	s_waitcnt lgkmcnt(0)
	s_barrier
	s_cbranch_vccz .LBB32_156
; %bb.149:                              ;   in Loop: Header=BB32_148 Depth=1
	v_cmp_gt_i32_e32 vcc, s22, v88
	v_mov_b32_e32 v57, 0
	v_mov_b32_e32 v55, 0
	;; [unrolled: 1-line block ×3, first 2 shown]
	s_and_saveexec_b64 s[4:5], vcc
	s_cbranch_execz .LBB32_151
; %bb.150:                              ;   in Loop: Header=BB32_148 Depth=1
	flat_load_dwordx2 v[55:56], v[2:3]
.LBB32_151:                             ;   in Loop: Header=BB32_148 Depth=1
	s_or_b64 exec, exec, s[4:5]
	v_cmp_gt_i32_e32 vcc, s22, v131
	v_mov_b32_e32 v58, 0
	s_and_saveexec_b64 s[4:5], vcc
	s_cbranch_execz .LBB32_153
; %bb.152:                              ;   in Loop: Header=BB32_148 Depth=1
	v_add_co_u32_e32 v4, vcc, v96, v87
	v_addc_co_u32_e32 v5, vcc, 0, v97, vcc
	flat_load_dwordx2 v[57:58], v[4:5]
.LBB32_153:                             ;   in Loop: Header=BB32_148 Depth=1
	s_or_b64 exec, exec, s[4:5]
	v_cmp_gt_i32_e32 vcc, s22, v132
	v_mov_b32_e32 v59, 0
	v_mov_b32_e32 v60, 0
	s_and_saveexec_b64 s[4:5], vcc
	s_cbranch_execz .LBB32_155
; %bb.154:                              ;   in Loop: Header=BB32_148 Depth=1
	v_add_co_u32_e32 v4, vcc, v92, v87
	v_addc_co_u32_e32 v5, vcc, 0, v93, vcc
	flat_load_dwordx2 v[59:60], v[4:5]
.LBB32_155:                             ;   in Loop: Header=BB32_148 Depth=1
	s_or_b64 exec, exec, s[4:5]
	v_cmp_gt_i32_e64 s[4:5], s22, v133
	s_branch .LBB32_158
.LBB32_156:                             ;   in Loop: Header=BB32_148 Depth=1
	s_mov_b64 s[4:5], 0
                                        ; implicit-def: $vgpr56
                                        ; implicit-def: $vgpr58
                                        ; implicit-def: $vgpr60
	s_cbranch_execz .LBB32_158
; %bb.157:                              ;   in Loop: Header=BB32_148 Depth=1
	s_waitcnt vmcnt(0) lgkmcnt(0)
	flat_load_dwordx2 v[55:56], v[2:3]
	v_add_co_u32_e32 v2, vcc, v96, v87
	v_addc_co_u32_e32 v3, vcc, 0, v97, vcc
	flat_load_dwordx2 v[57:58], v[2:3]
	v_add_co_u32_e32 v2, vcc, v92, v87
	v_addc_co_u32_e32 v3, vcc, 0, v93, vcc
	flat_load_dwordx2 v[59:60], v[2:3]
	s_or_b64 s[4:5], s[4:5], exec
.LBB32_158:                             ;   in Loop: Header=BB32_148 Depth=1
	v_mov_b32_e32 v61, 0
	v_mov_b32_e32 v62, 0
	s_and_saveexec_b64 s[14:15], s[4:5]
	s_cbranch_execz .LBB32_160
; %bb.159:                              ;   in Loop: Header=BB32_148 Depth=1
	v_add_co_u32_e32 v2, vcc, v104, v87
	v_addc_co_u32_e32 v3, vcc, 0, v105, vcc
	flat_load_dwordx2 v[61:62], v[2:3]
.LBB32_160:                             ;   in Loop: Header=BB32_148 Depth=1
	s_or_b64 exec, exec, s[14:15]
	ds_read_b64 v[10:11], v129
	ds_read_b128 v[6:9], v127
	ds_read_b128 v[2:5], v127 offset:16
	s_andn2_b64 vcc, exec, s[8:9]
	s_waitcnt vmcnt(0) lgkmcnt(0)
	v_mul_f32_e32 v12, v56, v11
	v_mul_f32_e32 v13, v56, v10
	;; [unrolled: 1-line block ×4, first 2 shown]
	v_fmac_f32_e32 v12, v55, v10
	v_fma_f32 v13, v55, v11, -v13
	v_fmac_f32_e32 v14, v57, v10
	v_fma_f32 v15, v57, v11, -v15
	ds_write2_b64 v130, v[12:13], v[14:15] offset1:67
	v_mul_f32_e32 v12, v60, v11
	v_mul_f32_e32 v14, v62, v11
	v_fmac_f32_e32 v12, v59, v10
	v_mul_f32_e32 v13, v60, v10
	v_fmac_f32_e32 v14, v61, v10
	v_mul_f32_e32 v10, v62, v10
	v_fma_f32 v13, v59, v11, -v13
	v_fma_f32 v15, v61, v11, -v10
	ds_write2_b64 v130, v[12:13], v[14:15] offset0:134 offset1:201
	s_waitcnt lgkmcnt(0)
	s_barrier
	ds_read2_b64 v[22:25], v91 offset1:1
	ds_read2_b64 v[10:13], v91 offset0:2 offset1:3
	v_cndmask_b32_e64 v14, 0, 1, s[8:9]
	v_cmp_ne_u32_e64 s[4:5], 1, v14
	v_add_co_u32_e64 v14, s[8:9], v116, v87
	v_addc_co_u32_e64 v15, s[8:9], 0, v117, s[8:9]
	s_waitcnt lgkmcnt(0)
	s_barrier
	s_cbranch_vccnz .LBB32_168
; %bb.161:                              ;   in Loop: Header=BB32_148 Depth=1
	v_cmp_gt_i32_e32 vcc, s22, v134
	v_mov_b32_e32 v65, 0
	v_mov_b32_e32 v63, 0
	v_mov_b32_e32 v64, 0
	s_and_saveexec_b64 s[8:9], vcc
	s_cbranch_execz .LBB32_163
; %bb.162:                              ;   in Loop: Header=BB32_148 Depth=1
	flat_load_dwordx2 v[63:64], v[14:15]
.LBB32_163:                             ;   in Loop: Header=BB32_148 Depth=1
	s_or_b64 exec, exec, s[8:9]
	v_cmp_gt_i32_e32 vcc, s22, v135
	v_mov_b32_e32 v66, 0
	s_and_saveexec_b64 s[8:9], vcc
	s_cbranch_execz .LBB32_165
; %bb.164:                              ;   in Loop: Header=BB32_148 Depth=1
	v_add_co_u32_e32 v16, vcc, v112, v87
	v_addc_co_u32_e32 v17, vcc, 0, v113, vcc
	flat_load_dwordx2 v[65:66], v[16:17]
.LBB32_165:                             ;   in Loop: Header=BB32_148 Depth=1
	s_or_b64 exec, exec, s[8:9]
	v_cmp_gt_i32_e32 vcc, s22, v136
	v_mov_b32_e32 v67, 0
	v_mov_b32_e32 v68, 0
	s_and_saveexec_b64 s[8:9], vcc
	s_cbranch_execz .LBB32_167
; %bb.166:                              ;   in Loop: Header=BB32_148 Depth=1
	v_add_co_u32_e32 v16, vcc, v106, v87
	v_addc_co_u32_e32 v17, vcc, 0, v107, vcc
	flat_load_dwordx2 v[67:68], v[16:17]
.LBB32_167:                             ;   in Loop: Header=BB32_148 Depth=1
	s_or_b64 exec, exec, s[8:9]
	v_cmp_gt_i32_e64 s[8:9], s22, v137
	s_branch .LBB32_170
.LBB32_168:                             ;   in Loop: Header=BB32_148 Depth=1
	s_mov_b64 s[8:9], 0
                                        ; implicit-def: $vgpr64
                                        ; implicit-def: $vgpr66
                                        ; implicit-def: $vgpr68
	s_cbranch_execz .LBB32_170
; %bb.169:                              ;   in Loop: Header=BB32_148 Depth=1
	s_waitcnt vmcnt(0) lgkmcnt(0)
	flat_load_dwordx2 v[63:64], v[14:15]
	v_add_co_u32_e32 v14, vcc, v112, v87
	v_addc_co_u32_e32 v15, vcc, 0, v113, vcc
	flat_load_dwordx2 v[65:66], v[14:15]
	v_add_co_u32_e32 v14, vcc, v106, v87
	v_addc_co_u32_e32 v15, vcc, 0, v107, vcc
	flat_load_dwordx2 v[67:68], v[14:15]
	s_or_b64 s[8:9], s[8:9], exec
.LBB32_170:                             ;   in Loop: Header=BB32_148 Depth=1
	v_mov_b32_e32 v69, 0
	v_mov_b32_e32 v70, 0
	s_and_saveexec_b64 s[14:15], s[8:9]
	s_cbranch_execz .LBB32_172
; %bb.171:                              ;   in Loop: Header=BB32_148 Depth=1
	v_add_co_u32_e32 v14, vcc, v120, v87
	v_addc_co_u32_e32 v15, vcc, 0, v121, vcc
	flat_load_dwordx2 v[69:70], v[14:15]
.LBB32_172:                             ;   in Loop: Header=BB32_148 Depth=1
	s_or_b64 exec, exec, s[14:15]
	ds_read_b64 v[26:27], v129
	ds_read_b128 v[18:21], v127 offset:128
	ds_read_b128 v[14:17], v127 offset:144
	s_and_b64 vcc, exec, s[4:5]
	s_waitcnt vmcnt(0) lgkmcnt(0)
	v_mul_f32_e32 v28, v64, v27
	v_mul_f32_e32 v29, v64, v26
	;; [unrolled: 1-line block ×4, first 2 shown]
	v_fmac_f32_e32 v28, v63, v26
	v_fma_f32 v29, v63, v27, -v29
	v_fmac_f32_e32 v30, v65, v26
	v_fma_f32 v31, v65, v27, -v31
	ds_write2_b64 v130, v[28:29], v[30:31] offset1:67
	v_mul_f32_e32 v28, v68, v27
	v_mul_f32_e32 v30, v70, v27
	v_fmac_f32_e32 v28, v67, v26
	v_mul_f32_e32 v29, v68, v26
	v_fmac_f32_e32 v30, v69, v26
	v_mul_f32_e32 v26, v70, v26
	v_fma_f32 v29, v67, v27, -v29
	v_fma_f32 v31, v69, v27, -v26
	ds_write2_b64 v130, v[28:29], v[30:31] offset0:134 offset1:201
	s_waitcnt lgkmcnt(0)
	s_barrier
	ds_read2_b64 v[38:41], v91 offset1:1
	ds_read2_b64 v[34:37], v91 offset0:2 offset1:3
	v_add_co_u32_e64 v26, s[8:9], v114, v87
	v_addc_co_u32_e64 v27, s[8:9], 0, v115, s[8:9]
	s_waitcnt lgkmcnt(0)
	s_barrier
	s_cbranch_vccnz .LBB32_180
; %bb.173:                              ;   in Loop: Header=BB32_148 Depth=1
	v_cmp_gt_i32_e32 vcc, s22, v138
	v_mov_b32_e32 v73, 0
	v_mov_b32_e32 v71, 0
	;; [unrolled: 1-line block ×3, first 2 shown]
	s_and_saveexec_b64 s[8:9], vcc
	s_cbranch_execz .LBB32_175
; %bb.174:                              ;   in Loop: Header=BB32_148 Depth=1
	flat_load_dwordx2 v[71:72], v[26:27]
.LBB32_175:                             ;   in Loop: Header=BB32_148 Depth=1
	s_or_b64 exec, exec, s[8:9]
	v_cmp_gt_i32_e32 vcc, s22, v139
	v_mov_b32_e32 v74, 0
	s_and_saveexec_b64 s[8:9], vcc
	s_cbranch_execz .LBB32_177
; %bb.176:                              ;   in Loop: Header=BB32_148 Depth=1
	v_add_co_u32_e32 v28, vcc, v118, v87
	v_addc_co_u32_e32 v29, vcc, 0, v119, vcc
	flat_load_dwordx2 v[73:74], v[28:29]
.LBB32_177:                             ;   in Loop: Header=BB32_148 Depth=1
	s_or_b64 exec, exec, s[8:9]
	v_cmp_gt_i32_e32 vcc, s22, v140
	v_mov_b32_e32 v75, 0
	v_mov_b32_e32 v76, 0
	s_and_saveexec_b64 s[8:9], vcc
	s_cbranch_execz .LBB32_179
; %bb.178:                              ;   in Loop: Header=BB32_148 Depth=1
	v_add_co_u32_e32 v28, vcc, v122, v87
	v_addc_co_u32_e32 v29, vcc, 0, v123, vcc
	flat_load_dwordx2 v[75:76], v[28:29]
.LBB32_179:                             ;   in Loop: Header=BB32_148 Depth=1
	s_or_b64 exec, exec, s[8:9]
	v_cmp_gt_i32_e64 s[8:9], s22, v141
	s_branch .LBB32_182
.LBB32_180:                             ;   in Loop: Header=BB32_148 Depth=1
	s_mov_b64 s[8:9], 0
                                        ; implicit-def: $vgpr72
                                        ; implicit-def: $vgpr74
                                        ; implicit-def: $vgpr76
	s_cbranch_execz .LBB32_182
; %bb.181:                              ;   in Loop: Header=BB32_148 Depth=1
	s_waitcnt vmcnt(0) lgkmcnt(0)
	flat_load_dwordx2 v[71:72], v[26:27]
	v_add_co_u32_e32 v26, vcc, v118, v87
	v_addc_co_u32_e32 v27, vcc, 0, v119, vcc
	flat_load_dwordx2 v[73:74], v[26:27]
	v_add_co_u32_e32 v26, vcc, v122, v87
	v_addc_co_u32_e32 v27, vcc, 0, v123, vcc
	flat_load_dwordx2 v[75:76], v[26:27]
	s_or_b64 s[8:9], s[8:9], exec
.LBB32_182:                             ;   in Loop: Header=BB32_148 Depth=1
	v_mov_b32_e32 v77, 0
	v_mov_b32_e32 v78, 0
	s_and_saveexec_b64 s[14:15], s[8:9]
	s_cbranch_execz .LBB32_184
; %bb.183:                              ;   in Loop: Header=BB32_148 Depth=1
	v_add_co_u32_e32 v26, vcc, v110, v87
	v_addc_co_u32_e32 v27, vcc, 0, v111, vcc
	flat_load_dwordx2 v[77:78], v[26:27]
.LBB32_184:                             ;   in Loop: Header=BB32_148 Depth=1
	s_or_b64 exec, exec, s[14:15]
	ds_read_b64 v[42:43], v129
	ds_read_b128 v[30:33], v127 offset:256
	ds_read_b128 v[26:29], v127 offset:272
	s_and_b64 vcc, exec, s[4:5]
	v_add_co_u32_e64 v85, s[4:5], v98, v87
	s_waitcnt vmcnt(0) lgkmcnt(0)
	v_mul_f32_e32 v44, v72, v43
	v_mul_f32_e32 v45, v72, v42
	;; [unrolled: 1-line block ×4, first 2 shown]
	v_fmac_f32_e32 v44, v71, v42
	v_fma_f32 v45, v71, v43, -v45
	v_fmac_f32_e32 v46, v73, v42
	v_fma_f32 v47, v73, v43, -v47
	ds_write2_b64 v130, v[44:45], v[46:47] offset1:67
	v_mul_f32_e32 v44, v76, v43
	v_mul_f32_e32 v46, v78, v43
	v_fmac_f32_e32 v44, v75, v42
	v_mul_f32_e32 v45, v76, v42
	v_fmac_f32_e32 v46, v77, v42
	v_mul_f32_e32 v42, v78, v42
	v_fma_f32 v45, v75, v43, -v45
	v_fma_f32 v47, v77, v43, -v42
	ds_write2_b64 v130, v[44:45], v[46:47] offset0:134 offset1:201
	s_waitcnt lgkmcnt(0)
	s_barrier
	ds_read2_b64 v[46:49], v91 offset1:1
	ds_read2_b64 v[42:45], v91 offset0:2 offset1:3
	v_addc_co_u32_e64 v86, s[4:5], 0, v99, s[4:5]
	s_waitcnt lgkmcnt(0)
	s_barrier
	s_cbranch_vccnz .LBB32_192
; %bb.185:                              ;   in Loop: Header=BB32_148 Depth=1
	v_cmp_gt_i32_e32 vcc, s22, v142
	v_mov_b32_e32 v81, 0
	v_mov_b32_e32 v79, 0
	;; [unrolled: 1-line block ×3, first 2 shown]
	s_and_saveexec_b64 s[4:5], vcc
	s_cbranch_execz .LBB32_187
; %bb.186:                              ;   in Loop: Header=BB32_148 Depth=1
	flat_load_dwordx2 v[79:80], v[85:86]
.LBB32_187:                             ;   in Loop: Header=BB32_148 Depth=1
	s_or_b64 exec, exec, s[4:5]
	v_cmp_gt_i32_e32 vcc, s22, v143
	v_mov_b32_e32 v82, 0
	s_and_saveexec_b64 s[4:5], vcc
	s_cbranch_execz .LBB32_189
; %bb.188:                              ;   in Loop: Header=BB32_148 Depth=1
	v_add_co_u32_e32 v81, vcc, v102, v87
	v_addc_co_u32_e32 v82, vcc, 0, v103, vcc
	flat_load_dwordx2 v[81:82], v[81:82]
.LBB32_189:                             ;   in Loop: Header=BB32_148 Depth=1
	s_or_b64 exec, exec, s[4:5]
	v_cmp_gt_i32_e32 vcc, s22, v144
	v_mov_b32_e32 v83, 0
	v_mov_b32_e32 v84, 0
	s_and_saveexec_b64 s[4:5], vcc
	s_cbranch_execz .LBB32_191
; %bb.190:                              ;   in Loop: Header=BB32_148 Depth=1
	v_add_co_u32_e32 v83, vcc, v108, v87
	v_addc_co_u32_e32 v84, vcc, 0, v109, vcc
	flat_load_dwordx2 v[83:84], v[83:84]
.LBB32_191:                             ;   in Loop: Header=BB32_148 Depth=1
	s_or_b64 exec, exec, s[4:5]
	v_cmp_gt_i32_e64 s[4:5], s22, v145
	s_branch .LBB32_194
.LBB32_192:                             ;   in Loop: Header=BB32_148 Depth=1
	s_mov_b64 s[4:5], 0
                                        ; implicit-def: $vgpr80
                                        ; implicit-def: $vgpr82
                                        ; implicit-def: $vgpr84
	s_cbranch_execz .LBB32_194
; %bb.193:                              ;   in Loop: Header=BB32_148 Depth=1
	s_waitcnt vmcnt(0) lgkmcnt(0)
	v_add_co_u32_e32 v81, vcc, v102, v87
	v_addc_co_u32_e32 v82, vcc, 0, v103, vcc
	v_add_co_u32_e32 v83, vcc, v108, v87
	v_addc_co_u32_e32 v84, vcc, 0, v109, vcc
	flat_load_dwordx2 v[79:80], v[85:86]
	s_or_b64 s[4:5], s[4:5], exec
	flat_load_dwordx2 v[81:82], v[81:82]
	s_nop 0
	flat_load_dwordx2 v[83:84], v[83:84]
.LBB32_194:                             ;   in Loop: Header=BB32_148 Depth=1
	v_mov_b32_e32 v85, 0
	v_mov_b32_e32 v86, 0
	s_and_saveexec_b64 s[8:9], s[4:5]
	s_cbranch_execz .LBB32_196
; %bb.195:                              ;   in Loop: Header=BB32_148 Depth=1
	v_add_co_u32_e32 v85, vcc, v94, v87
	v_addc_co_u32_e32 v86, vcc, 0, v95, vcc
	flat_load_dwordx2 v[85:86], v[85:86]
.LBB32_196:                             ;   in Loop: Header=BB32_148 Depth=1
	s_or_b64 exec, exec, s[8:9]
	v_add_f32_e32 v38, 0, v38
	v_add_f32_e32 v39, 0, v39
	;; [unrolled: 1-line block ×6, first 2 shown]
	ds_read_b64 v[38:39], v129
	v_add_f32_e32 v46, 0, v46
	v_add_f32_e32 v47, 0, v47
	;; [unrolled: 1-line block ×7, first 2 shown]
	s_waitcnt vmcnt(0) lgkmcnt(0)
	v_mul_f32_e32 v40, v80, v39
	v_mul_f32_e32 v41, v80, v38
	;; [unrolled: 1-line block ×4, first 2 shown]
	v_add_f32_e32 v23, 0, v23
	v_add_f32_e32 v22, v22, v24
	v_fmac_f32_e32 v40, v79, v38
	v_fma_f32 v41, v79, v39, -v41
	v_fmac_f32_e32 v46, v81, v38
	v_fma_f32 v47, v81, v39, -v47
	v_add_f32_e32 v42, v42, v44
	v_add_f32_e32 v43, v43, v45
	;; [unrolled: 1-line block ×6, first 2 shown]
	ds_read_b128 v[34:37], v127 offset:384
	ds_read_b128 v[22:25], v127 offset:400
	ds_write2_b64 v130, v[40:41], v[46:47] offset1:67
	v_mul_f32_e32 v40, v84, v39
	v_mul_f32_e32 v46, v86, v39
	v_fmac_f32_e32 v40, v83, v38
	v_mul_f32_e32 v41, v84, v38
	v_fmac_f32_e32 v46, v85, v38
	v_mul_f32_e32 v38, v86, v38
	v_fma_f32 v41, v83, v39, -v41
	v_fma_f32 v47, v85, v39, -v38
	ds_write2_b64 v130, v[40:41], v[46:47] offset0:134 offset1:201
	s_waitcnt lgkmcnt(0)
	s_barrier
	ds_read2_b64 v[38:41], v91 offset1:1
	v_add_f32_e32 v11, v48, v11
	v_add_f32_e32 v46, v10, v12
	;; [unrolled: 1-line block ×3, first 2 shown]
	ds_read2_b64 v[10:13], v91 offset0:2 offset1:3
	s_waitcnt lgkmcnt(1)
	v_add_f32_e32 v38, 0, v38
	v_add_f32_e32 v39, 0, v39
	v_cmp_gt_i32_e32 vcc, s22, v0
	v_add_f32_e32 v38, v38, v40
	v_add_f32_e32 v39, v39, v41
	s_or_b64 s[4:5], s[12:13], vcc
	s_waitcnt lgkmcnt(0)
	v_add_f32_e32 v10, v38, v10
	v_add_f32_e32 v11, v39, v11
	s_and_b64 s[8:9], s[2:3], s[4:5]
	v_add_f32_e32 v10, v10, v12
	v_add_f32_e32 v11, v11, v13
	s_barrier
	ds_write2_b64 v128, v[46:47], v[44:45] offset1:16
	ds_write2_b64 v128, v[42:43], v[10:11] offset0:32 offset1:48
	s_waitcnt lgkmcnt(0)
	s_barrier
	s_and_saveexec_b64 s[4:5], s[8:9]
	s_cbranch_execz .LBB32_198
; %bb.197:                              ;   in Loop: Header=BB32_148 Depth=1
	ds_read_b64 v[42:43], v124
	ds_read2_b64 v[10:13], v124 offset0:1 offset1:2
	ds_read2_b64 v[38:41], v124 offset0:3 offset1:4
	s_waitcnt lgkmcnt(1)
	v_add_f32_e32 v10, v10, v42
	v_add_f32_e32 v11, v11, v43
	;; [unrolled: 1-line block ×4, first 2 shown]
	ds_read2_b64 v[10:13], v124 offset0:5 offset1:6
	s_waitcnt lgkmcnt(1)
	v_add_f32_e32 v38, v42, v38
	v_add_f32_e32 v39, v43, v39
	;; [unrolled: 1-line block ×4, first 2 shown]
	s_waitcnt lgkmcnt(0)
	v_add_f32_e32 v10, v38, v10
	ds_read2_b64 v[38:41], v124 offset0:7 offset1:8
	v_add_f32_e32 v11, v42, v11
	v_add_f32_e32 v42, v10, v12
	;; [unrolled: 1-line block ×3, first 2 shown]
	ds_read2_b64 v[10:13], v124 offset0:9 offset1:10
	s_waitcnt lgkmcnt(1)
	v_add_f32_e32 v38, v42, v38
	v_add_f32_e32 v39, v43, v39
	v_add_f32_e32 v38, v38, v40
	v_add_f32_e32 v42, v39, v41
	s_waitcnt lgkmcnt(0)
	v_add_f32_e32 v10, v38, v10
	ds_read2_b64 v[38:41], v124 offset0:11 offset1:12
	v_add_f32_e32 v11, v42, v11
	v_add_f32_e32 v42, v10, v12
	;; [unrolled: 1-line block ×3, first 2 shown]
	ds_read2_b64 v[10:13], v124 offset0:13 offset1:14
	s_waitcnt lgkmcnt(1)
	v_add_f32_e32 v38, v42, v38
	v_add_f32_e32 v39, v43, v39
	v_add_f32_e32 v40, v38, v40
	v_add_f32_e32 v41, v39, v41
	ds_read_b64 v[38:39], v125
	s_waitcnt lgkmcnt(1)
	v_add_f32_e32 v10, v40, v10
	v_add_f32_e32 v11, v41, v11
	;; [unrolled: 1-line block ×3, first 2 shown]
	v_add_u32_e32 v12, s24, v0
	v_add_f32_e32 v11, v11, v13
	v_ashrrev_i32_e32 v13, 31, v12
	v_lshlrev_b64 v[12:13], 3, v[12:13]
	s_waitcnt lgkmcnt(0)
	v_add_f32_e32 v10, v10, v38
	v_mov_b32_e32 v38, s26
	v_add_co_u32_e32 v12, vcc, s19, v12
	v_add_f32_e32 v11, v11, v39
	v_addc_co_u32_e32 v13, vcc, v38, v13, vcc
	global_store_dwordx2 v[12:13], v[10:11], off
.LBB32_198:                             ;   in Loop: Header=BB32_148 Depth=1
	s_or_b64 exec, exec, s[4:5]
	v_mul_f32_e32 v10, v56, v7
	v_fma_f32 v10, v55, v6, -v10
	v_mul_f32_e32 v11, v58, v9
	v_mul_f32_e32 v7, v55, v7
	v_add_f32_e32 v10, v52, v10
	v_fma_f32 v11, v57, v8, -v11
	v_mul_f32_e32 v9, v57, v9
	v_add_f32_e32 v10, v10, v11
	v_mul_f32_e32 v11, v60, v3
	v_fmac_f32_e32 v7, v56, v6
	v_fma_f32 v11, v59, v2, -v11
	v_mul_f32_e32 v3, v59, v3
	v_add_f32_e32 v6, v53, v7
	v_fmac_f32_e32 v9, v58, v8
	v_add_f32_e32 v10, v10, v11
	v_mul_f32_e32 v11, v62, v5
	v_mul_f32_e32 v5, v61, v5
	v_add_f32_e32 v6, v6, v9
	v_fmac_f32_e32 v3, v60, v2
	v_fma_f32 v11, v61, v4, -v11
	v_add_f32_e32 v2, v6, v3
	v_fmac_f32_e32 v5, v62, v4
	v_mul_f32_e32 v3, v64, v19
	v_add_f32_e32 v10, v10, v11
	v_add_f32_e32 v2, v2, v5
	v_fma_f32 v3, v63, v18, -v3
	v_mul_f32_e32 v5, v66, v21
	v_add_f32_e32 v3, v10, v3
	v_fma_f32 v5, v65, v20, -v5
	v_mul_f32_e32 v4, v63, v19
	v_add_f32_e32 v3, v3, v5
	v_mul_f32_e32 v5, v68, v15
	v_mul_f32_e32 v6, v65, v21
	v_fma_f32 v5, v67, v14, -v5
	v_fmac_f32_e32 v4, v64, v18
	v_mul_f32_e32 v7, v67, v15
	v_add_f32_e32 v3, v3, v5
	v_mul_f32_e32 v5, v70, v17
	v_add_f32_e32 v2, v2, v4
	v_fmac_f32_e32 v6, v66, v20
	v_fma_f32 v5, v69, v16, -v5
	v_mul_f32_e32 v8, v69, v17
	v_add_f32_e32 v2, v2, v6
	v_fmac_f32_e32 v7, v68, v14
	v_add_f32_e32 v3, v3, v5
	v_add_f32_e32 v2, v2, v7
	v_fmac_f32_e32 v8, v70, v16
	v_mul_f32_e32 v5, v71, v31
	v_add_f32_e32 v2, v2, v8
	v_mul_f32_e32 v6, v73, v33
	v_fmac_f32_e32 v5, v72, v30
	v_mul_f32_e32 v7, v75, v27
	v_add_f32_e32 v2, v2, v5
	v_fmac_f32_e32 v6, v74, v32
	v_mul_f32_e32 v8, v77, v29
	v_add_f32_e32 v2, v2, v6
	v_fmac_f32_e32 v7, v76, v26
	v_add_f32_e32 v2, v2, v7
	v_fmac_f32_e32 v8, v78, v28
	v_mul_f32_e32 v5, v79, v35
	v_add_f32_e32 v2, v2, v8
	v_mul_f32_e32 v6, v81, v37
	v_fmac_f32_e32 v5, v80, v34
	v_mul_f32_e32 v7, v83, v23
	v_fmac_f32_e32 v6, v82, v36
	v_add_f32_e32 v2, v2, v5
	v_mul_f32_e32 v8, v85, v25
	v_fmac_f32_e32 v7, v84, v22
	v_add_f32_e32 v2, v2, v6
	v_fmac_f32_e32 v8, v86, v24
	v_add_f32_e32 v2, v2, v7
	v_add_f32_e32 v53, v2, v8
	v_mov_b32_e32 v2, s11
	v_add_co_u32_e32 v92, vcc, s10, v92
	v_addc_co_u32_e32 v93, vcc, v93, v2, vcc
	v_add_co_u32_e32 v94, vcc, s10, v94
	v_addc_co_u32_e32 v95, vcc, v95, v2, vcc
	;; [unrolled: 2-line block ×7, first 2 shown]
	v_add_co_u32_e32 v106, vcc, s10, v106
	v_mul_f32_e32 v4, v72, v31
	v_addc_co_u32_e32 v107, vcc, v107, v2, vcc
	v_fma_f32 v4, v71, v30, -v4
	v_add_co_u32_e32 v108, vcc, s10, v108
	v_add_f32_e32 v3, v3, v4
	v_mul_f32_e32 v4, v74, v33
	v_addc_co_u32_e32 v109, vcc, v109, v2, vcc
	v_fma_f32 v4, v73, v32, -v4
	v_add_co_u32_e32 v110, vcc, s10, v110
	v_add_f32_e32 v3, v3, v4
	;; [unrolled: 5-line block ×7, first 2 shown]
	v_mul_f32_e32 v4, v86, v25
	v_addc_co_u32_e32 v121, vcc, v121, v2, vcc
	v_fma_f32 v4, v85, v24, -v4
	s_add_i32 s4, s6, 1
	s_add_i32 s24, s24, 64
	s_add_i32 s5, s6, 2
	v_add_co_u32_e32 v122, vcc, s10, v122
	v_add_f32_e32 v52, v3, v4
	s_cmp_ge_u32 s5, s7
	v_addc_co_u32_e32 v123, vcc, v123, v2, vcc
	s_waitcnt vmcnt(0)
	s_barrier
	s_cbranch_scc0 .LBB32_143
.LBB32_199:
	s_movk_i32 s2, 0x218
	v_cmp_gt_i32_e32 vcc, s18, v0
	v_mad_u32_u24 v1, v1, s2, v87
	s_or_b64 s[2:3], s[20:21], vcc
	s_and_b64 s[0:1], s[0:1], s[2:3]
	ds_write_b64 v1, v[52:53]
	s_waitcnt lgkmcnt(0)
	s_barrier
	s_and_saveexec_b64 s[2:3], s[0:1]
	s_cbranch_execz .LBB32_201
; %bb.200:
	ds_read2_b64 v[0:3], v87 offset1:67
	ds_read2_b64 v[4:7], v87 offset0:134 offset1:201
	s_waitcnt lgkmcnt(1)
	v_add_f32_e32 v0, v2, v0
	v_add_f32_e32 v1, v3, v1
	v_lshlrev_b64 v[2:3], 3, v[50:51]
	s_waitcnt lgkmcnt(0)
	v_add_f32_e32 v0, v4, v0
	v_add_f32_e32 v1, v5, v1
	v_mov_b32_e32 v4, s26
	v_add_co_u32_e32 v2, vcc, s19, v2
	v_add_f32_e32 v0, v0, v6
	v_add_f32_e32 v1, v1, v7
	v_addc_co_u32_e32 v3, vcc, v4, v3, vcc
	global_store_dwordx2 v[2:3], v[0:1], off
.LBB32_201:
	s_endpgm
	.section	.rodata,"a",@progbits
	.p2align	6, 0x0
	.amdhsa_kernel _ZL26rocblas_hemvn_kernel_upperILb1ELi64ELi4ELi33ELi32ELi16ElPK19rocblas_complex_numIfEPKS3_PS1_EviT6_lT7_lT5_lS8_lS9_lS7_lT8_i
		.amdhsa_group_segment_fixed_size 9600
		.amdhsa_private_segment_fixed_size 0
		.amdhsa_kernarg_size 376
		.amdhsa_user_sgpr_count 6
		.amdhsa_user_sgpr_private_segment_buffer 1
		.amdhsa_user_sgpr_dispatch_ptr 0
		.amdhsa_user_sgpr_queue_ptr 0
		.amdhsa_user_sgpr_kernarg_segment_ptr 1
		.amdhsa_user_sgpr_dispatch_id 0
		.amdhsa_user_sgpr_flat_scratch_init 0
		.amdhsa_user_sgpr_private_segment_size 0
		.amdhsa_uses_dynamic_stack 0
		.amdhsa_system_sgpr_private_segment_wavefront_offset 0
		.amdhsa_system_sgpr_workgroup_id_x 1
		.amdhsa_system_sgpr_workgroup_id_y 0
		.amdhsa_system_sgpr_workgroup_id_z 1
		.amdhsa_system_sgpr_workgroup_info 0
		.amdhsa_system_vgpr_workitem_id 1
		.amdhsa_next_free_vgpr 146
		.amdhsa_next_free_sgpr 93
		.amdhsa_reserve_vcc 1
		.amdhsa_reserve_flat_scratch 0
		.amdhsa_float_round_mode_32 0
		.amdhsa_float_round_mode_16_64 0
		.amdhsa_float_denorm_mode_32 3
		.amdhsa_float_denorm_mode_16_64 3
		.amdhsa_dx10_clamp 1
		.amdhsa_ieee_mode 1
		.amdhsa_fp16_overflow 0
		.amdhsa_exception_fp_ieee_invalid_op 0
		.amdhsa_exception_fp_denorm_src 0
		.amdhsa_exception_fp_ieee_div_zero 0
		.amdhsa_exception_fp_ieee_overflow 0
		.amdhsa_exception_fp_ieee_underflow 0
		.amdhsa_exception_fp_ieee_inexact 0
		.amdhsa_exception_int_div_zero 0
	.end_amdhsa_kernel
	.section	.text._ZL26rocblas_hemvn_kernel_upperILb1ELi64ELi4ELi33ELi32ELi16ElPK19rocblas_complex_numIfEPKS3_PS1_EviT6_lT7_lT5_lS8_lS9_lS7_lT8_i,"axG",@progbits,_ZL26rocblas_hemvn_kernel_upperILb1ELi64ELi4ELi33ELi32ELi16ElPK19rocblas_complex_numIfEPKS3_PS1_EviT6_lT7_lT5_lS8_lS9_lS7_lT8_i,comdat
.Lfunc_end32:
	.size	_ZL26rocblas_hemvn_kernel_upperILb1ELi64ELi4ELi33ELi32ELi16ElPK19rocblas_complex_numIfEPKS3_PS1_EviT6_lT7_lT5_lS8_lS9_lS7_lT8_i, .Lfunc_end32-_ZL26rocblas_hemvn_kernel_upperILb1ELi64ELi4ELi33ELi32ELi16ElPK19rocblas_complex_numIfEPKS3_PS1_EviT6_lT7_lT5_lS8_lS9_lS7_lT8_i
                                        ; -- End function
	.set _ZL26rocblas_hemvn_kernel_upperILb1ELi64ELi4ELi33ELi32ELi16ElPK19rocblas_complex_numIfEPKS3_PS1_EviT6_lT7_lT5_lS8_lS9_lS7_lT8_i.num_vgpr, 146
	.set _ZL26rocblas_hemvn_kernel_upperILb1ELi64ELi4ELi33ELi32ELi16ElPK19rocblas_complex_numIfEPKS3_PS1_EviT6_lT7_lT5_lS8_lS9_lS7_lT8_i.num_agpr, 0
	.set _ZL26rocblas_hemvn_kernel_upperILb1ELi64ELi4ELi33ELi32ELi16ElPK19rocblas_complex_numIfEPKS3_PS1_EviT6_lT7_lT5_lS8_lS9_lS7_lT8_i.numbered_sgpr, 42
	.set _ZL26rocblas_hemvn_kernel_upperILb1ELi64ELi4ELi33ELi32ELi16ElPK19rocblas_complex_numIfEPKS3_PS1_EviT6_lT7_lT5_lS8_lS9_lS7_lT8_i.num_named_barrier, 0
	.set _ZL26rocblas_hemvn_kernel_upperILb1ELi64ELi4ELi33ELi32ELi16ElPK19rocblas_complex_numIfEPKS3_PS1_EviT6_lT7_lT5_lS8_lS9_lS7_lT8_i.private_seg_size, 0
	.set _ZL26rocblas_hemvn_kernel_upperILb1ELi64ELi4ELi33ELi32ELi16ElPK19rocblas_complex_numIfEPKS3_PS1_EviT6_lT7_lT5_lS8_lS9_lS7_lT8_i.uses_vcc, 1
	.set _ZL26rocblas_hemvn_kernel_upperILb1ELi64ELi4ELi33ELi32ELi16ElPK19rocblas_complex_numIfEPKS3_PS1_EviT6_lT7_lT5_lS8_lS9_lS7_lT8_i.uses_flat_scratch, 0
	.set _ZL26rocblas_hemvn_kernel_upperILb1ELi64ELi4ELi33ELi32ELi16ElPK19rocblas_complex_numIfEPKS3_PS1_EviT6_lT7_lT5_lS8_lS9_lS7_lT8_i.has_dyn_sized_stack, 0
	.set _ZL26rocblas_hemvn_kernel_upperILb1ELi64ELi4ELi33ELi32ELi16ElPK19rocblas_complex_numIfEPKS3_PS1_EviT6_lT7_lT5_lS8_lS9_lS7_lT8_i.has_recursion, 0
	.set _ZL26rocblas_hemvn_kernel_upperILb1ELi64ELi4ELi33ELi32ELi16ElPK19rocblas_complex_numIfEPKS3_PS1_EviT6_lT7_lT5_lS8_lS9_lS7_lT8_i.has_indirect_call, 0
	.section	.AMDGPU.csdata,"",@progbits
; Kernel info:
; codeLenInByte = 9076
; TotalNumSgprs: 46
; NumVgprs: 146
; ScratchSize: 0
; MemoryBound: 1
; FloatMode: 240
; IeeeMode: 1
; LDSByteSize: 9600 bytes/workgroup (compile time only)
; SGPRBlocks: 12
; VGPRBlocks: 36
; NumSGPRsForWavesPerEU: 97
; NumVGPRsForWavesPerEU: 146
; Occupancy: 1
; WaveLimiterHint : 1
; COMPUTE_PGM_RSRC2:SCRATCH_EN: 0
; COMPUTE_PGM_RSRC2:USER_SGPR: 6
; COMPUTE_PGM_RSRC2:TRAP_HANDLER: 0
; COMPUTE_PGM_RSRC2:TGID_X_EN: 1
; COMPUTE_PGM_RSRC2:TGID_Y_EN: 0
; COMPUTE_PGM_RSRC2:TGID_Z_EN: 1
; COMPUTE_PGM_RSRC2:TIDIG_COMP_CNT: 1
	.section	.text._ZL36rocblas_hemvn_kernel_upper_block_sumILi64ElPK19rocblas_complex_numIfEPKPS1_S1_EviT1_lS7_lT2_lT0_lPT3_i,"axG",@progbits,_ZL36rocblas_hemvn_kernel_upper_block_sumILi64ElPK19rocblas_complex_numIfEPKPS1_S1_EviT1_lS7_lT2_lT0_lPT3_i,comdat
	.globl	_ZL36rocblas_hemvn_kernel_upper_block_sumILi64ElPK19rocblas_complex_numIfEPKPS1_S1_EviT1_lS7_lT2_lT0_lPT3_i ; -- Begin function _ZL36rocblas_hemvn_kernel_upper_block_sumILi64ElPK19rocblas_complex_numIfEPKPS1_S1_EviT1_lS7_lT2_lT0_lPT3_i
	.p2align	8
	.type	_ZL36rocblas_hemvn_kernel_upper_block_sumILi64ElPK19rocblas_complex_numIfEPKPS1_S1_EviT1_lS7_lT2_lT0_lPT3_i,@function
_ZL36rocblas_hemvn_kernel_upper_block_sumILi64ElPK19rocblas_complex_numIfEPKPS1_S1_EviT1_lS7_lT2_lT0_lPT3_i: ; @_ZL36rocblas_hemvn_kernel_upper_block_sumILi64ElPK19rocblas_complex_numIfEPKPS1_S1_EviT1_lS7_lT2_lT0_lPT3_i
; %bb.0:
	s_load_dwordx8 s[16:23], s[4:5], 0x8
	s_mov_b32 s12, s7
	s_mov_b32 s13, 0
	s_waitcnt lgkmcnt(0)
	s_mul_i32 s0, s19, s7
	s_mul_hi_u32 s1, s18, s7
	s_add_i32 s1, s1, s0
	s_mul_i32 s0, s18, s7
	s_lshl_b64 s[0:1], s[0:1], 3
	s_add_u32 s0, s16, s0
	s_addc_u32 s1, s17, s1
	s_load_dwordx2 s[10:11], s[0:1], 0x0
	s_mul_i32 s0, s23, s7
	s_mul_hi_u32 s1, s22, s7
	s_add_i32 s1, s1, s0
	s_mul_i32 s0, s22, s7
	s_lshl_b64 s[0:1], s[0:1], 3
	s_add_u32 s0, s20, s0
	s_addc_u32 s1, s21, s1
	s_load_dwordx2 s[8:9], s[0:1], 0x0
	s_waitcnt lgkmcnt(0)
	s_or_b32 s0, s10, s11
	s_bitset0_b32 s0, 31
	s_cmp_eq_u32 s0, 0
	s_cselect_b64 s[16:17], -1, 0
	s_cmp_lg_u32 s0, 0
	s_mov_b64 s[0:1], -1
	s_cbranch_scc1 .LBB33_2
; %bb.1:
	v_cmp_neq_f32_e64 s[0:1], s8, 1.0
	v_cmp_neq_f32_e64 s[2:3], s9, 0
	s_or_b64 s[0:1], s[0:1], s[2:3]
.LBB33_2:
	s_andn2_b64 vcc, exec, s[0:1]
	s_cbranch_vccnz .LBB33_19
; %bb.3:
	s_load_dwordx2 s[18:19], s[4:5], 0x28
	s_load_dword s14, s[4:5], 0x0
	s_load_dwordx4 s[0:3], s[4:5], 0x30
	s_lshl_b64 s[20:21], s[12:13], 3
	v_lshl_or_b32 v0, s6, 6, v0
	s_waitcnt lgkmcnt(0)
	s_add_u32 s18, s18, s20
	s_addc_u32 s19, s19, s21
	s_load_dwordx2 s[20:21], s[18:19], 0x0
	s_lshl_b64 s[0:1], s[0:1], 3
	s_mov_b64 s[18:19], -1
	s_waitcnt lgkmcnt(0)
	s_add_u32 s7, s20, s0
	s_addc_u32 s13, s21, s1
	s_andn2_b64 vcc, exec, s[16:17]
	v_cmp_gt_i32_e64 s[0:1], s14, v0
	s_cbranch_vccnz .LBB33_9
; %bb.4:
	s_and_saveexec_b64 s[16:17], s[0:1]
	s_cbranch_execz .LBB33_8
; %bb.5:
	v_ashrrev_i32_e32 v1, 31, v0
	v_mul_lo_u32 v4, s3, v0
	v_mul_lo_u32 v5, s2, v1
	v_mad_u64_u32 v[2:3], s[0:1], s2, v0, 0
	v_cmp_neq_f32_e64 s[0:1], s8, 0
	v_cmp_neq_f32_e64 s[18:19], s9, 0
	v_add3_u32 v3, v3, v5, v4
	s_or_b64 s[0:1], s[0:1], s[18:19]
	v_lshlrev_b64 v[3:4], 3, v[2:3]
	v_mov_b32_e32 v1, 0
	s_andn2_b64 vcc, exec, s[0:1]
	v_mov_b32_e32 v2, 0
	s_cbranch_vccnz .LBB33_7
; %bb.6:
	v_mov_b32_e32 v2, s13
	v_add_co_u32_e32 v1, vcc, s7, v3
	v_addc_co_u32_e32 v2, vcc, v2, v4, vcc
	flat_load_dwordx2 v[5:6], v[1:2]
	s_waitcnt vmcnt(0) lgkmcnt(0)
	v_mul_f32_e32 v1, s9, v6
	v_mul_f32_e32 v2, s8, v6
	v_fma_f32 v1, v5, s8, -v1
	v_fmac_f32_e32 v2, s9, v5
.LBB33_7:
	v_mov_b32_e32 v5, s13
	v_add_co_u32_e32 v3, vcc, s7, v3
	v_addc_co_u32_e32 v4, vcc, v5, v4, vcc
	flat_store_dwordx2 v[3:4], v[1:2]
.LBB33_8:
	s_or_b64 exec, exec, s[16:17]
	s_mov_b64 s[18:19], 0
.LBB33_9:
	s_andn2_b64 vcc, exec, s[18:19]
	s_cbranch_vccnz .LBB33_19
; %bb.10:
	v_cmp_gt_i32_e32 vcc, s14, v0
	s_and_saveexec_b64 s[0:1], vcc
	s_cbranch_execz .LBB33_19
; %bb.11:
	v_ashrrev_i32_e32 v1, 31, v0
	v_mov_b32_e32 v4, 0
	s_cmp_lt_i32 s6, 0
	v_mov_b32_e32 v5, 0
	s_cbranch_scc1 .LBB33_14
; %bb.12:
	s_load_dwordx2 s[0:1], s[4:5], 0x48
	s_load_dword s16, s[4:5], 0x58
	s_ashr_i32 s15, s14, 31
	s_add_i32 s4, s6, 1
	s_mul_hi_u32 s5, s14, s12
	s_mul_i32 s6, s15, s12
	s_add_i32 s5, s5, s6
	s_mul_i32 s6, s14, s12
	s_waitcnt lgkmcnt(0)
	s_mul_i32 s5, s5, s16
	s_mul_hi_u32 s12, s6, s16
	s_add_i32 s17, s12, s5
	s_mul_i32 s16, s6, s16
	s_lshl_b64 s[16:17], s[16:17], 3
	v_lshlrev_b64 v[2:3], 3, v[0:1]
	s_add_u32 s0, s0, s16
	s_addc_u32 s1, s1, s17
	v_mov_b32_e32 v4, s1
	v_add_co_u32_e32 v2, vcc, s0, v2
	v_addc_co_u32_e32 v3, vcc, v4, v3, vcc
	v_add_co_u32_e32 v2, vcc, 4, v2
	s_lshl_b64 s[0:1], s[14:15], 3
	v_addc_co_u32_e32 v3, vcc, 0, v3, vcc
	v_mov_b32_e32 v4, 0
	v_mov_b32_e32 v6, s1
	;; [unrolled: 1-line block ×3, first 2 shown]
.LBB33_13:                              ; =>This Inner Loop Header: Depth=1
	global_load_dwordx2 v[7:8], v[2:3], off offset:-4
	s_add_i32 s4, s4, -1
	v_add_co_u32_e32 v2, vcc, s0, v2
	v_addc_co_u32_e32 v3, vcc, v3, v6, vcc
	s_cmp_eq_u32 s4, 0
	s_waitcnt vmcnt(0)
	v_add_f32_e32 v5, v5, v7
	v_add_f32_e32 v4, v4, v8
	s_cbranch_scc0 .LBB33_13
.LBB33_14:
	v_mul_lo_u32 v6, s3, v0
	v_mul_lo_u32 v7, s2, v1
	v_cmp_neq_f32_e64 s[0:1], s8, 0
	v_cmp_neq_f32_e64 s[4:5], s9, 0
	s_or_b64 s[0:1], s[0:1], s[4:5]
	v_mul_f32_e32 v3, s11, v4
	v_mul_f32_e32 v2, s10, v4
	s_andn2_b64 vcc, exec, s[0:1]
	v_fma_f32 v1, v5, s10, -v3
	v_fmac_f32_e32 v2, s11, v5
	s_cbranch_vccz .LBB33_16
; %bb.15:
	v_mad_u64_u32 v[3:4], s[0:1], s2, v0, 0
	v_add3_u32 v4, v4, v7, v6
	s_cbranch_execz .LBB33_17
	s_branch .LBB33_18
.LBB33_16:
                                        ; implicit-def: $vgpr3_vgpr4
.LBB33_17:
	v_mad_u64_u32 v[3:4], s[0:1], s2, v0, 0
	v_mov_b32_e32 v0, s13
	v_add3_u32 v4, v4, v7, v6
	v_lshlrev_b64 v[5:6], 3, v[3:4]
	v_add_co_u32_e32 v5, vcc, s7, v5
	v_addc_co_u32_e32 v6, vcc, v0, v6, vcc
	flat_load_dwordx2 v[5:6], v[5:6]
	s_waitcnt vmcnt(0) lgkmcnt(0)
	v_mul_f32_e32 v0, s9, v6
	v_mul_f32_e32 v6, s8, v6
	v_fma_f32 v0, v5, s8, -v0
	v_fmac_f32_e32 v6, s9, v5
	v_add_f32_e32 v1, v1, v0
	v_add_f32_e32 v2, v2, v6
.LBB33_18:
	v_lshlrev_b64 v[3:4], 3, v[3:4]
	v_mov_b32_e32 v0, s13
	v_add_co_u32_e32 v3, vcc, s7, v3
	v_addc_co_u32_e32 v4, vcc, v0, v4, vcc
	flat_store_dwordx2 v[3:4], v[1:2]
.LBB33_19:
	s_endpgm
	.section	.rodata,"a",@progbits
	.p2align	6, 0x0
	.amdhsa_kernel _ZL36rocblas_hemvn_kernel_upper_block_sumILi64ElPK19rocblas_complex_numIfEPKPS1_S1_EviT1_lS7_lT2_lT0_lPT3_i
		.amdhsa_group_segment_fixed_size 0
		.amdhsa_private_segment_fixed_size 0
		.amdhsa_kernarg_size 344
		.amdhsa_user_sgpr_count 6
		.amdhsa_user_sgpr_private_segment_buffer 1
		.amdhsa_user_sgpr_dispatch_ptr 0
		.amdhsa_user_sgpr_queue_ptr 0
		.amdhsa_user_sgpr_kernarg_segment_ptr 1
		.amdhsa_user_sgpr_dispatch_id 0
		.amdhsa_user_sgpr_flat_scratch_init 0
		.amdhsa_user_sgpr_private_segment_size 0
		.amdhsa_uses_dynamic_stack 0
		.amdhsa_system_sgpr_private_segment_wavefront_offset 0
		.amdhsa_system_sgpr_workgroup_id_x 1
		.amdhsa_system_sgpr_workgroup_id_y 0
		.amdhsa_system_sgpr_workgroup_id_z 1
		.amdhsa_system_sgpr_workgroup_info 0
		.amdhsa_system_vgpr_workitem_id 0
		.amdhsa_next_free_vgpr 9
		.amdhsa_next_free_sgpr 24
		.amdhsa_reserve_vcc 1
		.amdhsa_reserve_flat_scratch 0
		.amdhsa_float_round_mode_32 0
		.amdhsa_float_round_mode_16_64 0
		.amdhsa_float_denorm_mode_32 3
		.amdhsa_float_denorm_mode_16_64 3
		.amdhsa_dx10_clamp 1
		.amdhsa_ieee_mode 1
		.amdhsa_fp16_overflow 0
		.amdhsa_exception_fp_ieee_invalid_op 0
		.amdhsa_exception_fp_denorm_src 0
		.amdhsa_exception_fp_ieee_div_zero 0
		.amdhsa_exception_fp_ieee_overflow 0
		.amdhsa_exception_fp_ieee_underflow 0
		.amdhsa_exception_fp_ieee_inexact 0
		.amdhsa_exception_int_div_zero 0
	.end_amdhsa_kernel
	.section	.text._ZL36rocblas_hemvn_kernel_upper_block_sumILi64ElPK19rocblas_complex_numIfEPKPS1_S1_EviT1_lS7_lT2_lT0_lPT3_i,"axG",@progbits,_ZL36rocblas_hemvn_kernel_upper_block_sumILi64ElPK19rocblas_complex_numIfEPKPS1_S1_EviT1_lS7_lT2_lT0_lPT3_i,comdat
.Lfunc_end33:
	.size	_ZL36rocblas_hemvn_kernel_upper_block_sumILi64ElPK19rocblas_complex_numIfEPKPS1_S1_EviT1_lS7_lT2_lT0_lPT3_i, .Lfunc_end33-_ZL36rocblas_hemvn_kernel_upper_block_sumILi64ElPK19rocblas_complex_numIfEPKPS1_S1_EviT1_lS7_lT2_lT0_lPT3_i
                                        ; -- End function
	.set _ZL36rocblas_hemvn_kernel_upper_block_sumILi64ElPK19rocblas_complex_numIfEPKPS1_S1_EviT1_lS7_lT2_lT0_lPT3_i.num_vgpr, 9
	.set _ZL36rocblas_hemvn_kernel_upper_block_sumILi64ElPK19rocblas_complex_numIfEPKPS1_S1_EviT1_lS7_lT2_lT0_lPT3_i.num_agpr, 0
	.set _ZL36rocblas_hemvn_kernel_upper_block_sumILi64ElPK19rocblas_complex_numIfEPKPS1_S1_EviT1_lS7_lT2_lT0_lPT3_i.numbered_sgpr, 24
	.set _ZL36rocblas_hemvn_kernel_upper_block_sumILi64ElPK19rocblas_complex_numIfEPKPS1_S1_EviT1_lS7_lT2_lT0_lPT3_i.num_named_barrier, 0
	.set _ZL36rocblas_hemvn_kernel_upper_block_sumILi64ElPK19rocblas_complex_numIfEPKPS1_S1_EviT1_lS7_lT2_lT0_lPT3_i.private_seg_size, 0
	.set _ZL36rocblas_hemvn_kernel_upper_block_sumILi64ElPK19rocblas_complex_numIfEPKPS1_S1_EviT1_lS7_lT2_lT0_lPT3_i.uses_vcc, 1
	.set _ZL36rocblas_hemvn_kernel_upper_block_sumILi64ElPK19rocblas_complex_numIfEPKPS1_S1_EviT1_lS7_lT2_lT0_lPT3_i.uses_flat_scratch, 0
	.set _ZL36rocblas_hemvn_kernel_upper_block_sumILi64ElPK19rocblas_complex_numIfEPKPS1_S1_EviT1_lS7_lT2_lT0_lPT3_i.has_dyn_sized_stack, 0
	.set _ZL36rocblas_hemvn_kernel_upper_block_sumILi64ElPK19rocblas_complex_numIfEPKPS1_S1_EviT1_lS7_lT2_lT0_lPT3_i.has_recursion, 0
	.set _ZL36rocblas_hemvn_kernel_upper_block_sumILi64ElPK19rocblas_complex_numIfEPKPS1_S1_EviT1_lS7_lT2_lT0_lPT3_i.has_indirect_call, 0
	.section	.AMDGPU.csdata,"",@progbits
; Kernel info:
; codeLenInByte = 796
; TotalNumSgprs: 28
; NumVgprs: 9
; ScratchSize: 0
; MemoryBound: 0
; FloatMode: 240
; IeeeMode: 1
; LDSByteSize: 0 bytes/workgroup (compile time only)
; SGPRBlocks: 3
; VGPRBlocks: 2
; NumSGPRsForWavesPerEU: 28
; NumVGPRsForWavesPerEU: 9
; Occupancy: 10
; WaveLimiterHint : 1
; COMPUTE_PGM_RSRC2:SCRATCH_EN: 0
; COMPUTE_PGM_RSRC2:USER_SGPR: 6
; COMPUTE_PGM_RSRC2:TRAP_HANDLER: 0
; COMPUTE_PGM_RSRC2:TGID_X_EN: 1
; COMPUTE_PGM_RSRC2:TGID_Y_EN: 0
; COMPUTE_PGM_RSRC2:TGID_Z_EN: 1
; COMPUTE_PGM_RSRC2:TIDIG_COMP_CNT: 0
	.section	.text._ZL26rocblas_hemvn_kernel_upperILb1ELi64ELi4ELi33ELi32ELi16EiPK19rocblas_complex_numIfEPKS3_PS1_EviT6_lT7_lT5_lS8_lS9_lS7_lT8_i,"axG",@progbits,_ZL26rocblas_hemvn_kernel_upperILb1ELi64ELi4ELi33ELi32ELi16EiPK19rocblas_complex_numIfEPKS3_PS1_EviT6_lT7_lT5_lS8_lS9_lS7_lT8_i,comdat
	.globl	_ZL26rocblas_hemvn_kernel_upperILb1ELi64ELi4ELi33ELi32ELi16EiPK19rocblas_complex_numIfEPKS3_PS1_EviT6_lT7_lT5_lS8_lS9_lS7_lT8_i ; -- Begin function _ZL26rocblas_hemvn_kernel_upperILb1ELi64ELi4ELi33ELi32ELi16EiPK19rocblas_complex_numIfEPKS3_PS1_EviT6_lT7_lT5_lS8_lS9_lS7_lT8_i
	.p2align	8
	.type	_ZL26rocblas_hemvn_kernel_upperILb1ELi64ELi4ELi33ELi32ELi16EiPK19rocblas_complex_numIfEPKS3_PS1_EviT6_lT7_lT5_lS8_lS9_lS7_lT8_i,@function
_ZL26rocblas_hemvn_kernel_upperILb1ELi64ELi4ELi33ELi32ELi16EiPK19rocblas_complex_numIfEPKS3_PS1_EviT6_lT7_lT5_lS8_lS9_lS7_lT8_i: ; @_ZL26rocblas_hemvn_kernel_upperILb1ELi64ELi4ELi33ELi32ELi16EiPK19rocblas_complex_numIfEPKS3_PS1_EviT6_lT7_lT5_lS8_lS9_lS7_lT8_i
; %bb.0:
	s_load_dwordx2 s[0:1], s[4:5], 0x84
	s_add_u32 s16, s4, 0x78
	s_addc_u32 s17, s5, 0
	s_waitcnt lgkmcnt(0)
	s_lshr_b32 s2, s0, 16
	s_and_b32 s0, s0, 0xffff
	s_and_b32 s1, s1, 0xffff
	s_mul_i32 s0, s2, s0
	s_mul_i32 s0, s0, s1
	s_cmpk_lg_i32 s0, 0x100
	s_cbranch_scc1 .LBB34_201
; %bb.1:
	s_load_dwordx8 s[8:15], s[4:5], 0x8
	s_mov_b32 s20, s7
	s_mov_b32 s21, 0
	s_waitcnt lgkmcnt(0)
	s_mul_i32 s0, s11, s7
	s_mul_hi_u32 s1, s10, s7
	s_add_i32 s1, s1, s0
	s_mul_i32 s0, s10, s7
	s_lshl_b64 s[0:1], s[0:1], 3
	s_add_u32 s8, s8, s0
	s_addc_u32 s9, s9, s1
	s_load_dwordx2 s[10:11], s[8:9], 0x0
	s_load_dwordx2 s[22:23], s[4:5], 0x68
	s_load_dwordx4 s[0:3], s[4:5], 0x58
	s_mov_b64 s[8:9], -1
	s_waitcnt lgkmcnt(0)
	s_or_b32 s7, s10, s11
	s_bitset0_b32 s7, 31
	s_cmp_lg_u32 s7, 0
	s_cbranch_scc1 .LBB34_3
; %bb.2:
	s_mul_i32 s3, s3, s20
	s_mul_hi_u32 s7, s2, s20
	s_add_i32 s3, s7, s3
	s_mul_i32 s2, s2, s20
	s_lshl_b64 s[2:3], s[2:3], 3
	s_add_u32 s0, s0, s2
	s_addc_u32 s1, s1, s3
	s_load_dwordx2 s[2:3], s[0:1], 0x0
	s_mov_b64 s[8:9], 0
	s_waitcnt lgkmcnt(0)
	v_cmp_eq_f32_e64 s[0:1], s2, 1.0
	v_cmp_eq_f32_e64 s[2:3], s3, 0
	s_and_b64 s[0:1], s[0:1], s[2:3]
	s_andn2_b64 vcc, exec, s[0:1]
.LBB34_3:
	s_andn2_b64 vcc, exec, s[8:9]
	s_cbranch_vccnz .LBB34_201
; %bb.4:
	s_load_dwordx4 s[8:11], s[4:5], 0x38
	s_load_dword s40, s[4:5], 0x48
	s_lshl_b64 s[0:1], s[20:21], 3
	s_add_u32 s12, s12, s0
	s_addc_u32 s13, s13, s1
	s_waitcnt lgkmcnt(0)
	s_add_u32 s0, s8, s0
	s_addc_u32 s1, s9, s1
	s_load_dwordx2 s[8:9], s[0:1], 0x0
	s_load_dword s21, s[4:5], 0x0
	s_load_dword s7, s[16:17], 0x0
	s_load_dwordx2 s[2:3], s[12:13], 0x0
	s_lshl_b64 s[0:1], s[10:11], 3
	s_waitcnt lgkmcnt(0)
	s_add_u32 s0, s8, s0
	s_addc_u32 s1, s9, s1
	s_lshl_b32 s26, s6, 6
	v_add_u32_e32 v50, s26, v0
	v_mul_lo_u32 v2, s40, v50
	s_ashr_i32 s41, s21, 31
	s_lshr_b32 s9, s41, 26
	s_add_i32 s9, s21, s9
	v_ashrrev_i32_e32 v3, 31, v2
	s_andn2_b32 s9, s9, 63
	v_lshlrev_b64 v[2:3], 3, v[2:3]
	s_add_i32 s8, s7, -1
	s_sub_i32 s33, s21, s9
	s_cmp_eq_u32 s6, s8
	v_mov_b32_e32 v4, s1
	v_add_co_u32_e32 v16, vcc, s0, v2
	s_cselect_b32 s16, s33, 0
	v_addc_co_u32_e32 v17, vcc, v4, v3, vcc
	v_cmp_eq_u32_e64 s[0:1], 0, v1
	s_and_saveexec_b64 s[8:9], s[0:1]
	s_cbranch_execz .LBB34_9
; %bb.5:
	s_cmp_lg_u32 s16, 0
	s_cselect_b64 s[10:11], -1, 0
	v_cmp_le_i32_e32 vcc, s16, v0
	v_mov_b32_e32 v2, 0x2380
	s_and_b64 s[10:11], s[10:11], vcc
	v_lshl_add_u32 v2, v0, 3, v2
	s_and_saveexec_b64 s[12:13], s[10:11]
	s_xor_b64 s[10:11], exec, s[12:13]
; %bb.6:
	v_mov_b32_e32 v3, 0
	v_mov_b32_e32 v4, v3
	ds_write_b64 v2, v[3:4]
                                        ; implicit-def: $vgpr2
; %bb.7:
	s_andn2_saveexec_b64 s[10:11], s[10:11]
	s_cbranch_execz .LBB34_9
; %bb.8:
	flat_load_dwordx2 v[3:4], v[16:17]
	s_waitcnt vmcnt(0) lgkmcnt(0)
	ds_write_b64 v2, v[3:4]
.LBB34_9:
	s_or_b64 exec, exec, s[8:9]
	s_load_dword s24, s[4:5], 0x28
	s_lshl_b64 s[8:9], s[14:15], 3
	v_lshl_add_u32 v24, v1, 6, v0
	s_add_u32 s8, s2, s8
	v_and_b32_e32 v2, 31, v0
	v_lshrrev_b32_e32 v9, 5, v24
	s_addc_u32 s9, s3, s9
	s_waitcnt lgkmcnt(0)
	v_mad_u64_u32 v[3:4], s[2:3], s24, v9, v[2:3]
	s_ashr_i32 s27, s26, 31
	s_lshl_b64 s[2:3], s[26:27], 3
	v_ashrrev_i32_e32 v4, 31, v3
	v_lshlrev_b64 v[14:15], 3, v[3:4]
	s_add_u32 s2, s8, s2
	s_addc_u32 s3, s9, s3
	v_add_co_u32_e32 v4, vcc, s2, v14
	s_mul_i32 s2, s24, s26
	v_mov_b32_e32 v3, s3
	s_ashr_i32 s3, s2, 31
	s_lshl_b64 s[2:3], s[2:3], 3
	v_addc_co_u32_e32 v3, vcc, v3, v15, vcc
	s_cmp_eq_u32 s16, 0
	v_mov_b32_e32 v6, s3
	v_add_co_u32_e32 v5, vcc, s2, v4
	s_cselect_b64 s[18:19], -1, 0
	s_cmp_lg_u32 s16, 0
	v_addc_co_u32_e32 v6, vcc, v3, v6, vcc
	s_cselect_b64 s[30:31], -1, 0
	s_and_b64 vcc, exec, s[30:31]
	v_cmp_gt_i32_e64 s[2:3], s16, v2
	v_lshlrev_b32_e32 v10, 3, v2
	s_cbranch_vccz .LBB34_27
; %bb.10:
	v_sub_co_u32_e32 v3, vcc, v5, v10
	s_ashr_i32 s17, s16, 31
	v_subbrev_co_u32_e32 v4, vcc, 0, v6, vcc
	s_lshl_b64 s[4:5], s[16:17], 3
	v_mov_b32_e32 v7, s5
	v_add_co_u32_e32 v3, vcc, s4, v3
	v_addc_co_u32_e32 v4, vcc, v4, v7, vcc
	v_add_co_u32_e32 v3, vcc, -8, v3
	v_addc_co_u32_e32 v4, vcc, -1, v4, vcc
	v_mul_u32_u24_e32 v7, 0x108, v9
	v_cndmask_b32_e64 v4, v4, v6, s[2:3]
	v_cndmask_b32_e64 v3, v3, v5, s[2:3]
	v_cmp_le_i32_e32 vcc, s16, v9
	v_add_u32_e32 v7, v10, v7
	s_and_saveexec_b64 s[8:9], vcc
	s_xor_b64 s[8:9], exec, s[8:9]
; %bb.11:
	v_mov_b32_e32 v11, 0
	v_mov_b32_e32 v12, v11
	ds_write_b64 v7, v[11:12]
; %bb.12:
	s_andn2_saveexec_b64 s[8:9], s[8:9]
	s_cbranch_execz .LBB34_14
; %bb.13:
	flat_load_dwordx2 v[11:12], v[3:4]
	s_waitcnt vmcnt(0) lgkmcnt(0)
	ds_write_b64 v7, v[11:12]
.LBB34_14:
	s_or_b64 exec, exec, s[8:9]
	v_add_u32_e32 v8, 8, v9
	v_cmp_le_i32_e32 vcc, s16, v8
	s_and_saveexec_b64 s[8:9], vcc
	s_xor_b64 s[8:9], exec, s[8:9]
; %bb.15:
	v_mov_b32_e32 v11, 0
	v_mov_b32_e32 v12, v11
	ds_write_b64 v7, v[11:12] offset:2112
; %bb.16:
	s_andn2_saveexec_b64 s[8:9], s[8:9]
	s_cbranch_execz .LBB34_18
; %bb.17:
	s_lshl_b32 s10, s24, 3
	s_ashr_i32 s11, s10, 31
	s_lshl_b64 s[10:11], s[10:11], 3
	v_mov_b32_e32 v8, s11
	v_add_co_u32_e32 v11, vcc, s10, v3
	v_addc_co_u32_e32 v12, vcc, v4, v8, vcc
	flat_load_dwordx2 v[11:12], v[11:12]
	s_waitcnt vmcnt(0) lgkmcnt(0)
	ds_write_b64 v7, v[11:12] offset:2112
.LBB34_18:
	s_or_b64 exec, exec, s[8:9]
	v_add_u32_e32 v8, 16, v9
	v_cmp_le_i32_e32 vcc, s16, v8
	s_and_saveexec_b64 s[8:9], vcc
	s_xor_b64 s[8:9], exec, s[8:9]
; %bb.19:
	v_mov_b32_e32 v11, 0
	v_mov_b32_e32 v12, v11
	ds_write_b64 v7, v[11:12] offset:4224
; %bb.20:
	s_andn2_saveexec_b64 s[8:9], s[8:9]
	s_cbranch_execz .LBB34_22
; %bb.21:
	s_lshl_b32 s10, s24, 4
	s_ashr_i32 s11, s10, 31
	s_lshl_b64 s[10:11], s[10:11], 3
	v_mov_b32_e32 v8, s11
	v_add_co_u32_e32 v11, vcc, s10, v3
	v_addc_co_u32_e32 v12, vcc, v4, v8, vcc
	flat_load_dwordx2 v[11:12], v[11:12]
	s_waitcnt vmcnt(0) lgkmcnt(0)
	ds_write_b64 v7, v[11:12] offset:4224
.LBB34_22:
	s_or_b64 exec, exec, s[8:9]
	v_add_u32_e32 v8, 24, v9
	v_cmp_le_i32_e32 vcc, s16, v8
	s_and_saveexec_b64 s[8:9], vcc
	s_xor_b64 s[8:9], exec, s[8:9]
; %bb.23:
	v_mov_b32_e32 v11, 0
	v_mov_b32_e32 v12, v11
	ds_write_b64 v7, v[11:12] offset:6336
                                        ; implicit-def: $vgpr7
; %bb.24:
	s_andn2_saveexec_b64 s[8:9], s[8:9]
	s_cbranch_execz .LBB34_26
; %bb.25:
	s_mul_i32 s10, s24, 24
	s_ashr_i32 s11, s10, 31
	s_lshl_b64 s[10:11], s[10:11], 3
	v_mov_b32_e32 v8, s11
	v_add_co_u32_e32 v11, vcc, s10, v3
	v_addc_co_u32_e32 v12, vcc, v4, v8, vcc
	flat_load_dwordx2 v[11:12], v[11:12]
	s_waitcnt vmcnt(0) lgkmcnt(0)
	ds_write_b64 v7, v[11:12] offset:6336
.LBB34_26:
	s_or_b64 exec, exec, s[8:9]
	v_add_co_u32_e32 v3, vcc, v3, v10
	v_addc_co_u32_e32 v4, vcc, 0, v4, vcc
	v_mov_b32_e32 v7, s5
	v_subrev_co_u32_e32 v3, vcc, s4, v3
	v_subb_co_u32_e32 v4, vcc, v4, v7, vcc
	v_add_co_u32_e32 v3, vcc, 8, v3
	v_addc_co_u32_e32 v4, vcc, 0, v4, vcc
	v_cndmask_b32_e64 v4, v4, v6, s[2:3]
	v_cndmask_b32_e64 v3, v3, v5, s[2:3]
	s_branch .LBB34_29
.LBB34_27:
                                        ; implicit-def: $vgpr3_vgpr4
	s_cbranch_execz .LBB34_29
; %bb.28:
	s_lshl_b32 s2, s24, 3
	s_ashr_i32 s3, s2, 31
	s_lshl_b64 s[2:3], s[2:3], 3
	v_mov_b32_e32 v4, s3
	v_add_co_u32_e32 v3, vcc, s2, v5
	s_ashr_i32 s25, s24, 31
	v_addc_co_u32_e32 v4, vcc, v6, v4, vcc
	s_lshl_b64 s[2:3], s[24:25], 6
	v_mov_b32_e32 v12, s3
	v_add_co_u32_e32 v7, vcc, s2, v3
	v_addc_co_u32_e32 v8, vcc, v4, v12, vcc
	v_add_co_u32_e32 v11, vcc, s2, v7
	v_addc_co_u32_e32 v12, vcc, v8, v12, vcc
	flat_load_dwordx2 v[18:19], v[5:6]
	flat_load_dwordx2 v[20:21], v[3:4]
	flat_load_dwordx2 v[22:23], v[7:8]
	flat_load_dwordx2 v[25:26], v[11:12]
	v_mul_u32_u24_e32 v3, 0x108, v9
	v_lshl_add_u32 v3, v2, 3, v3
	s_waitcnt vmcnt(0) lgkmcnt(0)
	ds_write_b64 v3, v[18:19]
	ds_write_b64 v3, v[20:21] offset:2112
	ds_write_b64 v3, v[22:23] offset:4224
	;; [unrolled: 1-line block ×3, first 2 shown]
	v_mov_b32_e32 v3, v5
	v_mov_b32_e32 v4, v6
.LBB34_29:
	v_lshlrev_b32_e32 v12, 2, v9
	v_mul_u32_u24_e32 v11, 0x108, v2
	v_cmp_le_u32_e64 s[4:5], v12, v2
	s_mov_b64 s[2:3], 0
	s_waitcnt lgkmcnt(0)
	s_barrier
                                        ; implicit-def: $vgpr6
	s_and_saveexec_b64 s[8:9], s[4:5]
	s_xor_b64 s[8:9], exec, s[8:9]
	s_cbranch_execz .LBB34_33
; %bb.30:
	v_cmp_eq_u32_e32 vcc, v12, v2
                                        ; implicit-def: $vgpr6
	s_and_saveexec_b64 s[10:11], vcc
	s_xor_b64 s[10:11], exec, s[10:11]
; %bb.31:
	s_mov_b64 s[2:3], exec
	v_add_u32_e32 v6, v10, v11
; %bb.32:
	s_or_b64 exec, exec, s[10:11]
	s_and_b64 s[2:3], s[2:3], exec
.LBB34_33:
	s_or_saveexec_b64 s[8:9], s[8:9]
	v_lshl_or_b32 v5, v2, 8, v10
	v_mov_b32_e32 v7, 0
	v_lshl_add_u32 v5, v12, 3, v5
	s_xor_b64 exec, exec, s[8:9]
	s_cbranch_execz .LBB34_35
; %bb.34:
	s_movk_i32 s10, 0x420
	v_mad_u32_u24 v6, v9, s10, v10
	ds_read_b64 v[6:7], v6
	s_or_b64 s[2:3], s[2:3], exec
	s_waitcnt lgkmcnt(0)
	v_xor_b32_e32 v7, 0x80000000, v7
	ds_write_b32 v5, v6
	v_mov_b32_e32 v6, v5
.LBB34_35:
	s_or_b64 exec, exec, s[8:9]
	s_and_saveexec_b64 s[8:9], s[2:3]
; %bb.36:
	ds_write_b32 v6, v7 offset:4
; %bb.37:
	s_or_b64 exec, exec, s[8:9]
	v_or_b32_e32 v13, 1, v12
	v_cmp_ge_u32_e64 s[14:15], v12, v2
	s_mov_b64 s[2:3], 0
                                        ; implicit-def: $vgpr7
                                        ; implicit-def: $vgpr6
	s_and_saveexec_b64 s[8:9], s[14:15]
	s_xor_b64 s[8:9], exec, s[8:9]
	s_cbranch_execz .LBB34_73
; %bb.38:
	s_movk_i32 s10, 0x108
	v_mad_u32_u24 v6, v13, s10, v10
	ds_read_b64 v[18:19], v6
	s_mov_b64 s[2:3], exec
	v_add_u32_e32 v6, 8, v5
	s_waitcnt lgkmcnt(0)
	v_xor_b32_e32 v7, 0x80000000, v19
	ds_write_b32 v5, v18 offset:8
	s_andn2_saveexec_b64 s[8:9], s[8:9]
	s_cbranch_execnz .LBB34_74
.LBB34_39:
	s_or_b64 exec, exec, s[8:9]
	s_and_saveexec_b64 s[8:9], s[2:3]
.LBB34_40:
	ds_write_b32 v6, v7 offset:4
.LBB34_41:
	s_or_b64 exec, exec, s[8:9]
	v_or_b32_e32 v18, 2, v12
	v_cmp_le_u32_e64 s[8:9], v18, v2
	s_mov_b64 s[2:3], 0
                                        ; implicit-def: $vgpr6
	s_and_saveexec_b64 s[10:11], s[8:9]
	s_xor_b64 s[10:11], exec, s[10:11]
	s_cbranch_execz .LBB34_77
; %bb.42:
	v_cmp_eq_u32_e32 vcc, v18, v2
                                        ; implicit-def: $vgpr6
	s_and_saveexec_b64 s[12:13], vcc
; %bb.43:
	s_mov_b64 s[2:3], exec
	v_add_u32_e32 v6, v10, v11
; %bb.44:
	s_or_b64 exec, exec, s[12:13]
	s_and_b64 s[2:3], s[2:3], exec
	s_or_saveexec_b64 s[10:11], s[10:11]
	v_mov_b32_e32 v7, 0
	s_xor_b64 exec, exec, s[10:11]
	s_cbranch_execnz .LBB34_78
.LBB34_45:
	s_or_b64 exec, exec, s[10:11]
	s_and_saveexec_b64 s[10:11], s[2:3]
.LBB34_46:
	ds_write_b32 v6, v7 offset:4
.LBB34_47:
	s_or_b64 exec, exec, s[10:11]
	v_or_b32_e32 v19, 3, v12
	v_cmp_le_u32_e64 s[10:11], v19, v2
	s_mov_b64 s[2:3], 0
                                        ; implicit-def: $vgpr6
	s_and_saveexec_b64 s[12:13], s[10:11]
	s_xor_b64 s[12:13], exec, s[12:13]
	s_cbranch_execz .LBB34_79
; %bb.48:
	v_cmp_eq_u32_e32 vcc, v19, v2
                                        ; implicit-def: $vgpr6
	s_and_saveexec_b64 s[28:29], vcc
; %bb.49:
	s_mov_b64 s[2:3], exec
	v_add_u32_e32 v6, v10, v11
; %bb.50:
	s_or_b64 exec, exec, s[28:29]
	s_and_b64 s[2:3], s[2:3], exec
                                        ; implicit-def: $vgpr5
	s_or_saveexec_b64 s[12:13], s[12:13]
	v_mov_b32_e32 v7, 0
	s_xor_b64 exec, exec, s[12:13]
	s_cbranch_execnz .LBB34_80
.LBB34_51:
	s_or_b64 exec, exec, s[12:13]
	s_and_saveexec_b64 s[12:13], s[2:3]
.LBB34_52:
	ds_write_b32 v6, v7 offset:4
.LBB34_53:
	s_or_b64 exec, exec, s[12:13]
	s_movk_i32 s2, 0x420
	v_mad_u32_u24 v5, v9, s2, v10
	s_waitcnt lgkmcnt(0)
	s_barrier
	v_lshlrev_b32_e32 v22, 3, v12
	ds_read_b64 v[20:21], v5
	ds_read_b128 v[5:8], v22 offset:9088
	ds_read_b128 v[25:28], v22 offset:9104
	s_movk_i32 s2, 0x108
	v_mov_b32_e32 v51, 0
	v_mov_b32_e32 v52, 0
	s_waitcnt lgkmcnt(1)
	v_mul_f32_e32 v23, v6, v21
	v_fma_f32 v23, v5, v20, -v23
	v_mul_f32_e32 v5, v5, v21
	v_mad_u32_u24 v21, v13, s2, v10
	ds_read2_b64 v[29:32], v21 offset1:33
	v_fmac_f32_e32 v5, v6, v20
	v_add_f32_e32 v6, 0, v23
	v_add_f32_e32 v5, 0, v5
	v_cmp_gt_u32_e64 s[2:3], 32, v24
	s_waitcnt lgkmcnt(0)
	v_mul_f32_e32 v20, v8, v30
	v_fma_f32 v20, v7, v29, -v20
	v_mul_f32_e32 v7, v7, v30
	v_fmac_f32_e32 v7, v8, v29
	v_add_f32_e32 v8, v6, v20
	v_add_f32_e32 v7, v5, v7
	ds_read_b64 v[5:6], v21 offset:528
	v_mul_f32_e32 v20, v26, v32
	v_fma_f32 v20, v25, v31, -v20
	v_mul_f32_e32 v21, v25, v32
	v_fmac_f32_e32 v21, v26, v31
	v_add_f32_e32 v8, v8, v20
	s_waitcnt lgkmcnt(0)
	v_mul_f32_e32 v20, v28, v6
	v_mul_f32_e32 v6, v27, v6
	v_add_f32_e32 v7, v7, v21
	v_fmac_f32_e32 v6, v28, v5
	v_add_f32_e32 v6, v7, v6
	v_mul_u32_u24_e32 v7, 33, v2
	v_fma_f32 v20, v27, v5, -v20
	v_lshlrev_b32_e32 v25, 3, v7
	v_add_f32_e32 v5, v8, v20
	v_lshl_add_u32 v26, v9, 3, v25
	s_barrier
	ds_write_b64 v26, v[5:6]
	s_waitcnt lgkmcnt(0)
	s_barrier
	s_and_saveexec_b64 s[12:13], s[2:3]
	s_cbranch_execz .LBB34_55
; %bb.54:
	ds_read2_b64 v[5:8], v25 offset1:7
	ds_read2_b64 v[27:30], v25 offset0:1 offset1:2
	ds_read2_b64 v[31:34], v25 offset0:3 offset1:4
	s_waitcnt lgkmcnt(1)
	v_add_f32_e32 v5, v27, v5
	v_add_f32_e32 v6, v28, v6
	;; [unrolled: 1-line block ×4, first 2 shown]
	ds_read2_b64 v[27:30], v25 offset0:5 offset1:6
	s_waitcnt lgkmcnt(1)
	v_add_f32_e32 v5, v5, v31
	v_add_f32_e32 v6, v6, v32
	;; [unrolled: 1-line block ×4, first 2 shown]
	s_waitcnt lgkmcnt(0)
	v_add_f32_e32 v5, v5, v27
	v_add_f32_e32 v6, v6, v28
	;; [unrolled: 1-line block ×6, first 2 shown]
.LBB34_55:
	s_or_b64 exec, exec, s[12:13]
	s_lshl_b32 s34, s24, 5
	s_ashr_i32 s35, s34, 31
	s_lshl_b64 s[28:29], s[34:35], 3
	v_mov_b32_e32 v5, s29
	v_add_co_u32_e32 v7, vcc, s28, v3
	v_addc_co_u32_e32 v8, vcc, v4, v5, vcc
	v_add_co_u32_e32 v5, vcc, 0x100, v7
	v_addc_co_u32_e32 v6, vcc, 0, v8, vcc
	s_and_b64 vcc, exec, s[30:31]
	s_barrier
	s_cbranch_vccz .LBB34_81
; %bb.56:
	v_sub_co_u32_e32 v4, vcc, v7, v10
	s_ashr_i32 s17, s16, 31
	v_subbrev_co_u32_e32 v20, vcc, 0, v8, vcc
	s_lshl_b64 s[36:37], s[16:17], 3
	v_mov_b32_e32 v21, s37
	v_add_co_u32_e32 v4, vcc, s36, v4
	v_addc_co_u32_e32 v20, vcc, v20, v21, vcc
	v_or_b32_e32 v3, 32, v2
	v_add_co_u32_e32 v21, vcc, -8, v4
	v_addc_co_u32_e32 v4, vcc, -1, v20, vcc
	v_cmp_gt_i32_e64 s[12:13], s16, v3
	s_sub_i32 s17, s16, 32
	v_mul_u32_u24_e32 v20, 0x108, v9
	v_cndmask_b32_e64 v4, v4, v6, s[12:13]
	v_cndmask_b32_e64 v3, v21, v5, s[12:13]
	v_cmp_le_i32_e32 vcc, s17, v9
	v_add_u32_e32 v20, v10, v20
	s_and_saveexec_b64 s[38:39], vcc
	s_xor_b64 s[38:39], exec, s[38:39]
; %bb.57:
	v_mov_b32_e32 v27, 0
	v_mov_b32_e32 v28, v27
	ds_write_b64 v20, v[27:28]
; %bb.58:
	s_andn2_saveexec_b64 s[38:39], s[38:39]
	s_cbranch_execz .LBB34_60
; %bb.59:
	flat_load_dwordx2 v[27:28], v[3:4]
	s_waitcnt vmcnt(0) lgkmcnt(0)
	ds_write_b64 v20, v[27:28]
.LBB34_60:
	s_or_b64 exec, exec, s[38:39]
	v_add_u32_e32 v21, 8, v9
	v_cmp_le_i32_e32 vcc, s17, v21
	s_and_saveexec_b64 s[38:39], vcc
	s_xor_b64 s[38:39], exec, s[38:39]
; %bb.61:
	v_mov_b32_e32 v27, 0
	v_mov_b32_e32 v28, v27
	ds_write_b64 v20, v[27:28] offset:2112
; %bb.62:
	s_andn2_saveexec_b64 s[38:39], s[38:39]
	s_cbranch_execz .LBB34_64
; %bb.63:
	s_lshl_b32 s42, s24, 3
	s_ashr_i32 s43, s42, 31
	s_lshl_b64 s[42:43], s[42:43], 3
	v_mov_b32_e32 v21, s43
	v_add_co_u32_e32 v27, vcc, s42, v3
	v_addc_co_u32_e32 v28, vcc, v4, v21, vcc
	flat_load_dwordx2 v[27:28], v[27:28]
	s_waitcnt vmcnt(0) lgkmcnt(0)
	ds_write_b64 v20, v[27:28] offset:2112
.LBB34_64:
	s_or_b64 exec, exec, s[38:39]
	v_add_u32_e32 v21, 16, v9
	v_cmp_le_i32_e32 vcc, s17, v21
	s_and_saveexec_b64 s[38:39], vcc
	s_xor_b64 s[38:39], exec, s[38:39]
; %bb.65:
	v_mov_b32_e32 v27, 0
	v_mov_b32_e32 v28, v27
	ds_write_b64 v20, v[27:28] offset:4224
; %bb.66:
	s_andn2_saveexec_b64 s[38:39], s[38:39]
	s_cbranch_execz .LBB34_68
; %bb.67:
	s_lshl_b32 s42, s24, 4
	s_ashr_i32 s43, s42, 31
	s_lshl_b64 s[42:43], s[42:43], 3
	v_mov_b32_e32 v21, s43
	v_add_co_u32_e32 v27, vcc, s42, v3
	v_addc_co_u32_e32 v28, vcc, v4, v21, vcc
	flat_load_dwordx2 v[27:28], v[27:28]
	s_waitcnt vmcnt(0) lgkmcnt(0)
	ds_write_b64 v20, v[27:28] offset:4224
.LBB34_68:
	s_or_b64 exec, exec, s[38:39]
	v_add_u32_e32 v21, 24, v9
	v_cmp_le_i32_e32 vcc, s17, v21
	s_and_saveexec_b64 s[38:39], vcc
	s_xor_b64 s[38:39], exec, s[38:39]
; %bb.69:
	v_mov_b32_e32 v27, 0
	v_mov_b32_e32 v28, v27
	ds_write_b64 v20, v[27:28] offset:6336
                                        ; implicit-def: $vgpr20
; %bb.70:
	s_andn2_saveexec_b64 s[38:39], s[38:39]
	s_cbranch_execz .LBB34_72
; %bb.71:
	s_mul_i32 s42, s24, 24
	s_ashr_i32 s43, s42, 31
	s_lshl_b64 s[42:43], s[42:43], 3
	v_mov_b32_e32 v21, s43
	v_add_co_u32_e32 v27, vcc, s42, v3
	v_addc_co_u32_e32 v28, vcc, v4, v21, vcc
	flat_load_dwordx2 v[27:28], v[27:28]
	s_waitcnt vmcnt(0) lgkmcnt(0)
	ds_write_b64 v20, v[27:28] offset:6336
.LBB34_72:
	s_or_b64 exec, exec, s[38:39]
	v_add_co_u32_e32 v3, vcc, v3, v10
	v_addc_co_u32_e32 v4, vcc, 0, v4, vcc
	v_mov_b32_e32 v20, s37
	v_subrev_co_u32_e32 v3, vcc, s36, v3
	v_subb_co_u32_e32 v4, vcc, v4, v20, vcc
	v_add_co_u32_e32 v3, vcc, 0x108, v3
	v_addc_co_u32_e32 v4, vcc, 0, v4, vcc
	v_cndmask_b32_e64 v4, v4, v6, s[12:13]
	v_cndmask_b32_e64 v3, v3, v5, s[12:13]
	s_branch .LBB34_83
.LBB34_73:
	s_andn2_saveexec_b64 s[8:9], s[8:9]
	s_cbranch_execz .LBB34_39
.LBB34_74:
	v_cmp_eq_u32_e32 vcc, v13, v2
	s_mov_b64 s[10:11], s[2:3]
                                        ; implicit-def: $vgpr6
	s_and_saveexec_b64 s[12:13], vcc
; %bb.75:
	v_add_u32_e32 v6, v10, v11
	s_or_b64 s[10:11], s[2:3], exec
; %bb.76:
	s_or_b64 exec, exec, s[12:13]
	s_andn2_b64 s[2:3], s[2:3], exec
	s_and_b64 s[10:11], s[10:11], exec
	v_mov_b32_e32 v7, 0
	s_or_b64 s[2:3], s[2:3], s[10:11]
	s_or_b64 exec, exec, s[8:9]
	s_and_saveexec_b64 s[8:9], s[2:3]
	s_cbranch_execnz .LBB34_40
	s_branch .LBB34_41
.LBB34_77:
	s_or_saveexec_b64 s[10:11], s[10:11]
	v_mov_b32_e32 v7, 0
	s_xor_b64 exec, exec, s[10:11]
	s_cbranch_execz .LBB34_45
.LBB34_78:
	s_movk_i32 s12, 0x108
	v_mad_u32_u24 v6, v18, s12, v10
	ds_read_b64 v[19:20], v6
	v_add_u32_e32 v6, 16, v5
	s_or_b64 s[2:3], s[2:3], exec
	s_waitcnt lgkmcnt(0)
	v_xor_b32_e32 v7, 0x80000000, v20
	ds_write_b32 v5, v19 offset:16
	s_or_b64 exec, exec, s[10:11]
	s_and_saveexec_b64 s[10:11], s[2:3]
	s_cbranch_execnz .LBB34_46
	s_branch .LBB34_47
.LBB34_79:
	s_or_saveexec_b64 s[12:13], s[12:13]
	v_mov_b32_e32 v7, 0
	s_xor_b64 exec, exec, s[12:13]
	s_cbranch_execz .LBB34_51
.LBB34_80:
	s_movk_i32 s17, 0x108
	v_mad_u32_u24 v6, v19, s17, v10
	ds_read_b64 v[20:21], v6
	v_add_u32_e32 v6, 24, v5
	s_or_b64 s[2:3], s[2:3], exec
	s_waitcnt lgkmcnt(0)
	v_xor_b32_e32 v7, 0x80000000, v21
	ds_write_b32 v5, v20 offset:24
	s_or_b64 exec, exec, s[12:13]
	s_and_saveexec_b64 s[12:13], s[2:3]
	s_cbranch_execnz .LBB34_52
	s_branch .LBB34_53
.LBB34_81:
                                        ; implicit-def: $vgpr3_vgpr4
	s_cbranch_execz .LBB34_83
; %bb.82:
	s_lshl_b32 s12, s24, 3
	s_ashr_i32 s13, s12, 31
	s_lshl_b64 s[12:13], s[12:13], 3
	v_mov_b32_e32 v4, s13
	v_add_co_u32_e32 v3, vcc, s12, v7
	s_ashr_i32 s25, s24, 31
	v_addc_co_u32_e32 v4, vcc, v8, v4, vcc
	s_lshl_b64 s[12:13], s[24:25], 6
	v_mov_b32_e32 v23, s13
	v_add_co_u32_e32 v20, vcc, s12, v3
	v_addc_co_u32_e32 v21, vcc, v4, v23, vcc
	v_add_co_u32_e32 v27, vcc, s12, v20
	v_addc_co_u32_e32 v28, vcc, v21, v23, vcc
	flat_load_dwordx2 v[29:30], v[7:8] offset:256
	flat_load_dwordx2 v[31:32], v[3:4] offset:256
	;; [unrolled: 1-line block ×4, first 2 shown]
	s_movk_i32 s12, 0x108
	v_mad_u32_u24 v3, v9, s12, v10
	s_waitcnt vmcnt(0) lgkmcnt(0)
	ds_write_b64 v3, v[29:30]
	ds_write_b64 v3, v[31:32] offset:2112
	ds_write_b64 v3, v[33:34] offset:4224
	ds_write_b64 v3, v[35:36] offset:6336
	v_mov_b32_e32 v3, v5
	v_mov_b32_e32 v4, v6
.LBB34_83:
	v_mul_u32_u24_e32 v5, 0x420, v9
	s_mov_b64 s[12:13], 0
	s_waitcnt lgkmcnt(0)
	s_barrier
                                        ; implicit-def: $vgpr6
	s_and_saveexec_b64 s[36:37], s[4:5]
	s_xor_b64 s[4:5], exec, s[36:37]
	s_cbranch_execz .LBB34_87
; %bb.84:
	v_cmp_eq_u32_e32 vcc, v12, v2
                                        ; implicit-def: $vgpr6
	s_and_saveexec_b64 s[36:37], vcc
	s_xor_b64 s[36:37], exec, s[36:37]
; %bb.85:
	s_mov_b64 s[12:13], exec
	v_add_u32_e32 v6, v10, v11
; %bb.86:
	s_or_b64 exec, exec, s[36:37]
	s_and_b64 s[12:13], s[12:13], exec
.LBB34_87:
	s_or_saveexec_b64 s[4:5], s[4:5]
	v_mov_b32_e32 v7, 0
	v_add_u32_e32 v20, v10, v5
	v_lshl_add_u32 v5, v12, 3, v25
	s_xor_b64 exec, exec, s[4:5]
	s_cbranch_execz .LBB34_89
; %bb.88:
	ds_read_b64 v[6:7], v20
	s_or_b64 s[12:13], s[12:13], exec
	s_waitcnt lgkmcnt(0)
	v_xor_b32_e32 v7, 0x80000000, v7
	ds_write_b32 v5, v6
	v_mov_b32_e32 v6, v5
.LBB34_89:
	s_or_b64 exec, exec, s[4:5]
	v_mul_u32_u24_e32 v8, 0x108, v13
	s_and_saveexec_b64 s[4:5], s[12:13]
; %bb.90:
	ds_write_b32 v6, v7 offset:4
; %bb.91:
	s_or_b64 exec, exec, s[4:5]
	s_mov_b64 s[4:5], 0
	v_add_u32_e32 v21, v10, v8
                                        ; implicit-def: $vgpr7
                                        ; implicit-def: $vgpr6
	s_and_saveexec_b64 s[12:13], s[14:15]
	s_xor_b64 s[12:13], exec, s[12:13]
	s_cbranch_execz .LBB34_127
; %bb.92:
	ds_read_b64 v[12:13], v21
	s_mov_b64 s[4:5], exec
	v_add_u32_e32 v6, 8, v5
	s_waitcnt lgkmcnt(0)
	v_xor_b32_e32 v7, 0x80000000, v13
	ds_write_b32 v5, v12 offset:8
                                        ; implicit-def: $vgpr13
	s_andn2_saveexec_b64 s[12:13], s[12:13]
	s_cbranch_execnz .LBB34_128
.LBB34_93:
	s_or_b64 exec, exec, s[12:13]
	s_and_saveexec_b64 s[12:13], s[4:5]
.LBB34_94:
	ds_write_b32 v6, v7 offset:4
.LBB34_95:
	s_or_b64 exec, exec, s[12:13]
	s_mov_b64 s[4:5], 0
                                        ; implicit-def: $vgpr6
	s_and_saveexec_b64 s[12:13], s[8:9]
	s_xor_b64 s[8:9], exec, s[12:13]
	s_cbranch_execz .LBB34_131
; %bb.96:
	v_cmp_eq_u32_e32 vcc, v18, v2
                                        ; implicit-def: $vgpr6
	s_and_saveexec_b64 s[12:13], vcc
; %bb.97:
	s_mov_b64 s[4:5], exec
	v_add_u32_e32 v6, v10, v11
; %bb.98:
	s_or_b64 exec, exec, s[12:13]
	s_and_b64 s[4:5], s[4:5], exec
	s_or_saveexec_b64 s[8:9], s[8:9]
	v_mov_b32_e32 v7, 0
	s_xor_b64 exec, exec, s[8:9]
	s_cbranch_execnz .LBB34_132
.LBB34_99:
	s_or_b64 exec, exec, s[8:9]
	s_and_saveexec_b64 s[8:9], s[4:5]
.LBB34_100:
	ds_write_b32 v6, v7 offset:4
.LBB34_101:
	s_or_b64 exec, exec, s[8:9]
	s_mov_b64 s[4:5], 0
                                        ; implicit-def: $vgpr6
	s_and_saveexec_b64 s[8:9], s[10:11]
	s_xor_b64 s[8:9], exec, s[8:9]
	s_cbranch_execz .LBB34_133
; %bb.102:
	v_cmp_eq_u32_e32 vcc, v19, v2
                                        ; implicit-def: $vgpr6
	s_and_saveexec_b64 s[10:11], vcc
; %bb.103:
	s_mov_b64 s[4:5], exec
	v_add_u32_e32 v6, v10, v11
; %bb.104:
	s_or_b64 exec, exec, s[10:11]
	s_and_b64 s[4:5], s[4:5], exec
                                        ; implicit-def: $vgpr5
	s_or_saveexec_b64 s[8:9], s[8:9]
	v_mov_b32_e32 v7, 0
	s_xor_b64 exec, exec, s[8:9]
	s_cbranch_execnz .LBB34_134
.LBB34_105:
	s_or_b64 exec, exec, s[8:9]
	v_add_u32_e32 v11, 0x2380, v22
	s_and_saveexec_b64 s[8:9], s[4:5]
.LBB34_106:
	ds_write_b32 v6, v7 offset:4
.LBB34_107:
	s_or_b64 exec, exec, s[8:9]
	s_waitcnt lgkmcnt(0)
	s_barrier
	ds_read_b64 v[12:13], v20
	ds_read_b128 v[5:8], v11 offset:256
	ds_read_b128 v[27:30], v11 offset:272
	ds_read_b64 v[18:19], v21 offset:528
	ds_read2_b64 v[31:34], v21 offset1:33
	v_cmp_eq_u32_e64 s[4:5], 1, v9
	s_waitcnt lgkmcnt(3)
	v_mul_f32_e32 v22, v6, v13
	v_fma_f32 v22, v5, v12, -v22
	v_mul_f32_e32 v5, v5, v13
	v_fmac_f32_e32 v5, v6, v12
	s_waitcnt lgkmcnt(0)
	v_mul_f32_e32 v12, v8, v32
	v_fma_f32 v12, v7, v31, -v12
	v_mul_f32_e32 v7, v7, v32
	v_add_f32_e32 v5, 0, v5
	v_fmac_f32_e32 v7, v8, v31
	v_add_f32_e32 v6, 0, v22
	v_add_f32_e32 v5, v5, v7
	v_mul_f32_e32 v7, v28, v34
	v_mul_f32_e32 v8, v27, v34
	v_add_f32_e32 v6, v6, v12
	v_fma_f32 v7, v27, v33, -v7
	v_fmac_f32_e32 v8, v28, v33
	v_add_f32_e32 v6, v6, v7
	v_add_f32_e32 v7, v5, v8
	v_mul_f32_e32 v5, v30, v19
	v_mul_f32_e32 v8, v29, v19
	v_fma_f32 v5, v29, v18, -v5
	v_fmac_f32_e32 v8, v30, v18
	v_add_f32_e32 v5, v6, v5
	v_add_f32_e32 v6, v7, v8
	s_barrier
	ds_write_b64 v26, v[5:6]
	s_waitcnt lgkmcnt(0)
	s_barrier
	s_and_saveexec_b64 s[8:9], s[4:5]
	s_cbranch_execz .LBB34_109
; %bb.108:
	ds_read2_b64 v[5:8], v25 offset1:7
	ds_read2_b64 v[27:30], v25 offset0:1 offset1:2
	ds_read2_b64 v[31:34], v25 offset0:3 offset1:4
	s_waitcnt lgkmcnt(1)
	v_add_f32_e32 v5, v27, v5
	v_add_f32_e32 v6, v28, v6
	;; [unrolled: 1-line block ×4, first 2 shown]
	ds_read2_b64 v[27:30], v25 offset0:5 offset1:6
	s_waitcnt lgkmcnt(1)
	v_add_f32_e32 v5, v5, v31
	v_add_f32_e32 v6, v6, v32
	;; [unrolled: 1-line block ×4, first 2 shown]
	s_waitcnt lgkmcnt(0)
	v_add_f32_e32 v5, v5, v27
	v_add_f32_e32 v6, v6, v28
	;; [unrolled: 1-line block ×6, first 2 shown]
.LBB34_109:
	s_or_b64 exec, exec, s[8:9]
	v_add_co_u32_e32 v3, vcc, 0xffffff00, v3
	v_addc_co_u32_e32 v4, vcc, -1, v4, vcc
	s_and_b64 vcc, exec, s[30:31]
	s_barrier
	s_cbranch_vccz .LBB34_135
; %bb.110:
	v_sub_co_u32_e32 v5, vcc, v3, v10
	s_ashr_i32 s17, s16, 31
	v_subbrev_co_u32_e32 v6, vcc, 0, v4, vcc
	s_lshl_b64 s[10:11], s[16:17], 3
	v_mov_b32_e32 v7, s11
	v_add_co_u32_e32 v5, vcc, s10, v5
	v_addc_co_u32_e32 v6, vcc, v6, v7, vcc
	v_add_co_u32_e32 v5, vcc, -8, v5
	v_addc_co_u32_e32 v6, vcc, -1, v6, vcc
	v_cmp_gt_i32_e32 vcc, s16, v2
	s_sub_i32 s14, s16, 32
	v_mul_u32_u24_e32 v2, 0x108, v9
	v_cndmask_b32_e32 v6, v6, v4, vcc
	v_cndmask_b32_e32 v5, v5, v3, vcc
	v_cmp_le_i32_e64 s[8:9], s14, v9
	v_add_u32_e32 v12, v10, v2
	s_and_saveexec_b64 s[12:13], s[8:9]
	s_xor_b64 s[8:9], exec, s[12:13]
; %bb.111:
	v_mov_b32_e32 v7, 0
	v_mov_b32_e32 v8, v7
	ds_write_b64 v12, v[7:8]
; %bb.112:
	s_andn2_saveexec_b64 s[8:9], s[8:9]
	s_cbranch_execz .LBB34_114
; %bb.113:
	flat_load_dwordx2 v[7:8], v[5:6]
	s_waitcnt vmcnt(0) lgkmcnt(0)
	ds_write_b64 v12, v[7:8]
.LBB34_114:
	s_or_b64 exec, exec, s[8:9]
	v_add_u32_e32 v2, 8, v9
	v_cmp_le_i32_e64 s[8:9], s14, v2
	s_and_saveexec_b64 s[12:13], s[8:9]
	s_xor_b64 s[8:9], exec, s[12:13]
; %bb.115:
	v_mov_b32_e32 v7, 0
	v_mov_b32_e32 v8, v7
	ds_write_b64 v12, v[7:8] offset:2112
; %bb.116:
	s_andn2_saveexec_b64 s[12:13], s[8:9]
	s_cbranch_execz .LBB34_118
; %bb.117:
	s_lshl_b32 s8, s24, 3
	s_ashr_i32 s9, s8, 31
	s_lshl_b64 s[8:9], s[8:9], 3
	v_mov_b32_e32 v8, s9
	v_add_co_u32_e64 v7, s[8:9], s8, v5
	v_addc_co_u32_e64 v8, s[8:9], v6, v8, s[8:9]
	flat_load_dwordx2 v[7:8], v[7:8]
	s_waitcnt vmcnt(0) lgkmcnt(0)
	ds_write_b64 v12, v[7:8] offset:2112
.LBB34_118:
	s_or_b64 exec, exec, s[12:13]
	v_add_u32_e32 v7, 16, v9
	v_cmp_le_i32_e64 s[8:9], s14, v7
	s_and_saveexec_b64 s[12:13], s[8:9]
	s_xor_b64 s[8:9], exec, s[12:13]
; %bb.119:
	v_mov_b32_e32 v18, 0
	v_mov_b32_e32 v19, v18
	ds_write_b64 v12, v[18:19] offset:4224
; %bb.120:
	s_andn2_saveexec_b64 s[12:13], s[8:9]
	s_cbranch_execz .LBB34_122
; %bb.121:
	s_lshl_b32 s8, s24, 4
	s_ashr_i32 s9, s8, 31
	s_lshl_b64 s[8:9], s[8:9], 3
	v_mov_b32_e32 v8, s9
	v_add_co_u32_e64 v18, s[8:9], s8, v5
	v_addc_co_u32_e64 v19, s[8:9], v6, v8, s[8:9]
	flat_load_dwordx2 v[18:19], v[18:19]
	s_waitcnt vmcnt(0) lgkmcnt(0)
	ds_write_b64 v12, v[18:19] offset:4224
.LBB34_122:
	s_or_b64 exec, exec, s[12:13]
	v_add_u32_e32 v8, 24, v9
	v_cmp_le_i32_e64 s[8:9], s14, v8
	s_and_saveexec_b64 s[12:13], s[8:9]
	s_xor_b64 s[8:9], exec, s[12:13]
; %bb.123:
	v_mov_b32_e32 v18, 0
	v_mov_b32_e32 v19, v18
	ds_write_b64 v12, v[18:19] offset:6336
                                        ; implicit-def: $vgpr12
; %bb.124:
	s_andn2_saveexec_b64 s[12:13], s[8:9]
	s_cbranch_execz .LBB34_126
; %bb.125:
	s_mul_i32 s8, s24, 24
	s_ashr_i32 s9, s8, 31
	s_lshl_b64 s[8:9], s[8:9], 3
	v_mov_b32_e32 v13, s9
	v_add_co_u32_e64 v18, s[8:9], s8, v5
	v_addc_co_u32_e64 v19, s[8:9], v6, v13, s[8:9]
	flat_load_dwordx2 v[18:19], v[18:19]
	s_waitcnt vmcnt(0) lgkmcnt(0)
	ds_write_b64 v12, v[18:19] offset:6336
.LBB34_126:
	s_or_b64 exec, exec, s[12:13]
	v_add_co_u32_e64 v5, s[8:9], v5, v10
	v_addc_co_u32_e64 v6, s[8:9], 0, v6, s[8:9]
	v_mov_b32_e32 v12, s11
	v_subrev_co_u32_e64 v5, s[8:9], s10, v5
	v_subb_co_u32_e64 v6, s[8:9], v6, v12, s[8:9]
	v_add_co_u32_e64 v5, s[8:9], 8, v5
	v_addc_co_u32_e64 v6, s[8:9], 0, v6, s[8:9]
	v_cndmask_b32_e32 v19, v6, v4, vcc
	v_cndmask_b32_e32 v18, v5, v3, vcc
	s_branch .LBB34_137
.LBB34_127:
	s_andn2_saveexec_b64 s[12:13], s[12:13]
	s_cbranch_execz .LBB34_93
.LBB34_128:
	v_cmp_eq_u32_e32 vcc, v13, v2
	s_mov_b64 s[14:15], s[4:5]
                                        ; implicit-def: $vgpr6
	s_and_saveexec_b64 s[36:37], vcc
; %bb.129:
	v_add_u32_e32 v6, v10, v11
	s_or_b64 s[14:15], s[4:5], exec
; %bb.130:
	s_or_b64 exec, exec, s[36:37]
	s_andn2_b64 s[4:5], s[4:5], exec
	s_and_b64 s[14:15], s[14:15], exec
	v_mov_b32_e32 v7, 0
	s_or_b64 s[4:5], s[4:5], s[14:15]
	s_or_b64 exec, exec, s[12:13]
	s_and_saveexec_b64 s[12:13], s[4:5]
	s_cbranch_execnz .LBB34_94
	s_branch .LBB34_95
.LBB34_131:
	s_or_saveexec_b64 s[8:9], s[8:9]
	v_mov_b32_e32 v7, 0
	s_xor_b64 exec, exec, s[8:9]
	s_cbranch_execz .LBB34_99
.LBB34_132:
	ds_read_b64 v[12:13], v21 offset:264
	v_add_u32_e32 v6, 16, v5
	s_or_b64 s[4:5], s[4:5], exec
	s_waitcnt lgkmcnt(0)
	v_xor_b32_e32 v7, 0x80000000, v13
	ds_write_b32 v5, v12 offset:16
	s_or_b64 exec, exec, s[8:9]
	s_and_saveexec_b64 s[8:9], s[4:5]
	s_cbranch_execnz .LBB34_100
	s_branch .LBB34_101
.LBB34_133:
	s_or_saveexec_b64 s[8:9], s[8:9]
	v_mov_b32_e32 v7, 0
	s_xor_b64 exec, exec, s[8:9]
	s_cbranch_execz .LBB34_105
.LBB34_134:
	ds_read_b64 v[11:12], v21 offset:528
	v_add_u32_e32 v6, 24, v5
	s_or_b64 s[4:5], s[4:5], exec
	s_waitcnt lgkmcnt(0)
	v_xor_b32_e32 v7, 0x80000000, v12
	ds_write_b32 v5, v11 offset:24
	s_or_b64 exec, exec, s[8:9]
	v_add_u32_e32 v11, 0x2380, v22
	s_and_saveexec_b64 s[8:9], s[4:5]
	s_cbranch_execnz .LBB34_106
	s_branch .LBB34_107
.LBB34_135:
                                        ; implicit-def: $vgpr18_vgpr19
                                        ; implicit-def: $vgpr2
                                        ; implicit-def: $vgpr7
                                        ; implicit-def: $vgpr8
	s_cbranch_execz .LBB34_137
; %bb.136:
	s_lshl_b32 s8, s24, 3
	s_ashr_i32 s9, s8, 31
	s_lshl_b64 s[8:9], s[8:9], 3
	v_mov_b32_e32 v2, s9
	v_add_co_u32_e32 v5, vcc, s8, v3
	s_ashr_i32 s25, s24, 31
	v_addc_co_u32_e32 v6, vcc, v4, v2, vcc
	s_lshl_b64 s[8:9], s[24:25], 6
	v_mov_b32_e32 v2, s9
	v_add_co_u32_e32 v7, vcc, s8, v5
	v_addc_co_u32_e32 v8, vcc, v6, v2, vcc
	v_add_co_u32_e32 v12, vcc, s8, v7
	v_addc_co_u32_e32 v13, vcc, v8, v2, vcc
	flat_load_dwordx2 v[18:19], v[3:4]
	flat_load_dwordx2 v[22:23], v[5:6]
	;; [unrolled: 1-line block ×4, first 2 shown]
	s_movk_i32 s8, 0x108
	v_mad_u32_u24 v5, v9, s8, v10
	v_add_u32_e32 v2, 8, v9
	v_add_u32_e32 v7, 16, v9
	;; [unrolled: 1-line block ×3, first 2 shown]
	s_waitcnt vmcnt(0) lgkmcnt(0)
	ds_write_b64 v5, v[18:19]
	ds_write_b64 v5, v[22:23] offset:2112
	ds_write_b64 v5, v[27:28] offset:4224
	;; [unrolled: 1-line block ×3, first 2 shown]
	v_mov_b32_e32 v19, v4
	v_mov_b32_e32 v18, v3
.LBB34_137:
	v_lshlrev_b32_e32 v3, 3, v9
	v_add_u32_e32 v4, v25, v3
	v_lshlrev_b32_e32 v2, 3, v2
	s_waitcnt lgkmcnt(0)
	s_barrier
	v_add_u32_e32 v5, v25, v2
	ds_read_b64 v[12:13], v4
	ds_read_b64 v[27:28], v2 offset:9088
	ds_read_b64 v[29:30], v5
	ds_read_b64 v[9:10], v3 offset:9088
	v_lshlrev_b32_e32 v3, 3, v7
	v_add_u32_e32 v4, v25, v3
	v_lshlrev_b32_e32 v5, 3, v8
	v_add_u32_e32 v6, v25, v5
	ds_read_b64 v[31:32], v4
	ds_read_b64 v[33:34], v6
	ds_read_b64 v[35:36], v5 offset:9088
	ds_read_b64 v[37:38], v3 offset:9088
	s_waitcnt lgkmcnt(4)
	v_mul_f32_e32 v2, v13, v10
	v_fmac_f32_e32 v2, v12, v9
	v_mul_f32_e32 v3, v30, v28
	v_add_f32_e32 v2, 0, v2
	v_fmac_f32_e32 v3, v29, v27
	v_add_f32_e32 v2, v2, v3
	s_waitcnt lgkmcnt(0)
	v_mul_f32_e32 v3, v32, v38
	v_fmac_f32_e32 v3, v31, v37
	v_add_f32_e32 v2, v2, v3
	v_mul_f32_e32 v3, v34, v36
	v_mul_f32_e32 v13, v13, v9
	v_fmac_f32_e32 v3, v33, v35
	v_mul_f32_e32 v30, v30, v27
	v_mul_f32_e32 v34, v34, v35
	v_add_f32_e32 v27, v2, v3
	ds_read_b128 v[6:9], v11 offset:256
	ds_read_b128 v[2:5], v11 offset:272
	v_fma_f32 v35, v12, v10, -v13
	ds_read2_b64 v[10:13], v21 offset1:33
	ds_read_b64 v[22:23], v20
	ds_read_b64 v[20:21], v21 offset:528
	v_mul_f32_e32 v32, v32, v37
	v_add_f32_e32 v35, 0, v35
	v_fma_f32 v28, v29, v28, -v30
	v_add_f32_e32 v28, v35, v28
	v_fma_f32 v29, v31, v38, -v32
	;; [unrolled: 2-line block ×3, first 2 shown]
	v_add_f32_e32 v28, v28, v29
	s_waitcnt lgkmcnt(0)
	s_barrier
	ds_write_b64 v26, v[27:28]
	s_waitcnt lgkmcnt(0)
	s_barrier
	s_and_saveexec_b64 s[8:9], s[4:5]
	s_cbranch_execz .LBB34_139
; %bb.138:
	ds_read2_b64 v[27:30], v25 offset1:1
	ds_read2_b64 v[31:34], v25 offset0:2 offset1:3
	ds_read2_b64 v[35:38], v25 offset0:4 offset1:5
	s_waitcnt lgkmcnt(2)
	v_add_f32_e32 v27, v51, v27
	v_add_f32_e32 v28, v52, v28
	;; [unrolled: 1-line block ×4, first 2 shown]
	s_waitcnt lgkmcnt(1)
	v_add_f32_e32 v27, v27, v31
	v_add_f32_e32 v28, v28, v32
	;; [unrolled: 1-line block ×4, first 2 shown]
	ds_read2_b64 v[27:30], v25 offset0:6 offset1:7
	s_waitcnt lgkmcnt(1)
	v_add_f32_e32 v31, v31, v35
	v_add_f32_e32 v32, v32, v36
	;; [unrolled: 1-line block ×4, first 2 shown]
	s_waitcnt lgkmcnt(0)
	v_add_f32_e32 v27, v31, v27
	v_add_f32_e32 v28, v32, v28
	v_add_f32_e32 v51, v27, v29
	v_add_f32_e32 v52, v28, v30
.LBB34_139:
	s_or_b64 exec, exec, s[8:9]
	v_mul_f32_e32 v27, v7, v23
	v_fma_f32 v27, v6, v22, -v27
	v_mul_f32_e32 v6, v6, v23
	v_fmac_f32_e32 v6, v7, v22
	v_mul_f32_e32 v22, v9, v11
	v_fma_f32 v22, v8, v10, -v22
	v_mul_f32_e32 v8, v8, v11
	v_add_f32_e32 v6, 0, v6
	v_fmac_f32_e32 v8, v9, v10
	v_add_f32_e32 v6, v6, v8
	v_mul_f32_e32 v8, v3, v13
	v_fma_f32 v8, v2, v12, -v8
	v_mul_f32_e32 v2, v2, v13
	v_fmac_f32_e32 v2, v3, v12
	v_add_f32_e32 v7, 0, v27
	v_add_f32_e32 v6, v6, v2
	v_mul_f32_e32 v2, v5, v21
	v_add_f32_e32 v7, v7, v22
	v_fma_f32 v2, v4, v20, -v2
	v_mul_f32_e32 v4, v4, v21
	v_add_f32_e32 v3, v7, v8
	v_fmac_f32_e32 v4, v5, v20
	v_add_f32_e32 v2, v3, v2
	v_add_f32_e32 v3, v6, v4
	s_barrier
	ds_write_b64 v26, v[2:3]
	s_waitcnt lgkmcnt(0)
	s_barrier
	s_and_saveexec_b64 s[4:5], s[2:3]
	s_cbranch_execz .LBB34_141
; %bb.140:
	ds_read2_b64 v[2:5], v25 offset1:1
	ds_read2_b64 v[6:9], v25 offset0:2 offset1:3
	ds_read2_b64 v[10:13], v25 offset0:4 offset1:5
	s_waitcnt lgkmcnt(2)
	v_add_f32_e32 v2, v51, v2
	v_add_f32_e32 v3, v52, v3
	;; [unrolled: 1-line block ×4, first 2 shown]
	s_waitcnt lgkmcnt(1)
	v_add_f32_e32 v2, v2, v6
	v_add_f32_e32 v3, v3, v7
	;; [unrolled: 1-line block ×4, first 2 shown]
	ds_read2_b64 v[2:5], v25 offset0:6 offset1:7
	s_waitcnt lgkmcnt(1)
	v_add_f32_e32 v6, v6, v10
	v_add_f32_e32 v7, v7, v11
	;; [unrolled: 1-line block ×4, first 2 shown]
	s_waitcnt lgkmcnt(0)
	v_add_f32_e32 v2, v6, v2
	v_add_f32_e32 v3, v7, v3
	;; [unrolled: 1-line block ×4, first 2 shown]
.LBB34_141:
	s_or_b64 exec, exec, s[4:5]
	s_mul_hi_u32 s2, s21, s20
	s_mul_i32 s41, s41, s20
	s_add_i32 s2, s2, s41
	s_mul_i32 s4, s21, s20
	s_mul_i32 s2, s2, s7
	s_mul_hi_u32 s3, s4, s7
	s_add_i32 s3, s3, s2
	s_mul_i32 s2, s4, s7
	s_lshl_b64 s[2:3], s[2:3], 3
	s_add_u32 s4, s22, s2
	s_addc_u32 s5, s23, s3
	s_mul_hi_i32 s3, s21, s6
	s_mul_i32 s2, s21, s6
	s_lshl_b64 s[2:3], s[2:3], 3
	s_add_u32 s17, s4, s2
	s_addc_u32 s22, s5, s3
	s_add_i32 s8, s6, 1
	s_cmp_ge_u32 s8, s7
	v_lshlrev_b32_e32 v88, 3, v0
	s_barrier
	s_cbranch_scc1 .LBB34_199
; %bb.142:
	v_lshlrev_b32_e32 v89, 2, v1
	s_mul_i32 s2, s40, s26
	v_mad_u64_u32 v[2:3], s[4:5], s24, v89, v[0:1]
	s_ashr_i32 s3, s2, 31
	s_lshl_b64 s[2:3], s[2:3], 3
	v_subrev_co_u32_e32 v90, vcc, s2, v16
	s_lshl_b32 s26, s40, 6
	s_lshl_b32 s2, s24, 4
	s_ashr_i32 s25, s24, 31
	s_lshl_b32 s14, s24, 1
	s_mul_i32 s30, s24, 3
	s_mul_i32 s40, s40, s8
	v_mov_b32_e32 v4, s3
	v_ashrrev_i32_e32 v3, 31, v2
	s_add_i32 s23, s7, -2
	s_ashr_i32 s3, s2, 31
	s_ashr_i32 s15, s14, 31
	;; [unrolled: 1-line block ×3, first 2 shown]
	s_lshl_b64 s[4:5], s[24:25], 3
	s_lshl_b32 s10, s40, 6
	s_lshl_b64 s[20:21], s[24:25], 4
	v_subb_co_u32_e32 v91, vcc, v17, v4, vcc
	s_add_u32 s11, s20, s28
	v_lshlrev_b64 v[4:5], 3, v[2:3]
	s_addc_u32 s27, s21, s29
	v_mov_b32_e32 v6, s27
	v_add_co_u32_e32 v7, vcc, s11, v4
	v_addc_co_u32_e32 v6, vcc, v6, v5, vcc
	s_lshl_b64 s[12:13], s[2:3], 5
	s_lshl_b64 s[8:9], s[30:31], 3
	v_mov_b32_e32 v8, s35
	v_add_co_u32_e32 v2, vcc, s34, v2
	s_add_u32 s30, s4, s28
	v_addc_co_u32_e32 v3, vcc, v8, v3, vcc
	s_addc_u32 s31, s5, s29
	v_mov_b32_e32 v8, s31
	v_add_co_u32_e32 v9, vcc, s30, v4
	v_addc_co_u32_e32 v8, vcc, v8, v5, vcc
	s_lshl_b64 s[14:15], s[14:15], 3
	s_mul_i32 s36, s24, 0x180
	v_mov_b32_e32 v10, s29
	v_add_co_u32_e32 v11, vcc, s28, v4
	s_add_u32 s24, s28, s14
	v_addc_co_u32_e32 v10, vcc, v10, v5, vcc
	s_addc_u32 s25, s29, s15
	v_mov_b32_e32 v12, s25
	v_add_co_u32_e32 v13, vcc, s24, v4
	s_add_u32 s24, s28, s8
	v_addc_co_u32_e32 v12, vcc, v12, v5, vcc
	s_addc_u32 s25, s29, s9
	v_mov_b32_e32 v16, s25
	v_add_co_u32_e32 v17, vcc, s24, v4
	s_lshl_b64 s[24:25], s[2:3], 3
	s_add_u32 s34, s11, s24
	v_addc_co_u32_e32 v16, vcc, v16, v5, vcc
	s_addc_u32 s35, s27, s25
	s_mul_hi_i32 s37, s2, 24
	v_add_co_u32_e32 v21, vcc, s34, v4
	s_add_u32 s34, s36, s20
	v_mov_b32_e32 v20, s35
	s_addc_u32 s35, s37, s21
	s_lshl_b64 s[20:21], s[2:3], 4
	s_add_u32 s3, s20, s28
	s_addc_u32 s36, s21, s29
	s_add_u32 s37, s3, s8
	v_addc_co_u32_e32 v20, vcc, v20, v5, vcc
	s_addc_u32 s38, s36, s9
	v_mov_b32_e32 v22, s38
	v_add_co_u32_e32 v23, vcc, s37, v4
	s_add_u32 s30, s30, s24
	v_addc_co_u32_e32 v22, vcc, v22, v5, vcc
	s_addc_u32 s31, s31, s25
	v_mov_b32_e32 v25, s31
	v_add_co_u32_e32 v26, vcc, s30, v4
	;; [unrolled: 5-line block ×4, first 2 shown]
	v_addc_co_u32_e32 v29, vcc, v29, v5, vcc
	v_mov_b32_e32 v31, s36
	v_add_co_u32_e32 v32, vcc, s3, v4
	s_add_u32 s28, s24, s14
	v_addc_co_u32_e32 v31, vcc, v31, v5, vcc
	s_addc_u32 s29, s25, s15
	v_mov_b32_e32 v33, s29
	v_add_co_u32_e32 v34, vcc, s28, v4
	s_add_u32 s3, s3, s4
	v_addc_co_u32_e32 v33, vcc, v33, v5, vcc
	s_addc_u32 s28, s36, s5
	;; [unrolled: 5-line block ×4, first 2 shown]
	v_lshlrev_b64 v[2:3], 3, v[2:3]
	v_mov_b32_e32 v39, s11
	v_add_co_u32_e32 v40, vcc, s3, v4
	v_addc_co_u32_e32 v39, vcc, v39, v5, vcc
	v_mad_i64_i32 v[4:5], s[2:3], s2, 24, v[2:3]
	v_mov_b32_e32 v41, s35
	v_add_co_u32_e32 v2, vcc, s34, v2
	v_addc_co_u32_e32 v3, vcc, v41, v3, vcc
	v_mov_b32_e32 v41, s9
	v_add_co_u32_e32 v42, vcc, s8, v4
	v_addc_co_u32_e32 v41, vcc, v5, v41, vcc
	;; [unrolled: 3-line block ×4, first 2 shown]
	v_add_co_u32_e32 v92, vcc, v18, v4
	v_addc_co_u32_e32 v93, vcc, v19, v5, vcc
	v_add_co_u32_e32 v94, vcc, v18, v7
	v_addc_co_u32_e32 v95, vcc, v19, v6, vcc
	;; [unrolled: 2-line block ×18, first 2 shown]
	v_lshrrev_b32_e32 v2, 4, v24
	v_add_co_u32_e32 v128, vcc, v18, v38
	s_movk_i32 s4, 0x218
	v_and_b32_e32 v3, 15, v0
	v_lshlrev_b32_e32 v4, 5, v2
	v_addc_co_u32_e32 v129, vcc, v19, v37, vcc
	v_mad_u32_u24 v132, v3, s4, v4
	v_and_b32_e32 v4, 48, v0
	v_add_co_u32_e32 v130, vcc, v18, v40
	v_lshlrev_b32_e32 v4, 3, v4
	v_addc_co_u32_e32 v131, vcc, v19, v39, vcc
	v_mad_u32_u24 v133, v3, s4, v4
	v_or_b32_e32 v4, 0x78, v88
	v_mad_u32_u24 v134, v3, s4, v4
	v_sub_co_u32_e32 v135, vcc, 0, v14
	v_mov_b32_e32 v3, 0x2180
	s_movk_i32 s4, 0x860
	v_mul_i32_i24_e32 v2, 0xffffffe8, v2
	v_cmp_gt_u32_e64 s[2:3], 64, v24
	v_subb_co_u32_e32 v136, vcc, 0, v15, vcc
	v_lshl_add_u32 v137, v1, 5, v3
	v_add_u32_e32 v138, v132, v2
	v_add_u32_e32 v139, 0x2180, v88
	;; [unrolled: 1-line block ×3, first 2 shown]
	v_mad_u32_u24 v141, v1, s4, v88
	v_or_b32_e32 v142, 1, v89
	v_or_b32_e32 v143, 2, v89
	;; [unrolled: 1-line block ×3, first 2 shown]
	v_add_u32_e32 v145, 16, v89
	v_add_u32_e32 v146, 17, v89
	;; [unrolled: 1-line block ×13, first 2 shown]
	v_mov_b32_e32 v55, 0
	s_cmp_eq_u32 s23, s6
	s_cselect_b32 s24, s33, 0
	s_and_saveexec_b64 s[4:5], s[0:1]
	s_cbranch_execz .LBB34_148
	s_branch .LBB34_144
.LBB34_143:                             ;   in Loop: Header=BB34_148 Depth=1
	s_mov_b32 s6, s4
	s_cmp_eq_u32 s23, s6
	s_cselect_b32 s24, s33, 0
	s_and_saveexec_b64 s[4:5], s[0:1]
	s_cbranch_execz .LBB34_148
.LBB34_144:
	s_cmp_lg_u32 s24, 0
	s_cselect_b64 s[8:9], -1, 0
	v_cmp_le_i32_e32 vcc, s24, v0
	s_and_b64 s[8:9], s[8:9], vcc
	s_and_saveexec_b64 s[14:15], s[8:9]
	s_xor_b64 s[8:9], exec, s[14:15]
; %bb.145:
	v_mov_b32_e32 v56, v55
	ds_write_b64 v139, v[55:56]
; %bb.146:
	s_andn2_saveexec_b64 s[8:9], s[8:9]
	s_cbranch_execz .LBB34_148
; %bb.147:
	s_ashr_i32 s11, s10, 31
	s_lshl_b64 s[8:9], s[10:11], 3
	v_mov_b32_e32 v3, s9
	v_add_co_u32_e32 v2, vcc, s8, v90
	v_addc_co_u32_e32 v3, vcc, v91, v3, vcc
	flat_load_dwordx2 v[2:3], v[2:3]
	s_waitcnt vmcnt(0) lgkmcnt(0)
	ds_write_b64 v139, v[2:3]
.LBB34_148:                             ; =>This Inner Loop Header: Depth=1
	s_or_b64 exec, exec, s[4:5]
	s_cmp_eq_u32 s24, 0
	v_add_co_u32_e32 v2, vcc, v102, v135
	s_cselect_b64 s[14:15], -1, 0
	s_cmp_lg_u32 s24, 0
	v_addc_co_u32_e32 v3, vcc, v103, v136, vcc
	s_cselect_b64 s[8:9], -1, 0
	s_and_b64 vcc, exec, s[8:9]
	s_waitcnt lgkmcnt(0)
	s_barrier
	s_cbranch_vccz .LBB34_156
; %bb.149:                              ;   in Loop: Header=BB34_148 Depth=1
	v_cmp_gt_i32_e32 vcc, s24, v89
	v_mov_b32_e32 v58, 0
	v_mov_b32_e32 v56, 0
	;; [unrolled: 1-line block ×3, first 2 shown]
	s_and_saveexec_b64 s[4:5], vcc
	s_cbranch_execz .LBB34_151
; %bb.150:                              ;   in Loop: Header=BB34_148 Depth=1
	flat_load_dwordx2 v[56:57], v[2:3]
.LBB34_151:                             ;   in Loop: Header=BB34_148 Depth=1
	s_or_b64 exec, exec, s[4:5]
	v_cmp_gt_i32_e32 vcc, s24, v142
	v_mov_b32_e32 v59, 0
	s_and_saveexec_b64 s[4:5], vcc
	s_cbranch_execz .LBB34_153
; %bb.152:                              ;   in Loop: Header=BB34_148 Depth=1
	v_add_co_u32_e32 v4, vcc, v98, v135
	v_addc_co_u32_e32 v5, vcc, v99, v136, vcc
	flat_load_dwordx2 v[58:59], v[4:5]
.LBB34_153:                             ;   in Loop: Header=BB34_148 Depth=1
	s_or_b64 exec, exec, s[4:5]
	v_cmp_gt_i32_e32 vcc, s24, v143
	v_mov_b32_e32 v60, 0
	v_mov_b32_e32 v61, 0
	s_and_saveexec_b64 s[4:5], vcc
	s_cbranch_execz .LBB34_155
; %bb.154:                              ;   in Loop: Header=BB34_148 Depth=1
	v_add_co_u32_e32 v4, vcc, v104, v135
	v_addc_co_u32_e32 v5, vcc, v105, v136, vcc
	flat_load_dwordx2 v[60:61], v[4:5]
.LBB34_155:                             ;   in Loop: Header=BB34_148 Depth=1
	s_or_b64 exec, exec, s[4:5]
	v_cmp_gt_i32_e64 s[4:5], s24, v144
	s_branch .LBB34_158
.LBB34_156:                             ;   in Loop: Header=BB34_148 Depth=1
	s_mov_b64 s[4:5], 0
                                        ; implicit-def: $vgpr57
                                        ; implicit-def: $vgpr59
                                        ; implicit-def: $vgpr61
	s_cbranch_execz .LBB34_158
; %bb.157:                              ;   in Loop: Header=BB34_148 Depth=1
	s_waitcnt vmcnt(0) lgkmcnt(0)
	flat_load_dwordx2 v[56:57], v[2:3]
	v_add_co_u32_e32 v2, vcc, v98, v135
	v_addc_co_u32_e32 v3, vcc, v99, v136, vcc
	flat_load_dwordx2 v[58:59], v[2:3]
	v_add_co_u32_e32 v2, vcc, v94, v135
	v_addc_co_u32_e32 v3, vcc, v95, v136, vcc
	flat_load_dwordx2 v[60:61], v[2:3]
	s_or_b64 s[4:5], s[4:5], exec
.LBB34_158:                             ;   in Loop: Header=BB34_148 Depth=1
	v_mov_b32_e32 v62, 0
	v_mov_b32_e32 v63, 0
	s_and_saveexec_b64 s[20:21], s[4:5]
	s_cbranch_execz .LBB34_160
; %bb.159:                              ;   in Loop: Header=BB34_148 Depth=1
	v_add_co_u32_e32 v2, vcc, v108, v135
	v_addc_co_u32_e32 v3, vcc, v109, v136, vcc
	flat_load_dwordx2 v[62:63], v[2:3]
.LBB34_160:                             ;   in Loop: Header=BB34_148 Depth=1
	s_or_b64 exec, exec, s[20:21]
	ds_read_b64 v[10:11], v140
	ds_read_b128 v[6:9], v137
	ds_read_b128 v[2:5], v137 offset:16
	s_andn2_b64 vcc, exec, s[8:9]
	s_waitcnt vmcnt(0) lgkmcnt(0)
	v_mul_f32_e32 v12, v57, v11
	v_mul_f32_e32 v13, v57, v10
	;; [unrolled: 1-line block ×4, first 2 shown]
	v_fmac_f32_e32 v12, v56, v10
	v_fma_f32 v13, v56, v11, -v13
	v_fmac_f32_e32 v14, v58, v10
	v_fma_f32 v15, v58, v11, -v15
	ds_write2_b64 v141, v[12:13], v[14:15] offset1:67
	v_mul_f32_e32 v12, v61, v11
	v_mul_f32_e32 v14, v63, v11
	v_fmac_f32_e32 v12, v60, v10
	v_mul_f32_e32 v13, v61, v10
	v_fmac_f32_e32 v14, v62, v10
	v_mul_f32_e32 v10, v63, v10
	v_fma_f32 v13, v60, v11, -v13
	v_fma_f32 v15, v62, v11, -v10
	ds_write2_b64 v141, v[12:13], v[14:15] offset0:134 offset1:201
	s_waitcnt lgkmcnt(0)
	s_barrier
	ds_read2_b64 v[22:25], v132 offset1:1
	ds_read2_b64 v[10:13], v132 offset0:2 offset1:3
	v_cndmask_b32_e64 v14, 0, 1, s[8:9]
	v_cmp_ne_u32_e64 s[4:5], 1, v14
	v_add_co_u32_e64 v14, s[8:9], v120, v135
	v_addc_co_u32_e64 v15, s[8:9], v121, v136, s[8:9]
	s_waitcnt lgkmcnt(0)
	s_barrier
	s_cbranch_vccnz .LBB34_168
; %bb.161:                              ;   in Loop: Header=BB34_148 Depth=1
	v_cmp_gt_i32_e32 vcc, s24, v145
	v_mov_b32_e32 v66, 0
	v_mov_b32_e32 v64, 0
	;; [unrolled: 1-line block ×3, first 2 shown]
	s_and_saveexec_b64 s[8:9], vcc
	s_cbranch_execz .LBB34_163
; %bb.162:                              ;   in Loop: Header=BB34_148 Depth=1
	flat_load_dwordx2 v[64:65], v[14:15]
.LBB34_163:                             ;   in Loop: Header=BB34_148 Depth=1
	s_or_b64 exec, exec, s[8:9]
	v_cmp_gt_i32_e32 vcc, s24, v146
	v_mov_b32_e32 v67, 0
	s_and_saveexec_b64 s[8:9], vcc
	s_cbranch_execz .LBB34_165
; %bb.164:                              ;   in Loop: Header=BB34_148 Depth=1
	v_add_co_u32_e32 v16, vcc, v116, v135
	v_addc_co_u32_e32 v17, vcc, v117, v136, vcc
	flat_load_dwordx2 v[66:67], v[16:17]
.LBB34_165:                             ;   in Loop: Header=BB34_148 Depth=1
	s_or_b64 exec, exec, s[8:9]
	v_cmp_gt_i32_e32 vcc, s24, v147
	v_mov_b32_e32 v68, 0
	v_mov_b32_e32 v69, 0
	s_and_saveexec_b64 s[8:9], vcc
	s_cbranch_execz .LBB34_167
; %bb.166:                              ;   in Loop: Header=BB34_148 Depth=1
	v_add_co_u32_e32 v16, vcc, v124, v135
	v_addc_co_u32_e32 v17, vcc, v125, v136, vcc
	flat_load_dwordx2 v[68:69], v[16:17]
.LBB34_167:                             ;   in Loop: Header=BB34_148 Depth=1
	s_or_b64 exec, exec, s[8:9]
	v_cmp_gt_i32_e64 s[8:9], s24, v148
	s_branch .LBB34_170
.LBB34_168:                             ;   in Loop: Header=BB34_148 Depth=1
	s_mov_b64 s[8:9], 0
                                        ; implicit-def: $vgpr65
                                        ; implicit-def: $vgpr67
                                        ; implicit-def: $vgpr69
	s_cbranch_execz .LBB34_170
; %bb.169:                              ;   in Loop: Header=BB34_148 Depth=1
	s_waitcnt vmcnt(0) lgkmcnt(0)
	flat_load_dwordx2 v[64:65], v[14:15]
	v_add_co_u32_e32 v14, vcc, v116, v135
	v_addc_co_u32_e32 v15, vcc, v117, v136, vcc
	flat_load_dwordx2 v[66:67], v[14:15]
	v_add_co_u32_e32 v14, vcc, v110, v135
	v_addc_co_u32_e32 v15, vcc, v111, v136, vcc
	flat_load_dwordx2 v[68:69], v[14:15]
	s_or_b64 s[8:9], s[8:9], exec
.LBB34_170:                             ;   in Loop: Header=BB34_148 Depth=1
	v_mov_b32_e32 v70, 0
	v_mov_b32_e32 v71, 0
	s_and_saveexec_b64 s[20:21], s[8:9]
	s_cbranch_execz .LBB34_172
; %bb.171:                              ;   in Loop: Header=BB34_148 Depth=1
	v_add_co_u32_e32 v14, vcc, v128, v135
	v_addc_co_u32_e32 v15, vcc, v129, v136, vcc
	flat_load_dwordx2 v[70:71], v[14:15]
.LBB34_172:                             ;   in Loop: Header=BB34_148 Depth=1
	s_or_b64 exec, exec, s[20:21]
	ds_read_b64 v[26:27], v140
	ds_read_b128 v[18:21], v137 offset:128
	ds_read_b128 v[14:17], v137 offset:144
	s_and_b64 vcc, exec, s[4:5]
	s_waitcnt vmcnt(0) lgkmcnt(0)
	v_mul_f32_e32 v28, v65, v27
	v_mul_f32_e32 v29, v65, v26
	;; [unrolled: 1-line block ×4, first 2 shown]
	v_fmac_f32_e32 v28, v64, v26
	v_fma_f32 v29, v64, v27, -v29
	v_fmac_f32_e32 v30, v66, v26
	v_fma_f32 v31, v66, v27, -v31
	ds_write2_b64 v141, v[28:29], v[30:31] offset1:67
	v_mul_f32_e32 v28, v69, v27
	v_mul_f32_e32 v30, v71, v27
	v_fmac_f32_e32 v28, v68, v26
	v_mul_f32_e32 v29, v69, v26
	v_fmac_f32_e32 v30, v70, v26
	v_mul_f32_e32 v26, v71, v26
	v_fma_f32 v29, v68, v27, -v29
	v_fma_f32 v31, v70, v27, -v26
	ds_write2_b64 v141, v[28:29], v[30:31] offset0:134 offset1:201
	s_waitcnt lgkmcnt(0)
	s_barrier
	ds_read2_b64 v[38:41], v132 offset1:1
	ds_read2_b64 v[34:37], v132 offset0:2 offset1:3
	v_add_co_u32_e64 v26, s[8:9], v122, v135
	v_addc_co_u32_e64 v27, s[8:9], v123, v136, s[8:9]
	s_waitcnt lgkmcnt(0)
	s_barrier
	s_cbranch_vccnz .LBB34_180
; %bb.173:                              ;   in Loop: Header=BB34_148 Depth=1
	v_cmp_gt_i32_e32 vcc, s24, v149
	v_mov_b32_e32 v74, 0
	v_mov_b32_e32 v72, 0
	;; [unrolled: 1-line block ×3, first 2 shown]
	s_and_saveexec_b64 s[8:9], vcc
	s_cbranch_execz .LBB34_175
; %bb.174:                              ;   in Loop: Header=BB34_148 Depth=1
	flat_load_dwordx2 v[72:73], v[26:27]
.LBB34_175:                             ;   in Loop: Header=BB34_148 Depth=1
	s_or_b64 exec, exec, s[8:9]
	v_cmp_gt_i32_e32 vcc, s24, v150
	v_mov_b32_e32 v75, 0
	s_and_saveexec_b64 s[8:9], vcc
	s_cbranch_execz .LBB34_177
; %bb.176:                              ;   in Loop: Header=BB34_148 Depth=1
	v_add_co_u32_e32 v28, vcc, v126, v135
	v_addc_co_u32_e32 v29, vcc, v127, v136, vcc
	flat_load_dwordx2 v[74:75], v[28:29]
.LBB34_177:                             ;   in Loop: Header=BB34_148 Depth=1
	s_or_b64 exec, exec, s[8:9]
	v_cmp_gt_i32_e32 vcc, s24, v151
	v_mov_b32_e32 v76, 0
	v_mov_b32_e32 v77, 0
	s_and_saveexec_b64 s[8:9], vcc
	s_cbranch_execz .LBB34_179
; %bb.178:                              ;   in Loop: Header=BB34_148 Depth=1
	v_add_co_u32_e32 v28, vcc, v118, v135
	v_addc_co_u32_e32 v29, vcc, v119, v136, vcc
	flat_load_dwordx2 v[76:77], v[28:29]
.LBB34_179:                             ;   in Loop: Header=BB34_148 Depth=1
	s_or_b64 exec, exec, s[8:9]
	v_cmp_gt_i32_e64 s[8:9], s24, v152
	s_branch .LBB34_182
.LBB34_180:                             ;   in Loop: Header=BB34_148 Depth=1
	s_mov_b64 s[8:9], 0
                                        ; implicit-def: $vgpr73
                                        ; implicit-def: $vgpr75
                                        ; implicit-def: $vgpr77
	s_cbranch_execz .LBB34_182
; %bb.181:                              ;   in Loop: Header=BB34_148 Depth=1
	s_waitcnt vmcnt(0) lgkmcnt(0)
	flat_load_dwordx2 v[72:73], v[26:27]
	v_add_co_u32_e32 v26, vcc, v126, v135
	v_addc_co_u32_e32 v27, vcc, v127, v136, vcc
	flat_load_dwordx2 v[74:75], v[26:27]
	v_add_co_u32_e32 v26, vcc, v130, v135
	v_addc_co_u32_e32 v27, vcc, v131, v136, vcc
	flat_load_dwordx2 v[76:77], v[26:27]
	s_or_b64 s[8:9], s[8:9], exec
.LBB34_182:                             ;   in Loop: Header=BB34_148 Depth=1
	v_mov_b32_e32 v78, 0
	v_mov_b32_e32 v79, 0
	s_and_saveexec_b64 s[20:21], s[8:9]
	s_cbranch_execz .LBB34_184
; %bb.183:                              ;   in Loop: Header=BB34_148 Depth=1
	v_add_co_u32_e32 v26, vcc, v114, v135
	v_addc_co_u32_e32 v27, vcc, v115, v136, vcc
	flat_load_dwordx2 v[78:79], v[26:27]
.LBB34_184:                             ;   in Loop: Header=BB34_148 Depth=1
	s_or_b64 exec, exec, s[20:21]
	ds_read_b64 v[42:43], v140
	ds_read_b128 v[30:33], v137 offset:256
	ds_read_b128 v[26:29], v137 offset:272
	s_and_b64 vcc, exec, s[4:5]
	v_add_co_u32_e64 v86, s[4:5], v92, v135
	s_waitcnt vmcnt(0) lgkmcnt(0)
	v_mul_f32_e32 v44, v73, v43
	v_mul_f32_e32 v45, v73, v42
	;; [unrolled: 1-line block ×4, first 2 shown]
	v_fmac_f32_e32 v44, v72, v42
	v_fma_f32 v45, v72, v43, -v45
	v_fmac_f32_e32 v46, v74, v42
	v_fma_f32 v47, v74, v43, -v47
	ds_write2_b64 v141, v[44:45], v[46:47] offset1:67
	v_mul_f32_e32 v44, v77, v43
	v_mul_f32_e32 v46, v79, v43
	v_fmac_f32_e32 v44, v76, v42
	v_mul_f32_e32 v45, v77, v42
	v_fmac_f32_e32 v46, v78, v42
	v_mul_f32_e32 v42, v79, v42
	v_fma_f32 v45, v76, v43, -v45
	v_fma_f32 v47, v78, v43, -v42
	ds_write2_b64 v141, v[44:45], v[46:47] offset0:134 offset1:201
	s_waitcnt lgkmcnt(0)
	s_barrier
	ds_read2_b64 v[46:49], v132 offset1:1
	ds_read2_b64 v[42:45], v132 offset0:2 offset1:3
	v_addc_co_u32_e64 v87, s[4:5], v93, v136, s[4:5]
	s_waitcnt lgkmcnt(0)
	s_barrier
	s_cbranch_vccnz .LBB34_192
; %bb.185:                              ;   in Loop: Header=BB34_148 Depth=1
	v_cmp_gt_i32_e32 vcc, s24, v153
	v_mov_b32_e32 v82, 0
	v_mov_b32_e32 v80, 0
	;; [unrolled: 1-line block ×3, first 2 shown]
	s_and_saveexec_b64 s[4:5], vcc
	s_cbranch_execz .LBB34_187
; %bb.186:                              ;   in Loop: Header=BB34_148 Depth=1
	flat_load_dwordx2 v[80:81], v[86:87]
.LBB34_187:                             ;   in Loop: Header=BB34_148 Depth=1
	s_or_b64 exec, exec, s[4:5]
	v_cmp_gt_i32_e32 vcc, s24, v154
	v_mov_b32_e32 v83, 0
	s_and_saveexec_b64 s[4:5], vcc
	s_cbranch_execz .LBB34_189
; %bb.188:                              ;   in Loop: Header=BB34_148 Depth=1
	v_add_co_u32_e32 v82, vcc, v106, v135
	v_addc_co_u32_e32 v83, vcc, v107, v136, vcc
	flat_load_dwordx2 v[82:83], v[82:83]
.LBB34_189:                             ;   in Loop: Header=BB34_148 Depth=1
	s_or_b64 exec, exec, s[4:5]
	v_cmp_gt_i32_e32 vcc, s24, v155
	v_mov_b32_e32 v84, 0
	v_mov_b32_e32 v85, 0
	s_and_saveexec_b64 s[4:5], vcc
	s_cbranch_execz .LBB34_191
; %bb.190:                              ;   in Loop: Header=BB34_148 Depth=1
	v_add_co_u32_e32 v84, vcc, v100, v135
	v_addc_co_u32_e32 v85, vcc, v101, v136, vcc
	flat_load_dwordx2 v[84:85], v[84:85]
.LBB34_191:                             ;   in Loop: Header=BB34_148 Depth=1
	s_or_b64 exec, exec, s[4:5]
	v_cmp_gt_i32_e64 s[4:5], s24, v156
	s_branch .LBB34_194
.LBB34_192:                             ;   in Loop: Header=BB34_148 Depth=1
	s_mov_b64 s[4:5], 0
                                        ; implicit-def: $vgpr81
                                        ; implicit-def: $vgpr83
                                        ; implicit-def: $vgpr85
	s_cbranch_execz .LBB34_194
; %bb.193:                              ;   in Loop: Header=BB34_148 Depth=1
	s_waitcnt vmcnt(0) lgkmcnt(0)
	v_add_co_u32_e32 v82, vcc, v106, v135
	v_addc_co_u32_e32 v83, vcc, v107, v136, vcc
	v_add_co_u32_e32 v84, vcc, v112, v135
	v_addc_co_u32_e32 v85, vcc, v113, v136, vcc
	flat_load_dwordx2 v[80:81], v[86:87]
	s_or_b64 s[4:5], s[4:5], exec
	flat_load_dwordx2 v[82:83], v[82:83]
	s_nop 0
	flat_load_dwordx2 v[84:85], v[84:85]
.LBB34_194:                             ;   in Loop: Header=BB34_148 Depth=1
	v_mov_b32_e32 v86, 0
	v_mov_b32_e32 v87, 0
	s_and_saveexec_b64 s[8:9], s[4:5]
	s_cbranch_execz .LBB34_196
; %bb.195:                              ;   in Loop: Header=BB34_148 Depth=1
	v_add_co_u32_e32 v86, vcc, v96, v135
	v_addc_co_u32_e32 v87, vcc, v97, v136, vcc
	flat_load_dwordx2 v[86:87], v[86:87]
.LBB34_196:                             ;   in Loop: Header=BB34_148 Depth=1
	s_or_b64 exec, exec, s[8:9]
	v_add_f32_e32 v38, 0, v38
	v_add_f32_e32 v39, 0, v39
	;; [unrolled: 1-line block ×6, first 2 shown]
	ds_read_b64 v[38:39], v140
	v_add_f32_e32 v46, 0, v46
	v_add_f32_e32 v47, 0, v47
	;; [unrolled: 1-line block ×7, first 2 shown]
	s_waitcnt vmcnt(0) lgkmcnt(0)
	v_mul_f32_e32 v40, v81, v39
	v_mul_f32_e32 v41, v81, v38
	;; [unrolled: 1-line block ×4, first 2 shown]
	v_add_f32_e32 v23, 0, v23
	v_add_f32_e32 v22, v22, v24
	v_fmac_f32_e32 v40, v80, v38
	v_fma_f32 v41, v80, v39, -v41
	v_fmac_f32_e32 v46, v82, v38
	v_fma_f32 v47, v82, v39, -v47
	v_add_f32_e32 v42, v42, v44
	v_add_f32_e32 v43, v43, v45
	;; [unrolled: 1-line block ×6, first 2 shown]
	ds_read_b128 v[34:37], v137 offset:384
	ds_read_b128 v[22:25], v137 offset:400
	ds_write2_b64 v141, v[40:41], v[46:47] offset1:67
	v_mul_f32_e32 v40, v85, v39
	v_mul_f32_e32 v46, v87, v39
	v_fmac_f32_e32 v40, v84, v38
	v_mul_f32_e32 v41, v85, v38
	v_fmac_f32_e32 v46, v86, v38
	v_mul_f32_e32 v38, v87, v38
	v_fma_f32 v41, v84, v39, -v41
	v_fma_f32 v47, v86, v39, -v38
	ds_write2_b64 v141, v[40:41], v[46:47] offset0:134 offset1:201
	s_waitcnt lgkmcnt(0)
	s_barrier
	ds_read2_b64 v[38:41], v132 offset1:1
	v_add_f32_e32 v11, v48, v11
	v_add_f32_e32 v46, v10, v12
	;; [unrolled: 1-line block ×3, first 2 shown]
	ds_read2_b64 v[10:13], v132 offset0:2 offset1:3
	s_waitcnt lgkmcnt(1)
	v_add_f32_e32 v38, 0, v38
	v_add_f32_e32 v39, 0, v39
	v_cmp_gt_i32_e32 vcc, s24, v0
	v_add_f32_e32 v38, v38, v40
	v_add_f32_e32 v39, v39, v41
	s_or_b64 s[4:5], s[14:15], vcc
	s_waitcnt lgkmcnt(0)
	v_add_f32_e32 v10, v38, v10
	v_add_f32_e32 v11, v39, v11
	s_and_b64 s[8:9], s[2:3], s[4:5]
	v_add_f32_e32 v10, v10, v12
	v_add_f32_e32 v11, v11, v13
	s_barrier
	ds_write2_b64 v138, v[46:47], v[44:45] offset1:16
	ds_write2_b64 v138, v[42:43], v[10:11] offset0:32 offset1:48
	s_waitcnt lgkmcnt(0)
	s_barrier
	s_and_saveexec_b64 s[4:5], s[8:9]
	s_cbranch_execz .LBB34_198
; %bb.197:                              ;   in Loop: Header=BB34_148 Depth=1
	ds_read_b64 v[42:43], v133
	ds_read2_b64 v[10:13], v133 offset0:1 offset1:2
	ds_read2_b64 v[38:41], v133 offset0:3 offset1:4
	v_ashrrev_i32_e32 v54, 31, v53
	s_waitcnt lgkmcnt(1)
	v_add_f32_e32 v10, v10, v42
	v_add_f32_e32 v11, v11, v43
	;; [unrolled: 1-line block ×4, first 2 shown]
	ds_read2_b64 v[10:13], v133 offset0:5 offset1:6
	s_waitcnt lgkmcnt(1)
	v_add_f32_e32 v38, v42, v38
	v_add_f32_e32 v39, v43, v39
	;; [unrolled: 1-line block ×4, first 2 shown]
	s_waitcnt lgkmcnt(0)
	v_add_f32_e32 v10, v38, v10
	ds_read2_b64 v[38:41], v133 offset0:7 offset1:8
	v_add_f32_e32 v11, v42, v11
	v_add_f32_e32 v42, v10, v12
	;; [unrolled: 1-line block ×3, first 2 shown]
	ds_read2_b64 v[10:13], v133 offset0:9 offset1:10
	s_waitcnt lgkmcnt(1)
	v_add_f32_e32 v38, v42, v38
	v_add_f32_e32 v39, v43, v39
	v_add_f32_e32 v38, v38, v40
	v_add_f32_e32 v42, v39, v41
	s_waitcnt lgkmcnt(0)
	v_add_f32_e32 v10, v38, v10
	ds_read2_b64 v[38:41], v133 offset0:11 offset1:12
	v_add_f32_e32 v11, v42, v11
	v_add_f32_e32 v42, v10, v12
	;; [unrolled: 1-line block ×3, first 2 shown]
	ds_read2_b64 v[10:13], v133 offset0:13 offset1:14
	s_waitcnt lgkmcnt(1)
	v_add_f32_e32 v38, v42, v38
	v_add_f32_e32 v39, v43, v39
	;; [unrolled: 1-line block ×4, first 2 shown]
	ds_read_b64 v[38:39], v134
	s_waitcnt lgkmcnt(1)
	v_add_f32_e32 v10, v40, v10
	v_add_f32_e32 v11, v41, v11
	v_add_f32_e32 v10, v10, v12
	v_add_f32_e32 v11, v11, v13
	v_lshlrev_b64 v[12:13], 3, v[53:54]
	s_waitcnt lgkmcnt(0)
	v_add_f32_e32 v10, v10, v38
	v_mov_b32_e32 v38, s22
	v_add_co_u32_e32 v12, vcc, s17, v12
	v_add_f32_e32 v11, v11, v39
	v_addc_co_u32_e32 v13, vcc, v38, v13, vcc
	global_store_dwordx2 v[12:13], v[10:11], off
.LBB34_198:                             ;   in Loop: Header=BB34_148 Depth=1
	s_or_b64 exec, exec, s[4:5]
	v_mul_f32_e32 v10, v57, v7
	v_fma_f32 v10, v56, v6, -v10
	v_mul_f32_e32 v11, v59, v9
	v_mul_f32_e32 v7, v56, v7
	v_add_f32_e32 v10, v51, v10
	v_fma_f32 v11, v58, v8, -v11
	v_mul_f32_e32 v9, v58, v9
	v_add_f32_e32 v10, v10, v11
	v_mul_f32_e32 v11, v61, v3
	v_fmac_f32_e32 v7, v57, v6
	v_fma_f32 v11, v60, v2, -v11
	v_mul_f32_e32 v3, v60, v3
	v_add_f32_e32 v6, v52, v7
	v_fmac_f32_e32 v9, v59, v8
	v_add_f32_e32 v10, v10, v11
	v_mul_f32_e32 v11, v63, v5
	v_mul_f32_e32 v5, v62, v5
	v_add_f32_e32 v6, v6, v9
	v_fmac_f32_e32 v3, v61, v2
	v_fma_f32 v11, v62, v4, -v11
	v_add_f32_e32 v2, v6, v3
	v_fmac_f32_e32 v5, v63, v4
	v_mul_f32_e32 v3, v65, v19
	v_add_f32_e32 v10, v10, v11
	v_add_f32_e32 v2, v2, v5
	v_fma_f32 v3, v64, v18, -v3
	v_mul_f32_e32 v5, v67, v21
	v_add_f32_e32 v3, v10, v3
	v_fma_f32 v5, v66, v20, -v5
	v_mul_f32_e32 v4, v64, v19
	v_add_f32_e32 v3, v3, v5
	v_mul_f32_e32 v5, v69, v15
	v_mul_f32_e32 v6, v66, v21
	v_fma_f32 v5, v68, v14, -v5
	v_fmac_f32_e32 v4, v65, v18
	v_mul_f32_e32 v7, v68, v15
	v_add_f32_e32 v3, v3, v5
	v_mul_f32_e32 v5, v71, v17
	v_add_f32_e32 v2, v2, v4
	v_fmac_f32_e32 v6, v67, v20
	v_fma_f32 v5, v70, v16, -v5
	v_mul_f32_e32 v8, v70, v17
	v_add_f32_e32 v2, v2, v6
	v_fmac_f32_e32 v7, v69, v14
	v_add_f32_e32 v3, v3, v5
	v_add_f32_e32 v2, v2, v7
	v_fmac_f32_e32 v8, v71, v16
	v_mul_f32_e32 v5, v72, v31
	v_add_f32_e32 v2, v2, v8
	v_mul_f32_e32 v6, v74, v33
	v_fmac_f32_e32 v5, v73, v30
	v_mul_f32_e32 v7, v76, v27
	v_add_f32_e32 v2, v2, v5
	v_fmac_f32_e32 v6, v75, v32
	v_mul_f32_e32 v8, v78, v29
	v_add_f32_e32 v2, v2, v6
	v_fmac_f32_e32 v7, v77, v26
	v_add_f32_e32 v2, v2, v7
	v_fmac_f32_e32 v8, v79, v28
	v_mul_f32_e32 v5, v80, v35
	v_add_f32_e32 v2, v2, v8
	v_mul_f32_e32 v6, v82, v37
	v_fmac_f32_e32 v5, v81, v34
	v_mul_f32_e32 v7, v84, v23
	v_fmac_f32_e32 v6, v83, v36
	v_add_f32_e32 v2, v2, v5
	v_mul_f32_e32 v8, v86, v25
	v_fmac_f32_e32 v7, v85, v22
	v_add_f32_e32 v2, v2, v6
	v_fmac_f32_e32 v8, v87, v24
	v_add_f32_e32 v2, v2, v7
	v_add_f32_e32 v52, v2, v8
	v_mov_b32_e32 v2, s13
	v_add_co_u32_e32 v94, vcc, s12, v94
	v_addc_co_u32_e32 v95, vcc, v95, v2, vcc
	v_add_co_u32_e32 v96, vcc, s12, v96
	v_addc_co_u32_e32 v97, vcc, v97, v2, vcc
	;; [unrolled: 2-line block ×11, first 2 shown]
	v_add_co_u32_e32 v114, vcc, s12, v114
	v_mul_f32_e32 v4, v73, v31
	v_addc_co_u32_e32 v115, vcc, v115, v2, vcc
	v_fma_f32 v4, v72, v30, -v4
	v_add_co_u32_e32 v116, vcc, s12, v116
	v_add_f32_e32 v3, v3, v4
	v_mul_f32_e32 v4, v75, v33
	v_addc_co_u32_e32 v117, vcc, v117, v2, vcc
	v_fma_f32 v4, v74, v32, -v4
	v_add_co_u32_e32 v118, vcc, s12, v118
	v_add_f32_e32 v3, v3, v4
	;; [unrolled: 5-line block ×7, first 2 shown]
	v_mul_f32_e32 v4, v87, v25
	v_addc_co_u32_e32 v129, vcc, v129, v2, vcc
	v_fma_f32 v4, v86, v24, -v4
	s_add_i32 s4, s6, 1
	s_add_i32 s10, s10, s26
	;; [unrolled: 1-line block ×3, first 2 shown]
	v_add_co_u32_e32 v130, vcc, s12, v130
	v_add_f32_e32 v51, v3, v4
	v_add_u32_e32 v53, 64, v53
	s_cmp_ge_u32 s5, s7
	v_addc_co_u32_e32 v131, vcc, v131, v2, vcc
	s_waitcnt vmcnt(0)
	s_barrier
	s_cbranch_scc0 .LBB34_143
.LBB34_199:
	s_movk_i32 s2, 0x218
	v_cmp_gt_i32_e32 vcc, s16, v0
	v_mad_u32_u24 v1, v1, s2, v88
	s_or_b64 s[2:3], s[18:19], vcc
	s_and_b64 s[0:1], s[0:1], s[2:3]
	ds_write_b64 v1, v[51:52]
	s_waitcnt lgkmcnt(0)
	s_barrier
	s_and_saveexec_b64 s[2:3], s[0:1]
	s_cbranch_execz .LBB34_201
; %bb.200:
	ds_read2_b64 v[0:3], v88 offset1:67
	ds_read2_b64 v[4:7], v88 offset0:134 offset1:201
	v_ashrrev_i32_e32 v51, 31, v50
	s_waitcnt lgkmcnt(1)
	v_add_f32_e32 v0, v2, v0
	v_add_f32_e32 v1, v3, v1
	v_lshlrev_b64 v[2:3], 3, v[50:51]
	s_waitcnt lgkmcnt(0)
	v_add_f32_e32 v0, v4, v0
	v_add_f32_e32 v1, v5, v1
	v_mov_b32_e32 v4, s22
	v_add_co_u32_e32 v2, vcc, s17, v2
	v_add_f32_e32 v0, v0, v6
	v_add_f32_e32 v1, v1, v7
	v_addc_co_u32_e32 v3, vcc, v4, v3, vcc
	global_store_dwordx2 v[2:3], v[0:1], off
.LBB34_201:
	s_endpgm
	.section	.rodata,"a",@progbits
	.p2align	6, 0x0
	.amdhsa_kernel _ZL26rocblas_hemvn_kernel_upperILb1ELi64ELi4ELi33ELi32ELi16EiPK19rocblas_complex_numIfEPKS3_PS1_EviT6_lT7_lT5_lS8_lS9_lS7_lT8_i
		.amdhsa_group_segment_fixed_size 9600
		.amdhsa_private_segment_fixed_size 0
		.amdhsa_kernarg_size 376
		.amdhsa_user_sgpr_count 6
		.amdhsa_user_sgpr_private_segment_buffer 1
		.amdhsa_user_sgpr_dispatch_ptr 0
		.amdhsa_user_sgpr_queue_ptr 0
		.amdhsa_user_sgpr_kernarg_segment_ptr 1
		.amdhsa_user_sgpr_dispatch_id 0
		.amdhsa_user_sgpr_flat_scratch_init 0
		.amdhsa_user_sgpr_private_segment_size 0
		.amdhsa_uses_dynamic_stack 0
		.amdhsa_system_sgpr_private_segment_wavefront_offset 0
		.amdhsa_system_sgpr_workgroup_id_x 1
		.amdhsa_system_sgpr_workgroup_id_y 0
		.amdhsa_system_sgpr_workgroup_id_z 1
		.amdhsa_system_sgpr_workgroup_info 0
		.amdhsa_system_vgpr_workitem_id 1
		.amdhsa_next_free_vgpr 157
		.amdhsa_next_free_sgpr 93
		.amdhsa_reserve_vcc 1
		.amdhsa_reserve_flat_scratch 0
		.amdhsa_float_round_mode_32 0
		.amdhsa_float_round_mode_16_64 0
		.amdhsa_float_denorm_mode_32 3
		.amdhsa_float_denorm_mode_16_64 3
		.amdhsa_dx10_clamp 1
		.amdhsa_ieee_mode 1
		.amdhsa_fp16_overflow 0
		.amdhsa_exception_fp_ieee_invalid_op 0
		.amdhsa_exception_fp_denorm_src 0
		.amdhsa_exception_fp_ieee_div_zero 0
		.amdhsa_exception_fp_ieee_overflow 0
		.amdhsa_exception_fp_ieee_underflow 0
		.amdhsa_exception_fp_ieee_inexact 0
		.amdhsa_exception_int_div_zero 0
	.end_amdhsa_kernel
	.section	.text._ZL26rocblas_hemvn_kernel_upperILb1ELi64ELi4ELi33ELi32ELi16EiPK19rocblas_complex_numIfEPKS3_PS1_EviT6_lT7_lT5_lS8_lS9_lS7_lT8_i,"axG",@progbits,_ZL26rocblas_hemvn_kernel_upperILb1ELi64ELi4ELi33ELi32ELi16EiPK19rocblas_complex_numIfEPKS3_PS1_EviT6_lT7_lT5_lS8_lS9_lS7_lT8_i,comdat
.Lfunc_end34:
	.size	_ZL26rocblas_hemvn_kernel_upperILb1ELi64ELi4ELi33ELi32ELi16EiPK19rocblas_complex_numIfEPKS3_PS1_EviT6_lT7_lT5_lS8_lS9_lS7_lT8_i, .Lfunc_end34-_ZL26rocblas_hemvn_kernel_upperILb1ELi64ELi4ELi33ELi32ELi16EiPK19rocblas_complex_numIfEPKS3_PS1_EviT6_lT7_lT5_lS8_lS9_lS7_lT8_i
                                        ; -- End function
	.set _ZL26rocblas_hemvn_kernel_upperILb1ELi64ELi4ELi33ELi32ELi16EiPK19rocblas_complex_numIfEPKS3_PS1_EviT6_lT7_lT5_lS8_lS9_lS7_lT8_i.num_vgpr, 157
	.set _ZL26rocblas_hemvn_kernel_upperILb1ELi64ELi4ELi33ELi32ELi16EiPK19rocblas_complex_numIfEPKS3_PS1_EviT6_lT7_lT5_lS8_lS9_lS7_lT8_i.num_agpr, 0
	.set _ZL26rocblas_hemvn_kernel_upperILb1ELi64ELi4ELi33ELi32ELi16EiPK19rocblas_complex_numIfEPKS3_PS1_EviT6_lT7_lT5_lS8_lS9_lS7_lT8_i.numbered_sgpr, 44
	.set _ZL26rocblas_hemvn_kernel_upperILb1ELi64ELi4ELi33ELi32ELi16EiPK19rocblas_complex_numIfEPKS3_PS1_EviT6_lT7_lT5_lS8_lS9_lS7_lT8_i.num_named_barrier, 0
	.set _ZL26rocblas_hemvn_kernel_upperILb1ELi64ELi4ELi33ELi32ELi16EiPK19rocblas_complex_numIfEPKS3_PS1_EviT6_lT7_lT5_lS8_lS9_lS7_lT8_i.private_seg_size, 0
	.set _ZL26rocblas_hemvn_kernel_upperILb1ELi64ELi4ELi33ELi32ELi16EiPK19rocblas_complex_numIfEPKS3_PS1_EviT6_lT7_lT5_lS8_lS9_lS7_lT8_i.uses_vcc, 1
	.set _ZL26rocblas_hemvn_kernel_upperILb1ELi64ELi4ELi33ELi32ELi16EiPK19rocblas_complex_numIfEPKS3_PS1_EviT6_lT7_lT5_lS8_lS9_lS7_lT8_i.uses_flat_scratch, 0
	.set _ZL26rocblas_hemvn_kernel_upperILb1ELi64ELi4ELi33ELi32ELi16EiPK19rocblas_complex_numIfEPKS3_PS1_EviT6_lT7_lT5_lS8_lS9_lS7_lT8_i.has_dyn_sized_stack, 0
	.set _ZL26rocblas_hemvn_kernel_upperILb1ELi64ELi4ELi33ELi32ELi16EiPK19rocblas_complex_numIfEPKS3_PS1_EviT6_lT7_lT5_lS8_lS9_lS7_lT8_i.has_recursion, 0
	.set _ZL26rocblas_hemvn_kernel_upperILb1ELi64ELi4ELi33ELi32ELi16EiPK19rocblas_complex_numIfEPKS3_PS1_EviT6_lT7_lT5_lS8_lS9_lS7_lT8_i.has_indirect_call, 0
	.section	.AMDGPU.csdata,"",@progbits
; Kernel info:
; codeLenInByte = 9076
; TotalNumSgprs: 48
; NumVgprs: 157
; ScratchSize: 0
; MemoryBound: 1
; FloatMode: 240
; IeeeMode: 1
; LDSByteSize: 9600 bytes/workgroup (compile time only)
; SGPRBlocks: 12
; VGPRBlocks: 39
; NumSGPRsForWavesPerEU: 97
; NumVGPRsForWavesPerEU: 157
; Occupancy: 1
; WaveLimiterHint : 1
; COMPUTE_PGM_RSRC2:SCRATCH_EN: 0
; COMPUTE_PGM_RSRC2:USER_SGPR: 6
; COMPUTE_PGM_RSRC2:TRAP_HANDLER: 0
; COMPUTE_PGM_RSRC2:TGID_X_EN: 1
; COMPUTE_PGM_RSRC2:TGID_Y_EN: 0
; COMPUTE_PGM_RSRC2:TGID_Z_EN: 1
; COMPUTE_PGM_RSRC2:TIDIG_COMP_CNT: 1
	.section	.text._ZL36rocblas_hemvn_kernel_upper_block_sumILi64EiPK19rocblas_complex_numIfEPKPS1_S1_EviT1_lS7_lT2_lT0_lPT3_i,"axG",@progbits,_ZL36rocblas_hemvn_kernel_upper_block_sumILi64EiPK19rocblas_complex_numIfEPKPS1_S1_EviT1_lS7_lT2_lT0_lPT3_i,comdat
	.globl	_ZL36rocblas_hemvn_kernel_upper_block_sumILi64EiPK19rocblas_complex_numIfEPKPS1_S1_EviT1_lS7_lT2_lT0_lPT3_i ; -- Begin function _ZL36rocblas_hemvn_kernel_upper_block_sumILi64EiPK19rocblas_complex_numIfEPKPS1_S1_EviT1_lS7_lT2_lT0_lPT3_i
	.p2align	8
	.type	_ZL36rocblas_hemvn_kernel_upper_block_sumILi64EiPK19rocblas_complex_numIfEPKPS1_S1_EviT1_lS7_lT2_lT0_lPT3_i,@function
_ZL36rocblas_hemvn_kernel_upper_block_sumILi64EiPK19rocblas_complex_numIfEPKPS1_S1_EviT1_lS7_lT2_lT0_lPT3_i: ; @_ZL36rocblas_hemvn_kernel_upper_block_sumILi64EiPK19rocblas_complex_numIfEPKPS1_S1_EviT1_lS7_lT2_lT0_lPT3_i
; %bb.0:
	s_load_dwordx8 s[12:19], s[4:5], 0x8
	s_mov_b32 s10, s7
	s_mov_b32 s11, 0
	s_waitcnt lgkmcnt(0)
	s_mul_i32 s0, s15, s7
	s_mul_hi_u32 s1, s14, s7
	s_add_i32 s1, s1, s0
	s_mul_i32 s0, s14, s7
	s_lshl_b64 s[0:1], s[0:1], 3
	s_add_u32 s0, s12, s0
	s_addc_u32 s1, s13, s1
	s_load_dwordx2 s[8:9], s[0:1], 0x0
	s_mul_i32 s0, s19, s7
	s_mul_hi_u32 s1, s18, s7
	s_add_i32 s1, s1, s0
	s_mul_i32 s0, s18, s7
	s_lshl_b64 s[0:1], s[0:1], 3
	s_add_u32 s0, s16, s0
	s_addc_u32 s1, s17, s1
	s_load_dwordx2 s[2:3], s[0:1], 0x0
	s_waitcnt lgkmcnt(0)
	s_or_b32 s0, s8, s9
	s_and_b32 s7, s0, 0x7fffffff
	s_cmp_eq_u32 s7, 0
	s_cselect_b64 s[0:1], -1, 0
	s_cmp_lg_u32 s7, 0
	s_mov_b64 s[12:13], -1
	s_cbranch_scc1 .LBB35_2
; %bb.1:
	v_cmp_neq_f32_e64 s[12:13], s2, 1.0
	v_cmp_neq_f32_e64 s[14:15], s3, 0
	s_or_b64 s[12:13], s[12:13], s[14:15]
.LBB35_2:
	s_andn2_b64 vcc, exec, s[12:13]
	s_cbranch_vccnz .LBB35_19
; %bb.3:
	s_load_dwordx4 s[20:23], s[4:5], 0x28
	s_load_dword s16, s[4:5], 0x38
	s_load_dword s12, s[4:5], 0x0
	s_lshl_b64 s[14:15], s[10:11], 3
	v_lshl_or_b32 v0, s6, 6, v0
	s_waitcnt lgkmcnt(0)
	s_add_u32 s14, s20, s14
	s_addc_u32 s15, s21, s15
	s_load_dwordx2 s[18:19], s[14:15], 0x0
	s_lshl_b64 s[20:21], s[22:23], 3
	s_mov_b64 s[14:15], -1
	s_waitcnt lgkmcnt(0)
	s_add_u32 s7, s18, s20
	s_addc_u32 s11, s19, s21
	s_andn2_b64 vcc, exec, s[0:1]
	v_cmp_gt_i32_e64 s[0:1], s12, v0
	s_cbranch_vccnz .LBB35_9
; %bb.4:
	s_and_saveexec_b64 s[14:15], s[0:1]
	s_cbranch_execz .LBB35_8
; %bb.5:
	v_mul_lo_u32 v2, s16, v0
	v_cmp_neq_f32_e64 s[0:1], s2, 0
	v_cmp_neq_f32_e64 s[18:19], s3, 0
	s_or_b64 s[0:1], s[0:1], s[18:19]
	v_ashrrev_i32_e32 v3, 31, v2
	v_lshlrev_b64 v[3:4], 3, v[2:3]
	v_mov_b32_e32 v1, 0
	s_andn2_b64 vcc, exec, s[0:1]
	v_mov_b32_e32 v2, 0
	s_cbranch_vccnz .LBB35_7
; %bb.6:
	v_mov_b32_e32 v2, s11
	v_add_co_u32_e32 v1, vcc, s7, v3
	v_addc_co_u32_e32 v2, vcc, v2, v4, vcc
	flat_load_dwordx2 v[5:6], v[1:2]
	s_waitcnt vmcnt(0) lgkmcnt(0)
	v_mul_f32_e32 v1, s3, v6
	v_mul_f32_e32 v2, s2, v6
	v_fma_f32 v1, v5, s2, -v1
	v_fmac_f32_e32 v2, s3, v5
.LBB35_7:
	v_mov_b32_e32 v5, s11
	v_add_co_u32_e32 v3, vcc, s7, v3
	v_addc_co_u32_e32 v4, vcc, v5, v4, vcc
	flat_store_dwordx2 v[3:4], v[1:2]
.LBB35_8:
	s_or_b64 exec, exec, s[14:15]
	s_mov_b64 s[14:15], 0
.LBB35_9:
	s_andn2_b64 vcc, exec, s[14:15]
	s_cbranch_vccnz .LBB35_19
; %bb.10:
	v_cmp_gt_i32_e32 vcc, s12, v0
	s_and_saveexec_b64 s[0:1], vcc
	s_cbranch_execz .LBB35_19
; %bb.11:
	v_mov_b32_e32 v1, 0
	s_cmp_lt_i32 s6, 0
	v_mov_b32_e32 v4, 0
	s_cbranch_scc1 .LBB35_14
; %bb.12:
	s_load_dwordx2 s[0:1], s[4:5], 0x48
	s_load_dword s14, s[4:5], 0x58
	s_ashr_i32 s13, s12, 31
	s_add_i32 s4, s6, 1
	s_mul_hi_u32 s5, s12, s10
	s_mul_i32 s6, s13, s10
	s_add_i32 s5, s5, s6
	s_mul_i32 s6, s12, s10
	s_waitcnt lgkmcnt(0)
	s_mul_i32 s5, s5, s14
	s_mul_hi_u32 s10, s6, s14
	s_add_i32 s15, s10, s5
	s_mul_i32 s14, s6, s14
	v_mov_b32_e32 v1, 0
	s_lshl_b64 s[14:15], s[14:15], 3
	v_lshlrev_b64 v[2:3], 3, v[0:1]
	s_add_u32 s0, s0, s14
	s_addc_u32 s1, s1, s15
	v_mov_b32_e32 v4, s1
	v_add_co_u32_e32 v2, vcc, s0, v2
	v_addc_co_u32_e32 v3, vcc, v4, v3, vcc
	v_add_co_u32_e32 v2, vcc, 4, v2
	s_lshl_b64 s[0:1], s[12:13], 3
	v_addc_co_u32_e32 v3, vcc, 0, v3, vcc
	v_mov_b32_e32 v5, s1
	v_mov_b32_e32 v4, v1
.LBB35_13:                              ; =>This Inner Loop Header: Depth=1
	global_load_dwordx2 v[6:7], v[2:3], off offset:-4
	s_add_i32 s4, s4, -1
	v_add_co_u32_e32 v2, vcc, s0, v2
	v_addc_co_u32_e32 v3, vcc, v3, v5, vcc
	s_cmp_eq_u32 s4, 0
	s_waitcnt vmcnt(0)
	v_add_f32_e32 v4, v4, v6
	v_add_f32_e32 v1, v1, v7
	s_cbranch_scc0 .LBB35_13
.LBB35_14:
	v_mul_lo_u32 v2, s16, v0
	v_cmp_neq_f32_e64 s[0:1], s2, 0
	v_cmp_neq_f32_e64 s[4:5], s3, 0
	s_or_b64 s[0:1], s[0:1], s[4:5]
	v_mul_f32_e32 v3, s9, v1
	v_mul_f32_e32 v1, s8, v1
	s_andn2_b64 vcc, exec, s[0:1]
	v_fma_f32 v0, v4, s8, -v3
	v_fmac_f32_e32 v1, s9, v4
	v_ashrrev_i32_e32 v3, 31, v2
	s_cbranch_vccz .LBB35_16
; %bb.15:
	s_cbranch_execz .LBB35_17
	s_branch .LBB35_18
.LBB35_16:
.LBB35_17:
	v_lshlrev_b64 v[4:5], 3, v[2:3]
	v_mov_b32_e32 v6, s11
	v_add_co_u32_e32 v4, vcc, s7, v4
	v_addc_co_u32_e32 v5, vcc, v6, v5, vcc
	flat_load_dwordx2 v[4:5], v[4:5]
	s_waitcnt vmcnt(0) lgkmcnt(0)
	v_mul_f32_e32 v6, s3, v5
	v_mul_f32_e32 v5, s2, v5
	v_fma_f32 v6, v4, s2, -v6
	v_fmac_f32_e32 v5, s3, v4
	v_add_f32_e32 v0, v0, v6
	v_add_f32_e32 v1, v1, v5
.LBB35_18:
	v_lshlrev_b64 v[2:3], 3, v[2:3]
	v_mov_b32_e32 v4, s11
	v_add_co_u32_e32 v2, vcc, s7, v2
	v_addc_co_u32_e32 v3, vcc, v4, v3, vcc
	flat_store_dwordx2 v[2:3], v[0:1]
.LBB35_19:
	s_endpgm
	.section	.rodata,"a",@progbits
	.p2align	6, 0x0
	.amdhsa_kernel _ZL36rocblas_hemvn_kernel_upper_block_sumILi64EiPK19rocblas_complex_numIfEPKPS1_S1_EviT1_lS7_lT2_lT0_lPT3_i
		.amdhsa_group_segment_fixed_size 0
		.amdhsa_private_segment_fixed_size 0
		.amdhsa_kernarg_size 344
		.amdhsa_user_sgpr_count 6
		.amdhsa_user_sgpr_private_segment_buffer 1
		.amdhsa_user_sgpr_dispatch_ptr 0
		.amdhsa_user_sgpr_queue_ptr 0
		.amdhsa_user_sgpr_kernarg_segment_ptr 1
		.amdhsa_user_sgpr_dispatch_id 0
		.amdhsa_user_sgpr_flat_scratch_init 0
		.amdhsa_user_sgpr_private_segment_size 0
		.amdhsa_uses_dynamic_stack 0
		.amdhsa_system_sgpr_private_segment_wavefront_offset 0
		.amdhsa_system_sgpr_workgroup_id_x 1
		.amdhsa_system_sgpr_workgroup_id_y 0
		.amdhsa_system_sgpr_workgroup_id_z 1
		.amdhsa_system_sgpr_workgroup_info 0
		.amdhsa_system_vgpr_workitem_id 0
		.amdhsa_next_free_vgpr 8
		.amdhsa_next_free_sgpr 24
		.amdhsa_reserve_vcc 1
		.amdhsa_reserve_flat_scratch 0
		.amdhsa_float_round_mode_32 0
		.amdhsa_float_round_mode_16_64 0
		.amdhsa_float_denorm_mode_32 3
		.amdhsa_float_denorm_mode_16_64 3
		.amdhsa_dx10_clamp 1
		.amdhsa_ieee_mode 1
		.amdhsa_fp16_overflow 0
		.amdhsa_exception_fp_ieee_invalid_op 0
		.amdhsa_exception_fp_denorm_src 0
		.amdhsa_exception_fp_ieee_div_zero 0
		.amdhsa_exception_fp_ieee_overflow 0
		.amdhsa_exception_fp_ieee_underflow 0
		.amdhsa_exception_fp_ieee_inexact 0
		.amdhsa_exception_int_div_zero 0
	.end_amdhsa_kernel
	.section	.text._ZL36rocblas_hemvn_kernel_upper_block_sumILi64EiPK19rocblas_complex_numIfEPKPS1_S1_EviT1_lS7_lT2_lT0_lPT3_i,"axG",@progbits,_ZL36rocblas_hemvn_kernel_upper_block_sumILi64EiPK19rocblas_complex_numIfEPKPS1_S1_EviT1_lS7_lT2_lT0_lPT3_i,comdat
.Lfunc_end35:
	.size	_ZL36rocblas_hemvn_kernel_upper_block_sumILi64EiPK19rocblas_complex_numIfEPKPS1_S1_EviT1_lS7_lT2_lT0_lPT3_i, .Lfunc_end35-_ZL36rocblas_hemvn_kernel_upper_block_sumILi64EiPK19rocblas_complex_numIfEPKPS1_S1_EviT1_lS7_lT2_lT0_lPT3_i
                                        ; -- End function
	.set _ZL36rocblas_hemvn_kernel_upper_block_sumILi64EiPK19rocblas_complex_numIfEPKPS1_S1_EviT1_lS7_lT2_lT0_lPT3_i.num_vgpr, 8
	.set _ZL36rocblas_hemvn_kernel_upper_block_sumILi64EiPK19rocblas_complex_numIfEPKPS1_S1_EviT1_lS7_lT2_lT0_lPT3_i.num_agpr, 0
	.set _ZL36rocblas_hemvn_kernel_upper_block_sumILi64EiPK19rocblas_complex_numIfEPKPS1_S1_EviT1_lS7_lT2_lT0_lPT3_i.numbered_sgpr, 24
	.set _ZL36rocblas_hemvn_kernel_upper_block_sumILi64EiPK19rocblas_complex_numIfEPKPS1_S1_EviT1_lS7_lT2_lT0_lPT3_i.num_named_barrier, 0
	.set _ZL36rocblas_hemvn_kernel_upper_block_sumILi64EiPK19rocblas_complex_numIfEPKPS1_S1_EviT1_lS7_lT2_lT0_lPT3_i.private_seg_size, 0
	.set _ZL36rocblas_hemvn_kernel_upper_block_sumILi64EiPK19rocblas_complex_numIfEPKPS1_S1_EviT1_lS7_lT2_lT0_lPT3_i.uses_vcc, 1
	.set _ZL36rocblas_hemvn_kernel_upper_block_sumILi64EiPK19rocblas_complex_numIfEPKPS1_S1_EviT1_lS7_lT2_lT0_lPT3_i.uses_flat_scratch, 0
	.set _ZL36rocblas_hemvn_kernel_upper_block_sumILi64EiPK19rocblas_complex_numIfEPKPS1_S1_EviT1_lS7_lT2_lT0_lPT3_i.has_dyn_sized_stack, 0
	.set _ZL36rocblas_hemvn_kernel_upper_block_sumILi64EiPK19rocblas_complex_numIfEPKPS1_S1_EviT1_lS7_lT2_lT0_lPT3_i.has_recursion, 0
	.set _ZL36rocblas_hemvn_kernel_upper_block_sumILi64EiPK19rocblas_complex_numIfEPKPS1_S1_EviT1_lS7_lT2_lT0_lPT3_i.has_indirect_call, 0
	.section	.AMDGPU.csdata,"",@progbits
; Kernel info:
; codeLenInByte = 736
; TotalNumSgprs: 28
; NumVgprs: 8
; ScratchSize: 0
; MemoryBound: 0
; FloatMode: 240
; IeeeMode: 1
; LDSByteSize: 0 bytes/workgroup (compile time only)
; SGPRBlocks: 3
; VGPRBlocks: 1
; NumSGPRsForWavesPerEU: 28
; NumVGPRsForWavesPerEU: 8
; Occupancy: 10
; WaveLimiterHint : 1
; COMPUTE_PGM_RSRC2:SCRATCH_EN: 0
; COMPUTE_PGM_RSRC2:USER_SGPR: 6
; COMPUTE_PGM_RSRC2:TRAP_HANDLER: 0
; COMPUTE_PGM_RSRC2:TGID_X_EN: 1
; COMPUTE_PGM_RSRC2:TGID_Y_EN: 0
; COMPUTE_PGM_RSRC2:TGID_Z_EN: 1
; COMPUTE_PGM_RSRC2:TIDIG_COMP_CNT: 0
	.section	.text._ZL26rocblas_hemvn_kernel_upperILb1ELi64ELi4ELi33ELi32ELi16El19rocblas_complex_numIfEPKPKS1_PS1_EviT6_lT7_lT5_lS8_lS9_lS7_lT8_i,"axG",@progbits,_ZL26rocblas_hemvn_kernel_upperILb1ELi64ELi4ELi33ELi32ELi16El19rocblas_complex_numIfEPKPKS1_PS1_EviT6_lT7_lT5_lS8_lS9_lS7_lT8_i,comdat
	.globl	_ZL26rocblas_hemvn_kernel_upperILb1ELi64ELi4ELi33ELi32ELi16El19rocblas_complex_numIfEPKPKS1_PS1_EviT6_lT7_lT5_lS8_lS9_lS7_lT8_i ; -- Begin function _ZL26rocblas_hemvn_kernel_upperILb1ELi64ELi4ELi33ELi32ELi16El19rocblas_complex_numIfEPKPKS1_PS1_EviT6_lT7_lT5_lS8_lS9_lS7_lT8_i
	.p2align	8
	.type	_ZL26rocblas_hemvn_kernel_upperILb1ELi64ELi4ELi33ELi32ELi16El19rocblas_complex_numIfEPKPKS1_PS1_EviT6_lT7_lT5_lS8_lS9_lS7_lT8_i,@function
_ZL26rocblas_hemvn_kernel_upperILb1ELi64ELi4ELi33ELi32ELi16El19rocblas_complex_numIfEPKPKS1_PS1_EviT6_lT7_lT5_lS8_lS9_lS7_lT8_i: ; @_ZL26rocblas_hemvn_kernel_upperILb1ELi64ELi4ELi33ELi32ELi16El19rocblas_complex_numIfEPKPKS1_PS1_EviT6_lT7_lT5_lS8_lS9_lS7_lT8_i
; %bb.0:
	s_load_dwordx2 s[0:1], s[4:5], 0x84
	s_add_u32 s10, s4, 0x78
	s_addc_u32 s11, s5, 0
	s_waitcnt lgkmcnt(0)
	s_lshr_b32 s2, s0, 16
	s_and_b32 s0, s0, 0xffff
	s_and_b32 s1, s1, 0xffff
	s_mul_i32 s0, s2, s0
	s_mul_i32 s0, s0, s1
	s_cmpk_lg_i32 s0, 0x100
	s_cbranch_scc1 .LBB36_201
; %bb.1:
	s_load_dwordx2 s[0:1], s[4:5], 0x4
	s_mov_b32 s28, s7
	s_waitcnt lgkmcnt(0)
	s_or_b32 s0, s0, s1
	s_bitset0_b32 s0, 31
	s_cmp_lg_u32 s0, 0
	s_mov_b64 s[0:1], -1
	s_cbranch_scc1 .LBB36_3
; %bb.2:
	s_load_dwordx2 s[0:1], s[4:5], 0x58
	s_waitcnt lgkmcnt(0)
	v_cmp_eq_f32_e64 s[2:3], s0, 1.0
	v_cmp_eq_f32_e64 s[0:1], s1, 0
	s_and_b64 s[0:1], s[2:3], s[0:1]
	s_andn2_b64 vcc, exec, s[0:1]
	s_mov_b64 s[0:1], 0
.LBB36_3:
	s_andn2_b64 vcc, exec, s[0:1]
	s_cbranch_vccnz .LBB36_201
; %bb.4:
	s_load_dword s33, s[4:5], 0x0
	s_load_dwordx4 s[0:3], s[4:5], 0x18
	s_load_dwordx2 s[24:25], s[4:5], 0x28
	s_load_dwordx4 s[12:15], s[4:5], 0x38
	s_mov_b32 s29, 0
	s_lshl_b64 s[8:9], s[28:29], 3
	s_waitcnt lgkmcnt(0)
	s_add_u32 s0, s0, s8
	s_addc_u32 s1, s1, s9
	s_add_u32 s12, s12, s8
	s_addc_u32 s13, s13, s9
	s_load_dwordx2 s[16:17], s[12:13], 0x0
	s_load_dword s7, s[10:11], 0x0
	s_load_dwordx2 s[18:19], s[4:5], 0x48
	s_load_dwordx2 s[8:9], s[0:1], 0x0
	s_lshl_b64 s[0:1], s[14:15], 3
	s_waitcnt lgkmcnt(0)
	s_add_u32 s10, s16, s0
	s_addc_u32 s11, s17, s1
	s_lshl_b32 s26, s6, 6
	s_ashr_i32 s38, s33, 31
	s_lshr_b32 s0, s38, 26
	v_add_u32_e32 v50, s26, v0
	s_add_i32 s0, s33, s0
	v_ashrrev_i32_e32 v51, 31, v50
	s_and_b32 s13, s0, 0xffffffc0
	v_mul_lo_u32 v4, s18, v51
	v_mul_lo_u32 v5, s19, v50
	v_mad_u64_u32 v[2:3], s[0:1], s18, v50, 0
	s_add_i32 s12, s7, -1
	s_sub_i32 s29, s33, s13
	v_add3_u32 v3, v3, v4, v5
	v_lshlrev_b64 v[2:3], 3, v[2:3]
	s_cmp_eq_u32 s6, s12
	v_mov_b32_e32 v4, s11
	v_add_co_u32_e32 v14, vcc, s10, v2
	s_cselect_b32 s20, s29, 0
	v_addc_co_u32_e32 v15, vcc, v4, v3, vcc
	v_cmp_eq_u32_e64 s[0:1], 0, v1
	s_and_saveexec_b64 s[10:11], s[0:1]
	s_cbranch_execz .LBB36_9
; %bb.5:
	s_cmp_lg_u32 s20, 0
	s_cselect_b64 s[12:13], -1, 0
	v_cmp_le_i32_e32 vcc, s20, v0
	v_mov_b32_e32 v2, 0x2380
	s_and_b64 s[12:13], s[12:13], vcc
	v_lshl_add_u32 v2, v0, 3, v2
	s_and_saveexec_b64 s[14:15], s[12:13]
	s_xor_b64 s[12:13], exec, s[14:15]
; %bb.6:
	v_mov_b32_e32 v3, 0
	v_mov_b32_e32 v4, v3
	ds_write_b64 v2, v[3:4]
                                        ; implicit-def: $vgpr2
; %bb.7:
	s_andn2_saveexec_b64 s[12:13], s[12:13]
	s_cbranch_execz .LBB36_9
; %bb.8:
	flat_load_dwordx2 v[3:4], v[14:15]
	s_waitcnt vmcnt(0) lgkmcnt(0)
	ds_write_b64 v2, v[3:4]
.LBB36_9:
	s_or_b64 exec, exec, s[10:11]
	v_lshl_add_u32 v24, v1, 6, v0
	v_and_b32_e32 v2, 31, v0
	v_lshrrev_b32_e32 v9, 5, v24
	v_mov_b32_e32 v3, 0
	v_mad_u64_u32 v[3:4], s[10:11], s24, v9, v[2:3]
	s_lshl_b64 s[2:3], s[2:3], 3
	s_add_u32 s8, s8, s2
	s_addc_u32 s9, s9, s3
	v_mad_u64_u32 v[4:5], s[2:3], s25, v9, v[4:5]
	s_ashr_i32 s27, s26, 31
	s_lshl_b64 s[2:3], s[26:27], 3
	s_add_u32 s2, s8, s2
	v_lshlrev_b64 v[16:17], 3, v[3:4]
	s_addc_u32 s3, s9, s3
	v_mov_b32_e32 v3, s3
	v_add_co_u32_e32 v4, vcc, s2, v16
	s_mul_hi_u32 s2, s24, s26
	s_mul_i32 s3, s24, s27
	s_add_i32 s2, s2, s3
	s_mul_i32 s3, s25, s26
	s_add_i32 s3, s2, s3
	s_mul_i32 s2, s24, s26
	s_lshl_b64 s[2:3], s[2:3], 3
	v_addc_co_u32_e32 v3, vcc, v3, v17, vcc
	s_cmp_eq_u32 s20, 0
	v_mov_b32_e32 v6, s3
	v_add_co_u32_e32 v5, vcc, s2, v4
	s_cselect_b64 s[22:23], -1, 0
	s_cmp_lg_u32 s20, 0
	v_addc_co_u32_e32 v6, vcc, v3, v6, vcc
	s_cselect_b64 s[30:31], -1, 0
	s_and_b64 vcc, exec, s[30:31]
	v_cmp_gt_i32_e64 s[2:3], s20, v2
	v_lshlrev_b32_e32 v11, 3, v2
	v_lshlrev_b32_e32 v10, 3, v2
	s_cbranch_vccz .LBB36_27
; %bb.10:
	v_sub_co_u32_e32 v3, vcc, v5, v11
	s_ashr_i32 s21, s20, 31
	v_subbrev_co_u32_e32 v4, vcc, 0, v6, vcc
	s_lshl_b64 s[8:9], s[20:21], 3
	v_mov_b32_e32 v7, s9
	v_add_co_u32_e32 v3, vcc, s8, v3
	v_addc_co_u32_e32 v4, vcc, v4, v7, vcc
	v_add_co_u32_e32 v3, vcc, -8, v3
	v_addc_co_u32_e32 v4, vcc, -1, v4, vcc
	v_mul_u32_u24_e32 v7, 0x108, v9
	v_cndmask_b32_e64 v4, v4, v6, s[2:3]
	v_cndmask_b32_e64 v3, v3, v5, s[2:3]
	v_cmp_le_i32_e32 vcc, s20, v9
	v_add_u32_e32 v7, v10, v7
	s_and_saveexec_b64 s[10:11], vcc
	s_xor_b64 s[10:11], exec, s[10:11]
; %bb.11:
	v_mov_b32_e32 v12, 0
	v_mov_b32_e32 v13, v12
	ds_write_b64 v7, v[12:13]
; %bb.12:
	s_andn2_saveexec_b64 s[10:11], s[10:11]
	s_cbranch_execz .LBB36_14
; %bb.13:
	flat_load_dwordx2 v[12:13], v[3:4]
	s_waitcnt vmcnt(0) lgkmcnt(0)
	ds_write_b64 v7, v[12:13]
.LBB36_14:
	s_or_b64 exec, exec, s[10:11]
	v_add_u32_e32 v8, 8, v9
	v_cmp_le_i32_e32 vcc, s20, v8
	s_and_saveexec_b64 s[10:11], vcc
	s_xor_b64 s[10:11], exec, s[10:11]
; %bb.15:
	v_mov_b32_e32 v12, 0
	v_mov_b32_e32 v13, v12
	ds_write_b64 v7, v[12:13] offset:2112
; %bb.16:
	s_andn2_saveexec_b64 s[10:11], s[10:11]
	s_cbranch_execz .LBB36_18
; %bb.17:
	s_lshl_b64 s[12:13], s[24:25], 6
	v_mov_b32_e32 v8, s13
	v_add_co_u32_e32 v12, vcc, s12, v3
	v_addc_co_u32_e32 v13, vcc, v4, v8, vcc
	flat_load_dwordx2 v[12:13], v[12:13]
	s_waitcnt vmcnt(0) lgkmcnt(0)
	ds_write_b64 v7, v[12:13] offset:2112
.LBB36_18:
	s_or_b64 exec, exec, s[10:11]
	v_add_u32_e32 v8, 16, v9
	v_cmp_le_i32_e32 vcc, s20, v8
	s_and_saveexec_b64 s[10:11], vcc
	s_xor_b64 s[10:11], exec, s[10:11]
; %bb.19:
	v_mov_b32_e32 v12, 0
	v_mov_b32_e32 v13, v12
	ds_write_b64 v7, v[12:13] offset:4224
; %bb.20:
	s_andn2_saveexec_b64 s[10:11], s[10:11]
	s_cbranch_execz .LBB36_22
; %bb.21:
	s_lshl_b64 s[12:13], s[24:25], 7
	v_mov_b32_e32 v8, s13
	v_add_co_u32_e32 v12, vcc, s12, v3
	v_addc_co_u32_e32 v13, vcc, v4, v8, vcc
	flat_load_dwordx2 v[12:13], v[12:13]
	s_waitcnt vmcnt(0) lgkmcnt(0)
	ds_write_b64 v7, v[12:13] offset:4224
.LBB36_22:
	s_or_b64 exec, exec, s[10:11]
	v_add_u32_e32 v8, 24, v9
	v_cmp_le_i32_e32 vcc, s20, v8
	s_and_saveexec_b64 s[10:11], vcc
	s_xor_b64 s[10:11], exec, s[10:11]
; %bb.23:
	v_mov_b32_e32 v12, 0
	v_mov_b32_e32 v13, v12
	ds_write_b64 v7, v[12:13] offset:6336
                                        ; implicit-def: $vgpr7
; %bb.24:
	s_andn2_saveexec_b64 s[10:11], s[10:11]
	s_cbranch_execz .LBB36_26
; %bb.25:
	v_mov_b32_e32 v8, 0xc0
	v_mad_u64_u32 v[12:13], s[12:13], s24, v8, v[3:4]
	s_mul_i32 s12, s25, 0xc0
	v_add_u32_e32 v13, s12, v13
	flat_load_dwordx2 v[12:13], v[12:13]
	s_waitcnt vmcnt(0) lgkmcnt(0)
	ds_write_b64 v7, v[12:13] offset:6336
.LBB36_26:
	s_or_b64 exec, exec, s[10:11]
	v_add_co_u32_e32 v3, vcc, v3, v11
	v_addc_co_u32_e32 v4, vcc, 0, v4, vcc
	v_mov_b32_e32 v7, s9
	v_subrev_co_u32_e32 v3, vcc, s8, v3
	v_subb_co_u32_e32 v4, vcc, v4, v7, vcc
	v_add_co_u32_e32 v3, vcc, 8, v3
	v_addc_co_u32_e32 v4, vcc, 0, v4, vcc
	v_cndmask_b32_e64 v4, v4, v6, s[2:3]
	v_cndmask_b32_e64 v3, v3, v5, s[2:3]
	s_branch .LBB36_29
.LBB36_27:
                                        ; implicit-def: $vgpr3_vgpr4
	s_cbranch_execz .LBB36_29
; %bb.28:
	s_lshl_b64 s[2:3], s[24:25], 6
	v_mov_b32_e32 v13, s3
	v_add_co_u32_e32 v3, vcc, s2, v5
	v_addc_co_u32_e32 v4, vcc, v6, v13, vcc
	v_add_co_u32_e32 v7, vcc, s2, v3
	v_addc_co_u32_e32 v8, vcc, v4, v13, vcc
	;; [unrolled: 2-line block ×3, first 2 shown]
	flat_load_dwordx2 v[18:19], v[5:6]
	flat_load_dwordx2 v[20:21], v[3:4]
	;; [unrolled: 1-line block ×4, first 2 shown]
	v_mul_u32_u24_e32 v3, 0x108, v9
	v_lshl_add_u32 v3, v2, 3, v3
	s_waitcnt vmcnt(0) lgkmcnt(0)
	ds_write_b64 v3, v[18:19]
	ds_write_b64 v3, v[20:21] offset:2112
	ds_write_b64 v3, v[22:23] offset:4224
	;; [unrolled: 1-line block ×3, first 2 shown]
	v_mov_b32_e32 v3, v5
	v_mov_b32_e32 v4, v6
.LBB36_29:
	v_lshlrev_b32_e32 v13, 2, v9
	v_mul_u32_u24_e32 v12, 0x108, v2
	v_cmp_le_u32_e64 s[16:17], v13, v2
	s_mov_b64 s[2:3], 0
	s_waitcnt lgkmcnt(0)
	s_barrier
                                        ; implicit-def: $vgpr6
	s_and_saveexec_b64 s[8:9], s[16:17]
	s_xor_b64 s[8:9], exec, s[8:9]
	s_cbranch_execz .LBB36_33
; %bb.30:
	v_cmp_eq_u32_e32 vcc, v13, v2
                                        ; implicit-def: $vgpr6
	s_and_saveexec_b64 s[10:11], vcc
	s_xor_b64 s[10:11], exec, s[10:11]
; %bb.31:
	s_mov_b64 s[2:3], exec
	v_add_u32_e32 v6, v10, v12
; %bb.32:
	s_or_b64 exec, exec, s[10:11]
	s_and_b64 s[2:3], s[2:3], exec
.LBB36_33:
	s_or_saveexec_b64 s[8:9], s[8:9]
	v_lshl_or_b32 v5, v2, 8, v10
	v_mov_b32_e32 v7, 0
	v_lshl_add_u32 v5, v13, 3, v5
	s_xor_b64 exec, exec, s[8:9]
	s_cbranch_execz .LBB36_35
; %bb.34:
	s_movk_i32 s10, 0x420
	v_mad_u32_u24 v6, v9, s10, v10
	ds_read_b64 v[6:7], v6
	s_or_b64 s[2:3], s[2:3], exec
	s_waitcnt lgkmcnt(0)
	v_xor_b32_e32 v7, 0x80000000, v7
	ds_write_b32 v5, v6
	v_mov_b32_e32 v6, v5
.LBB36_35:
	s_or_b64 exec, exec, s[8:9]
	s_and_saveexec_b64 s[8:9], s[2:3]
; %bb.36:
	ds_write_b32 v6, v7 offset:4
; %bb.37:
	s_or_b64 exec, exec, s[8:9]
	v_or_b32_e32 v18, 1, v13
	v_cmp_ge_u32_e64 s[8:9], v13, v2
	s_mov_b64 s[2:3], 0
                                        ; implicit-def: $vgpr7
                                        ; implicit-def: $vgpr6
	s_and_saveexec_b64 s[10:11], s[8:9]
	s_xor_b64 s[10:11], exec, s[10:11]
	s_cbranch_execz .LBB36_73
; %bb.38:
	s_movk_i32 s12, 0x108
	v_mad_u32_u24 v6, v18, s12, v10
	ds_read_b64 v[19:20], v6
	s_mov_b64 s[2:3], exec
	v_add_u32_e32 v6, 8, v5
	s_waitcnt lgkmcnt(0)
	v_xor_b32_e32 v7, 0x80000000, v20
	ds_write_b32 v5, v19 offset:8
	s_andn2_saveexec_b64 s[10:11], s[10:11]
	s_cbranch_execnz .LBB36_74
.LBB36_39:
	s_or_b64 exec, exec, s[10:11]
	s_and_saveexec_b64 s[10:11], s[2:3]
.LBB36_40:
	ds_write_b32 v6, v7 offset:4
.LBB36_41:
	s_or_b64 exec, exec, s[10:11]
	v_or_b32_e32 v19, 2, v13
	v_cmp_le_u32_e64 s[10:11], v19, v2
	s_mov_b64 s[2:3], 0
                                        ; implicit-def: $vgpr6
	s_and_saveexec_b64 s[12:13], s[10:11]
	s_xor_b64 s[12:13], exec, s[12:13]
	s_cbranch_execz .LBB36_77
; %bb.42:
	v_cmp_eq_u32_e32 vcc, v19, v2
                                        ; implicit-def: $vgpr6
	s_and_saveexec_b64 s[14:15], vcc
; %bb.43:
	s_mov_b64 s[2:3], exec
	v_add_u32_e32 v6, v10, v12
; %bb.44:
	s_or_b64 exec, exec, s[14:15]
	s_and_b64 s[2:3], s[2:3], exec
	s_or_saveexec_b64 s[12:13], s[12:13]
	v_mov_b32_e32 v7, 0
	s_xor_b64 exec, exec, s[12:13]
	s_cbranch_execnz .LBB36_78
.LBB36_45:
	s_or_b64 exec, exec, s[12:13]
	s_and_saveexec_b64 s[12:13], s[2:3]
.LBB36_46:
	ds_write_b32 v6, v7 offset:4
.LBB36_47:
	s_or_b64 exec, exec, s[12:13]
	v_or_b32_e32 v21, 3, v13
	v_cmp_le_u32_e64 s[12:13], v21, v2
	s_mov_b64 s[2:3], 0
                                        ; implicit-def: $vgpr6
	s_and_saveexec_b64 s[14:15], s[12:13]
	s_xor_b64 s[14:15], exec, s[14:15]
	s_cbranch_execz .LBB36_79
; %bb.48:
	v_cmp_eq_u32_e32 vcc, v21, v2
                                        ; implicit-def: $vgpr6
	s_and_saveexec_b64 s[34:35], vcc
; %bb.49:
	s_mov_b64 s[2:3], exec
	v_add_u32_e32 v6, v10, v12
; %bb.50:
	s_or_b64 exec, exec, s[34:35]
	s_and_b64 s[2:3], s[2:3], exec
                                        ; implicit-def: $vgpr5
	s_or_saveexec_b64 s[14:15], s[14:15]
	v_mov_b32_e32 v7, 0
	s_xor_b64 exec, exec, s[14:15]
	s_cbranch_execnz .LBB36_80
.LBB36_51:
	s_or_b64 exec, exec, s[14:15]
	s_and_saveexec_b64 s[14:15], s[2:3]
.LBB36_52:
	ds_write_b32 v6, v7 offset:4
.LBB36_53:
	s_or_b64 exec, exec, s[14:15]
	s_movk_i32 s2, 0x420
	v_mad_u32_u24 v5, v9, s2, v10
	s_movk_i32 s2, 0x108
	s_waitcnt lgkmcnt(0)
	s_barrier
	v_lshlrev_b32_e32 v22, 3, v13
	ds_read_b64 v[33:34], v5
	ds_read_b128 v[5:8], v22 offset:9088
	ds_read_b128 v[25:28], v22 offset:9104
	v_mad_u32_u24 v23, v18, s2, v10
	ds_read2_b64 v[29:32], v23 offset1:33
	v_mov_b32_e32 v52, 0
	s_waitcnt lgkmcnt(2)
	v_mul_f32_e32 v20, v6, v34
	v_fma_f32 v20, v5, v33, -v20
	v_mul_f32_e32 v5, v5, v34
	v_fmac_f32_e32 v5, v6, v33
	v_add_f32_e32 v6, 0, v20
	s_waitcnt lgkmcnt(0)
	v_mul_f32_e32 v20, v8, v30
	v_fma_f32 v20, v7, v29, -v20
	v_mul_f32_e32 v7, v7, v30
	v_add_f32_e32 v5, 0, v5
	v_fmac_f32_e32 v7, v8, v29
	v_add_f32_e32 v8, v6, v20
	v_add_f32_e32 v7, v5, v7
	ds_read_b64 v[5:6], v23 offset:528
	v_mul_f32_e32 v20, v26, v32
	v_fma_f32 v20, v25, v31, -v20
	v_mul_f32_e32 v23, v25, v32
	v_fmac_f32_e32 v23, v26, v31
	v_add_f32_e32 v8, v8, v20
	s_waitcnt lgkmcnt(0)
	v_mul_f32_e32 v20, v28, v6
	v_mul_f32_e32 v6, v27, v6
	v_add_f32_e32 v7, v7, v23
	v_fmac_f32_e32 v6, v28, v5
	v_add_f32_e32 v6, v7, v6
	v_mul_u32_u24_e32 v7, 33, v2
	v_fma_f32 v20, v27, v5, -v20
	v_lshlrev_b32_e32 v25, 3, v7
	v_add_f32_e32 v5, v8, v20
	v_lshl_add_u32 v26, v9, 3, v25
	v_cmp_gt_u32_e64 s[2:3], 32, v24
	v_mov_b32_e32 v53, 0
	s_barrier
	ds_write_b64 v26, v[5:6]
	s_waitcnt lgkmcnt(0)
	s_barrier
	s_and_saveexec_b64 s[14:15], s[2:3]
	s_cbranch_execz .LBB36_55
; %bb.54:
	ds_read2_b64 v[5:8], v25 offset1:7
	ds_read2_b64 v[27:30], v25 offset0:1 offset1:2
	ds_read2_b64 v[31:34], v25 offset0:3 offset1:4
	s_waitcnt lgkmcnt(1)
	v_add_f32_e32 v5, v27, v5
	v_add_f32_e32 v6, v28, v6
	;; [unrolled: 1-line block ×4, first 2 shown]
	ds_read2_b64 v[27:30], v25 offset0:5 offset1:6
	s_waitcnt lgkmcnt(1)
	v_add_f32_e32 v5, v5, v31
	v_add_f32_e32 v6, v6, v32
	;; [unrolled: 1-line block ×4, first 2 shown]
	s_waitcnt lgkmcnt(0)
	v_add_f32_e32 v5, v5, v27
	v_add_f32_e32 v6, v6, v28
	;; [unrolled: 1-line block ×6, first 2 shown]
.LBB36_55:
	s_or_b64 exec, exec, s[14:15]
	s_lshl_b64 s[14:15], s[24:25], 8
	v_mov_b32_e32 v5, s15
	v_add_co_u32_e32 v7, vcc, s14, v3
	v_addc_co_u32_e32 v8, vcc, v4, v5, vcc
	v_add_co_u32_e32 v5, vcc, 0x100, v7
	v_addc_co_u32_e32 v6, vcc, 0, v8, vcc
	s_and_b64 vcc, exec, s[30:31]
	s_barrier
	s_cbranch_vccz .LBB36_81
; %bb.56:
	v_sub_co_u32_e32 v4, vcc, v7, v11
	s_ashr_i32 s21, s20, 31
	v_subbrev_co_u32_e32 v20, vcc, 0, v8, vcc
	s_lshl_b64 s[34:35], s[20:21], 3
	v_mov_b32_e32 v23, s35
	v_add_co_u32_e32 v4, vcc, s34, v4
	v_addc_co_u32_e32 v20, vcc, v20, v23, vcc
	v_or_b32_e32 v3, 32, v2
	v_add_co_u32_e32 v23, vcc, -8, v4
	v_addc_co_u32_e32 v4, vcc, -1, v20, vcc
	v_cmp_gt_i32_e64 s[14:15], s20, v3
	s_sub_i32 s21, s20, 32
	v_mul_u32_u24_e32 v20, 0x108, v9
	v_cndmask_b32_e64 v4, v4, v6, s[14:15]
	v_cndmask_b32_e64 v3, v23, v5, s[14:15]
	v_cmp_le_i32_e32 vcc, s21, v9
	v_add_u32_e32 v20, v10, v20
	s_and_saveexec_b64 s[36:37], vcc
	s_xor_b64 s[36:37], exec, s[36:37]
; %bb.57:
	v_mov_b32_e32 v27, 0
	v_mov_b32_e32 v28, v27
	ds_write_b64 v20, v[27:28]
; %bb.58:
	s_andn2_saveexec_b64 s[36:37], s[36:37]
	s_cbranch_execz .LBB36_60
; %bb.59:
	flat_load_dwordx2 v[27:28], v[3:4]
	s_waitcnt vmcnt(0) lgkmcnt(0)
	ds_write_b64 v20, v[27:28]
.LBB36_60:
	s_or_b64 exec, exec, s[36:37]
	v_add_u32_e32 v23, 8, v9
	v_cmp_le_i32_e32 vcc, s21, v23
	s_and_saveexec_b64 s[36:37], vcc
	s_xor_b64 s[36:37], exec, s[36:37]
; %bb.61:
	v_mov_b32_e32 v27, 0
	v_mov_b32_e32 v28, v27
	ds_write_b64 v20, v[27:28] offset:2112
; %bb.62:
	s_andn2_saveexec_b64 s[36:37], s[36:37]
	s_cbranch_execz .LBB36_64
; %bb.63:
	s_lshl_b64 s[40:41], s[24:25], 6
	v_mov_b32_e32 v23, s41
	v_add_co_u32_e32 v27, vcc, s40, v3
	v_addc_co_u32_e32 v28, vcc, v4, v23, vcc
	flat_load_dwordx2 v[27:28], v[27:28]
	s_waitcnt vmcnt(0) lgkmcnt(0)
	ds_write_b64 v20, v[27:28] offset:2112
.LBB36_64:
	s_or_b64 exec, exec, s[36:37]
	v_add_u32_e32 v23, 16, v9
	v_cmp_le_i32_e32 vcc, s21, v23
	s_and_saveexec_b64 s[36:37], vcc
	s_xor_b64 s[36:37], exec, s[36:37]
; %bb.65:
	v_mov_b32_e32 v27, 0
	v_mov_b32_e32 v28, v27
	ds_write_b64 v20, v[27:28] offset:4224
; %bb.66:
	s_andn2_saveexec_b64 s[36:37], s[36:37]
	s_cbranch_execz .LBB36_68
; %bb.67:
	s_lshl_b64 s[40:41], s[24:25], 7
	v_mov_b32_e32 v23, s41
	v_add_co_u32_e32 v27, vcc, s40, v3
	v_addc_co_u32_e32 v28, vcc, v4, v23, vcc
	flat_load_dwordx2 v[27:28], v[27:28]
	s_waitcnt vmcnt(0) lgkmcnt(0)
	ds_write_b64 v20, v[27:28] offset:4224
.LBB36_68:
	s_or_b64 exec, exec, s[36:37]
	v_add_u32_e32 v23, 24, v9
	v_cmp_le_i32_e32 vcc, s21, v23
	s_and_saveexec_b64 s[36:37], vcc
	s_xor_b64 s[36:37], exec, s[36:37]
; %bb.69:
	v_mov_b32_e32 v27, 0
	v_mov_b32_e32 v28, v27
	ds_write_b64 v20, v[27:28] offset:6336
                                        ; implicit-def: $vgpr20
; %bb.70:
	s_andn2_saveexec_b64 s[36:37], s[36:37]
	s_cbranch_execz .LBB36_72
; %bb.71:
	v_mov_b32_e32 v23, 0xc0
	v_mad_u64_u32 v[27:28], s[40:41], s24, v23, v[3:4]
	s_mul_i32 s21, s25, 0xc0
	v_add_u32_e32 v28, s21, v28
	flat_load_dwordx2 v[27:28], v[27:28]
	s_waitcnt vmcnt(0) lgkmcnt(0)
	ds_write_b64 v20, v[27:28] offset:6336
.LBB36_72:
	s_or_b64 exec, exec, s[36:37]
	v_add_co_u32_e32 v3, vcc, v3, v11
	v_addc_co_u32_e32 v4, vcc, 0, v4, vcc
	v_mov_b32_e32 v20, s35
	v_subrev_co_u32_e32 v3, vcc, s34, v3
	v_subb_co_u32_e32 v4, vcc, v4, v20, vcc
	v_add_co_u32_e32 v3, vcc, 0x108, v3
	v_addc_co_u32_e32 v4, vcc, 0, v4, vcc
	v_cndmask_b32_e64 v4, v4, v6, s[14:15]
	v_cndmask_b32_e64 v3, v3, v5, s[14:15]
	s_branch .LBB36_83
.LBB36_73:
	s_andn2_saveexec_b64 s[10:11], s[10:11]
	s_cbranch_execz .LBB36_39
.LBB36_74:
	v_cmp_eq_u32_e32 vcc, v18, v2
	s_mov_b64 s[12:13], s[2:3]
                                        ; implicit-def: $vgpr6
	s_and_saveexec_b64 s[14:15], vcc
; %bb.75:
	v_add_u32_e32 v6, v10, v12
	s_or_b64 s[12:13], s[2:3], exec
; %bb.76:
	s_or_b64 exec, exec, s[14:15]
	s_andn2_b64 s[2:3], s[2:3], exec
	s_and_b64 s[12:13], s[12:13], exec
	v_mov_b32_e32 v7, 0
	s_or_b64 s[2:3], s[2:3], s[12:13]
	s_or_b64 exec, exec, s[10:11]
	s_and_saveexec_b64 s[10:11], s[2:3]
	s_cbranch_execnz .LBB36_40
	s_branch .LBB36_41
.LBB36_77:
	s_or_saveexec_b64 s[12:13], s[12:13]
	v_mov_b32_e32 v7, 0
	s_xor_b64 exec, exec, s[12:13]
	s_cbranch_execz .LBB36_45
.LBB36_78:
	s_movk_i32 s14, 0x108
	v_mad_u32_u24 v6, v19, s14, v10
	ds_read_b64 v[20:21], v6
	v_add_u32_e32 v6, 16, v5
	s_or_b64 s[2:3], s[2:3], exec
	s_waitcnt lgkmcnt(0)
	v_xor_b32_e32 v7, 0x80000000, v21
	ds_write_b32 v5, v20 offset:16
	s_or_b64 exec, exec, s[12:13]
	s_and_saveexec_b64 s[12:13], s[2:3]
	s_cbranch_execnz .LBB36_46
	s_branch .LBB36_47
.LBB36_79:
	s_or_saveexec_b64 s[14:15], s[14:15]
	v_mov_b32_e32 v7, 0
	s_xor_b64 exec, exec, s[14:15]
	s_cbranch_execz .LBB36_51
.LBB36_80:
	s_movk_i32 s21, 0x108
	v_mad_u32_u24 v6, v21, s21, v10
	ds_read_b64 v[22:23], v6
	v_add_u32_e32 v6, 24, v5
	s_or_b64 s[2:3], s[2:3], exec
	s_waitcnt lgkmcnt(0)
	v_xor_b32_e32 v7, 0x80000000, v23
	ds_write_b32 v5, v22 offset:24
	s_or_b64 exec, exec, s[14:15]
	s_and_saveexec_b64 s[14:15], s[2:3]
	s_cbranch_execnz .LBB36_52
	s_branch .LBB36_53
.LBB36_81:
                                        ; implicit-def: $vgpr3_vgpr4
	s_cbranch_execz .LBB36_83
; %bb.82:
	s_lshl_b64 s[14:15], s[24:25], 6
	v_mov_b32_e32 v20, s15
	v_add_co_u32_e32 v3, vcc, s14, v7
	v_addc_co_u32_e32 v4, vcc, v8, v20, vcc
	v_add_co_u32_e32 v27, vcc, s14, v3
	v_addc_co_u32_e32 v28, vcc, v4, v20, vcc
	;; [unrolled: 2-line block ×3, first 2 shown]
	flat_load_dwordx2 v[31:32], v[7:8] offset:256
	flat_load_dwordx2 v[33:34], v[3:4] offset:256
	;; [unrolled: 1-line block ×4, first 2 shown]
	s_movk_i32 s14, 0x108
	v_mad_u32_u24 v3, v9, s14, v10
	s_waitcnt vmcnt(0) lgkmcnt(0)
	ds_write_b64 v3, v[31:32]
	ds_write_b64 v3, v[33:34] offset:2112
	ds_write_b64 v3, v[35:36] offset:4224
	;; [unrolled: 1-line block ×3, first 2 shown]
	v_mov_b32_e32 v3, v5
	v_mov_b32_e32 v4, v6
.LBB36_83:
	v_mul_u32_u24_e32 v5, 0x420, v9
	s_mov_b64 s[14:15], 0
	s_waitcnt lgkmcnt(0)
	s_barrier
                                        ; implicit-def: $vgpr6
	s_and_saveexec_b64 s[34:35], s[16:17]
	s_xor_b64 s[16:17], exec, s[34:35]
	s_cbranch_execz .LBB36_87
; %bb.84:
	v_cmp_eq_u32_e32 vcc, v13, v2
                                        ; implicit-def: $vgpr6
	s_and_saveexec_b64 s[34:35], vcc
	s_xor_b64 s[34:35], exec, s[34:35]
; %bb.85:
	s_mov_b64 s[14:15], exec
	v_add_u32_e32 v6, v10, v12
; %bb.86:
	s_or_b64 exec, exec, s[34:35]
	s_and_b64 s[14:15], s[14:15], exec
.LBB36_87:
	s_or_saveexec_b64 s[16:17], s[16:17]
	v_mov_b32_e32 v7, 0
	v_add_u32_e32 v20, v10, v5
	v_lshl_add_u32 v5, v13, 3, v25
	s_xor_b64 exec, exec, s[16:17]
	s_cbranch_execz .LBB36_89
; %bb.88:
	ds_read_b64 v[6:7], v20
	s_or_b64 s[14:15], s[14:15], exec
	s_waitcnt lgkmcnt(0)
	v_xor_b32_e32 v7, 0x80000000, v7
	ds_write_b32 v5, v6
	v_mov_b32_e32 v6, v5
.LBB36_89:
	s_or_b64 exec, exec, s[16:17]
	v_mul_u32_u24_e32 v8, 0x108, v18
	s_and_saveexec_b64 s[16:17], s[14:15]
; %bb.90:
	ds_write_b32 v6, v7 offset:4
; %bb.91:
	s_or_b64 exec, exec, s[16:17]
	s_mov_b64 s[14:15], 0
	v_add_u32_e32 v27, v10, v8
                                        ; implicit-def: $vgpr7
                                        ; implicit-def: $vgpr6
	s_and_saveexec_b64 s[16:17], s[8:9]
	s_xor_b64 s[8:9], exec, s[16:17]
	s_cbranch_execz .LBB36_127
; %bb.92:
	ds_read_b64 v[28:29], v27
	s_mov_b64 s[14:15], exec
	v_add_u32_e32 v6, 8, v5
                                        ; implicit-def: $vgpr18
	s_waitcnt lgkmcnt(0)
	v_xor_b32_e32 v7, 0x80000000, v29
	ds_write_b32 v5, v28 offset:8
	s_andn2_saveexec_b64 s[8:9], s[8:9]
	s_cbranch_execnz .LBB36_128
.LBB36_93:
	s_or_b64 exec, exec, s[8:9]
	s_and_saveexec_b64 s[8:9], s[14:15]
.LBB36_94:
	ds_write_b32 v6, v7 offset:4
.LBB36_95:
	s_or_b64 exec, exec, s[8:9]
	s_mov_b64 s[8:9], 0
                                        ; implicit-def: $vgpr6
	s_and_saveexec_b64 s[14:15], s[10:11]
	s_xor_b64 s[10:11], exec, s[14:15]
	s_cbranch_execz .LBB36_131
; %bb.96:
	v_cmp_eq_u32_e32 vcc, v19, v2
                                        ; implicit-def: $vgpr6
	s_and_saveexec_b64 s[14:15], vcc
; %bb.97:
	s_mov_b64 s[8:9], exec
	v_add_u32_e32 v6, v10, v12
; %bb.98:
	s_or_b64 exec, exec, s[14:15]
	s_and_b64 s[8:9], s[8:9], exec
	s_or_saveexec_b64 s[10:11], s[10:11]
	v_mov_b32_e32 v7, 0
	s_xor_b64 exec, exec, s[10:11]
	s_cbranch_execnz .LBB36_132
.LBB36_99:
	s_or_b64 exec, exec, s[10:11]
	s_and_saveexec_b64 s[10:11], s[8:9]
.LBB36_100:
	ds_write_b32 v6, v7 offset:4
.LBB36_101:
	s_or_b64 exec, exec, s[10:11]
	s_mov_b64 s[8:9], 0
                                        ; implicit-def: $vgpr6
	s_and_saveexec_b64 s[10:11], s[12:13]
	s_xor_b64 s[10:11], exec, s[10:11]
	s_cbranch_execz .LBB36_133
; %bb.102:
	v_cmp_eq_u32_e32 vcc, v21, v2
                                        ; implicit-def: $vgpr6
	s_and_saveexec_b64 s[12:13], vcc
; %bb.103:
	s_mov_b64 s[8:9], exec
	v_add_u32_e32 v6, v10, v12
; %bb.104:
	s_or_b64 exec, exec, s[12:13]
	s_and_b64 s[8:9], s[8:9], exec
                                        ; implicit-def: $vgpr5
	s_or_saveexec_b64 s[10:11], s[10:11]
	v_mov_b32_e32 v7, 0
	s_xor_b64 exec, exec, s[10:11]
	s_cbranch_execnz .LBB36_134
.LBB36_105:
	s_or_b64 exec, exec, s[10:11]
	v_add_u32_e32 v12, 0x2380, v22
	s_and_saveexec_b64 s[10:11], s[8:9]
.LBB36_106:
	ds_write_b32 v6, v7 offset:4
.LBB36_107:
	s_or_b64 exec, exec, s[10:11]
	s_waitcnt lgkmcnt(0)
	s_barrier
	ds_read_b64 v[18:19], v20
	ds_read_b128 v[5:8], v12 offset:256
	ds_read_b128 v[28:31], v12 offset:272
	ds_read_b64 v[21:22], v27 offset:528
	ds_read2_b64 v[32:35], v27 offset1:33
	v_cmp_eq_u32_e64 s[8:9], 1, v9
	s_waitcnt lgkmcnt(3)
	v_mul_f32_e32 v13, v6, v19
	v_fma_f32 v13, v5, v18, -v13
	v_mul_f32_e32 v5, v5, v19
	v_fmac_f32_e32 v5, v6, v18
	v_add_f32_e32 v6, 0, v13
	s_waitcnt lgkmcnt(0)
	v_mul_f32_e32 v13, v8, v33
	v_fma_f32 v13, v7, v32, -v13
	v_mul_f32_e32 v7, v7, v33
	v_add_f32_e32 v5, 0, v5
	v_fmac_f32_e32 v7, v8, v32
	v_add_f32_e32 v5, v5, v7
	v_mul_f32_e32 v7, v29, v35
	v_mul_f32_e32 v8, v28, v35
	v_add_f32_e32 v6, v6, v13
	v_fma_f32 v7, v28, v34, -v7
	v_fmac_f32_e32 v8, v29, v34
	v_add_f32_e32 v6, v6, v7
	v_add_f32_e32 v7, v5, v8
	v_mul_f32_e32 v5, v31, v22
	v_mul_f32_e32 v8, v30, v22
	v_fma_f32 v5, v30, v21, -v5
	v_fmac_f32_e32 v8, v31, v21
	v_add_f32_e32 v5, v6, v5
	v_add_f32_e32 v6, v7, v8
	s_barrier
	ds_write_b64 v26, v[5:6]
	s_waitcnt lgkmcnt(0)
	s_barrier
	s_and_saveexec_b64 s[10:11], s[8:9]
	s_cbranch_execz .LBB36_109
; %bb.108:
	ds_read2_b64 v[5:8], v25 offset1:7
	ds_read2_b64 v[28:31], v25 offset0:1 offset1:2
	ds_read2_b64 v[32:35], v25 offset0:3 offset1:4
	s_waitcnt lgkmcnt(1)
	v_add_f32_e32 v5, v28, v5
	v_add_f32_e32 v6, v29, v6
	;; [unrolled: 1-line block ×4, first 2 shown]
	ds_read2_b64 v[28:31], v25 offset0:5 offset1:6
	s_waitcnt lgkmcnt(1)
	v_add_f32_e32 v5, v5, v32
	v_add_f32_e32 v6, v6, v33
	;; [unrolled: 1-line block ×4, first 2 shown]
	s_waitcnt lgkmcnt(0)
	v_add_f32_e32 v5, v5, v28
	v_add_f32_e32 v6, v6, v29
	v_add_f32_e32 v5, v5, v30
	v_add_f32_e32 v6, v6, v31
	v_add_f32_e32 v52, v5, v7
	v_add_f32_e32 v53, v6, v8
.LBB36_109:
	s_or_b64 exec, exec, s[10:11]
	v_add_co_u32_e32 v3, vcc, 0xffffff00, v3
	v_addc_co_u32_e32 v4, vcc, -1, v4, vcc
	s_and_b64 vcc, exec, s[30:31]
	s_barrier
	s_cbranch_vccz .LBB36_135
; %bb.110:
	v_sub_co_u32_e32 v5, vcc, v3, v11
	s_ashr_i32 s21, s20, 31
	v_subbrev_co_u32_e32 v6, vcc, 0, v4, vcc
	s_lshl_b64 s[12:13], s[20:21], 3
	v_mov_b32_e32 v7, s13
	v_add_co_u32_e32 v5, vcc, s12, v5
	v_addc_co_u32_e32 v6, vcc, v6, v7, vcc
	v_add_co_u32_e32 v5, vcc, -8, v5
	v_addc_co_u32_e32 v6, vcc, -1, v6, vcc
	v_cmp_gt_i32_e32 vcc, s20, v2
	s_sub_i32 s16, s20, 32
	v_mul_u32_u24_e32 v2, 0x108, v9
	v_cndmask_b32_e32 v6, v6, v4, vcc
	v_cndmask_b32_e32 v5, v5, v3, vcc
	v_cmp_le_i32_e64 s[10:11], s16, v9
	v_add_u32_e32 v13, v10, v2
	s_and_saveexec_b64 s[14:15], s[10:11]
	s_xor_b64 s[10:11], exec, s[14:15]
; %bb.111:
	v_mov_b32_e32 v7, 0
	v_mov_b32_e32 v8, v7
	ds_write_b64 v13, v[7:8]
; %bb.112:
	s_andn2_saveexec_b64 s[10:11], s[10:11]
	s_cbranch_execz .LBB36_114
; %bb.113:
	flat_load_dwordx2 v[7:8], v[5:6]
	s_waitcnt vmcnt(0) lgkmcnt(0)
	ds_write_b64 v13, v[7:8]
.LBB36_114:
	s_or_b64 exec, exec, s[10:11]
	v_add_u32_e32 v2, 8, v9
	v_cmp_le_i32_e64 s[10:11], s16, v2
	s_and_saveexec_b64 s[14:15], s[10:11]
	s_xor_b64 s[10:11], exec, s[14:15]
; %bb.115:
	v_mov_b32_e32 v7, 0
	v_mov_b32_e32 v8, v7
	ds_write_b64 v13, v[7:8] offset:2112
; %bb.116:
	s_andn2_saveexec_b64 s[14:15], s[10:11]
	s_cbranch_execz .LBB36_118
; %bb.117:
	s_lshl_b64 s[10:11], s[24:25], 6
	v_mov_b32_e32 v8, s11
	v_add_co_u32_e64 v7, s[10:11], s10, v5
	v_addc_co_u32_e64 v8, s[10:11], v6, v8, s[10:11]
	flat_load_dwordx2 v[7:8], v[7:8]
	s_waitcnt vmcnt(0) lgkmcnt(0)
	ds_write_b64 v13, v[7:8] offset:2112
.LBB36_118:
	s_or_b64 exec, exec, s[14:15]
	v_add_u32_e32 v7, 16, v9
	v_cmp_le_i32_e64 s[10:11], s16, v7
	s_and_saveexec_b64 s[14:15], s[10:11]
	s_xor_b64 s[10:11], exec, s[14:15]
; %bb.119:
	v_mov_b32_e32 v18, 0
	v_mov_b32_e32 v19, v18
	ds_write_b64 v13, v[18:19] offset:4224
; %bb.120:
	s_andn2_saveexec_b64 s[14:15], s[10:11]
	s_cbranch_execz .LBB36_122
; %bb.121:
	s_lshl_b64 s[10:11], s[24:25], 7
	v_mov_b32_e32 v8, s11
	v_add_co_u32_e64 v18, s[10:11], s10, v5
	v_addc_co_u32_e64 v19, s[10:11], v6, v8, s[10:11]
	flat_load_dwordx2 v[18:19], v[18:19]
	s_waitcnt vmcnt(0) lgkmcnt(0)
	ds_write_b64 v13, v[18:19] offset:4224
.LBB36_122:
	s_or_b64 exec, exec, s[14:15]
	v_add_u32_e32 v8, 24, v9
	v_cmp_le_i32_e64 s[10:11], s16, v8
	s_and_saveexec_b64 s[14:15], s[10:11]
	s_xor_b64 s[10:11], exec, s[14:15]
; %bb.123:
	v_mov_b32_e32 v18, 0
	v_mov_b32_e32 v19, v18
	ds_write_b64 v13, v[18:19] offset:6336
                                        ; implicit-def: $vgpr13
; %bb.124:
	s_andn2_saveexec_b64 s[10:11], s[10:11]
	s_cbranch_execz .LBB36_126
; %bb.125:
	v_mov_b32_e32 v18, 0xc0
	v_mad_u64_u32 v[18:19], s[14:15], s24, v18, v[5:6]
	s_mul_i32 s14, s25, 0xc0
	v_add_u32_e32 v19, s14, v19
	flat_load_dwordx2 v[18:19], v[18:19]
	s_waitcnt vmcnt(0) lgkmcnt(0)
	ds_write_b64 v13, v[18:19] offset:6336
.LBB36_126:
	s_or_b64 exec, exec, s[10:11]
	v_add_co_u32_e64 v5, s[10:11], v5, v11
	v_addc_co_u32_e64 v6, s[10:11], 0, v6, s[10:11]
	v_mov_b32_e32 v11, s13
	v_subrev_co_u32_e64 v5, s[10:11], s12, v5
	v_subb_co_u32_e64 v6, s[10:11], v6, v11, s[10:11]
	v_add_co_u32_e64 v5, s[10:11], 8, v5
	v_addc_co_u32_e64 v6, s[10:11], 0, v6, s[10:11]
	v_cndmask_b32_e32 v19, v6, v4, vcc
	v_cndmask_b32_e32 v18, v5, v3, vcc
	s_branch .LBB36_137
.LBB36_127:
	s_andn2_saveexec_b64 s[8:9], s[8:9]
	s_cbranch_execz .LBB36_93
.LBB36_128:
	v_cmp_eq_u32_e32 vcc, v18, v2
	s_mov_b64 s[16:17], s[14:15]
                                        ; implicit-def: $vgpr6
	s_and_saveexec_b64 s[34:35], vcc
; %bb.129:
	v_add_u32_e32 v6, v10, v12
	s_or_b64 s[16:17], s[14:15], exec
; %bb.130:
	s_or_b64 exec, exec, s[34:35]
	s_andn2_b64 s[14:15], s[14:15], exec
	s_and_b64 s[16:17], s[16:17], exec
	v_mov_b32_e32 v7, 0
	s_or_b64 s[14:15], s[14:15], s[16:17]
	s_or_b64 exec, exec, s[8:9]
	s_and_saveexec_b64 s[8:9], s[14:15]
	s_cbranch_execnz .LBB36_94
	s_branch .LBB36_95
.LBB36_131:
	s_or_saveexec_b64 s[10:11], s[10:11]
	v_mov_b32_e32 v7, 0
	s_xor_b64 exec, exec, s[10:11]
	s_cbranch_execz .LBB36_99
.LBB36_132:
	ds_read_b64 v[18:19], v27 offset:264
	v_add_u32_e32 v6, 16, v5
	s_or_b64 s[8:9], s[8:9], exec
	s_waitcnt lgkmcnt(0)
	v_xor_b32_e32 v7, 0x80000000, v19
	ds_write_b32 v5, v18 offset:16
	s_or_b64 exec, exec, s[10:11]
	s_and_saveexec_b64 s[10:11], s[8:9]
	s_cbranch_execnz .LBB36_100
	s_branch .LBB36_101
.LBB36_133:
	s_or_saveexec_b64 s[10:11], s[10:11]
	v_mov_b32_e32 v7, 0
	s_xor_b64 exec, exec, s[10:11]
	s_cbranch_execz .LBB36_105
.LBB36_134:
	ds_read_b64 v[12:13], v27 offset:528
	v_add_u32_e32 v6, 24, v5
	s_or_b64 s[8:9], s[8:9], exec
	s_waitcnt lgkmcnt(0)
	v_xor_b32_e32 v7, 0x80000000, v13
	ds_write_b32 v5, v12 offset:24
	s_or_b64 exec, exec, s[10:11]
	v_add_u32_e32 v12, 0x2380, v22
	s_and_saveexec_b64 s[10:11], s[8:9]
	s_cbranch_execnz .LBB36_106
	s_branch .LBB36_107
.LBB36_135:
                                        ; implicit-def: $vgpr18_vgpr19
                                        ; implicit-def: $vgpr2
                                        ; implicit-def: $vgpr7
                                        ; implicit-def: $vgpr8
	s_cbranch_execz .LBB36_137
; %bb.136:
	s_lshl_b64 s[10:11], s[24:25], 6
	v_mov_b32_e32 v2, s11
	v_add_co_u32_e32 v5, vcc, s10, v3
	v_addc_co_u32_e32 v6, vcc, v4, v2, vcc
	v_add_co_u32_e32 v7, vcc, s10, v5
	v_addc_co_u32_e32 v8, vcc, v6, v2, vcc
	;; [unrolled: 2-line block ×3, first 2 shown]
	flat_load_dwordx2 v[21:22], v[3:4]
	flat_load_dwordx2 v[28:29], v[5:6]
	;; [unrolled: 1-line block ×4, first 2 shown]
	s_movk_i32 s10, 0x108
	v_mov_b32_e32 v19, v4
	v_add_u32_e32 v2, 8, v9
	v_add_u32_e32 v7, 16, v9
	;; [unrolled: 1-line block ×3, first 2 shown]
	v_mad_u32_u24 v5, v9, s10, v10
	v_mov_b32_e32 v18, v3
	s_waitcnt vmcnt(0) lgkmcnt(0)
	ds_write_b64 v5, v[21:22]
	ds_write_b64 v5, v[28:29] offset:2112
	ds_write_b64 v5, v[30:31] offset:4224
	;; [unrolled: 1-line block ×3, first 2 shown]
.LBB36_137:
	v_lshlrev_b32_e32 v3, 3, v9
	v_add_u32_e32 v4, v25, v3
	v_lshlrev_b32_e32 v2, 3, v2
	s_waitcnt lgkmcnt(0)
	s_barrier
	v_add_u32_e32 v5, v25, v2
	ds_read_b64 v[10:11], v4
	ds_read_b64 v[28:29], v2 offset:9088
	ds_read_b64 v[30:31], v5
	ds_read_b64 v[21:22], v3 offset:9088
	v_lshlrev_b32_e32 v3, 3, v7
	v_add_u32_e32 v4, v25, v3
	v_lshlrev_b32_e32 v5, 3, v8
	v_add_u32_e32 v6, v25, v5
	ds_read_b64 v[32:33], v4
	ds_read_b64 v[34:35], v6
	ds_read_b64 v[36:37], v5 offset:9088
	ds_read_b64 v[38:39], v3 offset:9088
	s_waitcnt lgkmcnt(4)
	v_mul_f32_e32 v2, v11, v22
	v_fmac_f32_e32 v2, v10, v21
	v_mul_f32_e32 v3, v31, v29
	v_add_f32_e32 v2, 0, v2
	v_fmac_f32_e32 v3, v30, v28
	v_add_f32_e32 v2, v2, v3
	s_waitcnt lgkmcnt(0)
	v_mul_f32_e32 v3, v33, v39
	v_fmac_f32_e32 v3, v32, v38
	v_add_f32_e32 v2, v2, v3
	v_mul_f32_e32 v3, v35, v37
	v_mul_f32_e32 v11, v11, v21
	v_fmac_f32_e32 v3, v34, v36
	v_mul_f32_e32 v31, v31, v28
	v_mul_f32_e32 v35, v35, v36
	v_add_f32_e32 v28, v2, v3
	ds_read_b128 v[6:9], v12 offset:256
	ds_read_b128 v[2:5], v12 offset:272
	v_fma_f32 v36, v10, v22, -v11
	ds_read2_b64 v[10:13], v27 offset1:33
	ds_read_b64 v[22:23], v20
	ds_read_b64 v[20:21], v27 offset:528
	v_mul_f32_e32 v33, v33, v38
	v_add_f32_e32 v27, 0, v36
	v_fma_f32 v29, v30, v29, -v31
	v_add_f32_e32 v27, v27, v29
	v_fma_f32 v29, v32, v39, -v33
	v_add_f32_e32 v27, v27, v29
	v_fma_f32 v29, v34, v37, -v35
	v_add_f32_e32 v29, v27, v29
	s_waitcnt lgkmcnt(0)
	s_barrier
	ds_write_b64 v26, v[28:29]
	s_waitcnt lgkmcnt(0)
	s_barrier
	s_and_saveexec_b64 s[10:11], s[8:9]
	s_cbranch_execz .LBB36_139
; %bb.138:
	ds_read2_b64 v[27:30], v25 offset1:1
	ds_read2_b64 v[31:34], v25 offset0:2 offset1:3
	ds_read2_b64 v[35:38], v25 offset0:4 offset1:5
	s_waitcnt lgkmcnt(2)
	v_add_f32_e32 v27, v52, v27
	v_add_f32_e32 v28, v53, v28
	;; [unrolled: 1-line block ×4, first 2 shown]
	s_waitcnt lgkmcnt(1)
	v_add_f32_e32 v27, v27, v31
	v_add_f32_e32 v28, v28, v32
	;; [unrolled: 1-line block ×4, first 2 shown]
	ds_read2_b64 v[27:30], v25 offset0:6 offset1:7
	s_waitcnt lgkmcnt(1)
	v_add_f32_e32 v31, v31, v35
	v_add_f32_e32 v32, v32, v36
	;; [unrolled: 1-line block ×4, first 2 shown]
	s_waitcnt lgkmcnt(0)
	v_add_f32_e32 v27, v31, v27
	v_add_f32_e32 v28, v32, v28
	;; [unrolled: 1-line block ×4, first 2 shown]
.LBB36_139:
	s_or_b64 exec, exec, s[10:11]
	v_mul_f32_e32 v27, v7, v23
	v_fma_f32 v27, v6, v22, -v27
	v_mul_f32_e32 v6, v6, v23
	v_fmac_f32_e32 v6, v7, v22
	v_mul_f32_e32 v22, v9, v11
	v_fma_f32 v22, v8, v10, -v22
	v_mul_f32_e32 v8, v8, v11
	v_add_f32_e32 v6, 0, v6
	v_fmac_f32_e32 v8, v9, v10
	v_add_f32_e32 v6, v6, v8
	v_mul_f32_e32 v8, v3, v13
	v_fma_f32 v8, v2, v12, -v8
	v_mul_f32_e32 v2, v2, v13
	v_fmac_f32_e32 v2, v3, v12
	v_add_f32_e32 v7, 0, v27
	v_add_f32_e32 v6, v6, v2
	v_mul_f32_e32 v2, v5, v21
	v_add_f32_e32 v7, v7, v22
	v_fma_f32 v2, v4, v20, -v2
	v_mul_f32_e32 v4, v4, v21
	v_add_f32_e32 v3, v7, v8
	v_fmac_f32_e32 v4, v5, v20
	v_add_f32_e32 v2, v3, v2
	v_add_f32_e32 v3, v6, v4
	s_barrier
	ds_write_b64 v26, v[2:3]
	s_waitcnt lgkmcnt(0)
	s_barrier
	s_and_saveexec_b64 s[8:9], s[2:3]
	s_cbranch_execz .LBB36_141
; %bb.140:
	ds_read2_b64 v[2:5], v25 offset1:1
	ds_read2_b64 v[6:9], v25 offset0:2 offset1:3
	ds_read2_b64 v[10:13], v25 offset0:4 offset1:5
	s_waitcnt lgkmcnt(2)
	v_add_f32_e32 v2, v52, v2
	v_add_f32_e32 v3, v53, v3
	;; [unrolled: 1-line block ×4, first 2 shown]
	s_waitcnt lgkmcnt(1)
	v_add_f32_e32 v2, v2, v6
	v_add_f32_e32 v3, v3, v7
	;; [unrolled: 1-line block ×4, first 2 shown]
	ds_read2_b64 v[2:5], v25 offset0:6 offset1:7
	s_waitcnt lgkmcnt(1)
	v_add_f32_e32 v6, v6, v10
	v_add_f32_e32 v7, v7, v11
	;; [unrolled: 1-line block ×4, first 2 shown]
	s_waitcnt lgkmcnt(0)
	v_add_f32_e32 v2, v6, v2
	v_add_f32_e32 v3, v7, v3
	;; [unrolled: 1-line block ×4, first 2 shown]
.LBB36_141:
	s_or_b64 exec, exec, s[8:9]
	s_load_dwordx2 s[2:3], s[4:5], 0x68
	s_mul_hi_u32 s4, s33, s28
	s_mul_i32 s38, s38, s28
	s_add_i32 s4, s4, s38
	s_mul_i32 s8, s33, s28
	s_mul_i32 s4, s4, s7
	s_mul_hi_u32 s5, s8, s7
	s_add_i32 s5, s5, s4
	s_mul_i32 s4, s8, s7
	s_lshl_b64 s[4:5], s[4:5], 3
	s_waitcnt lgkmcnt(0)
	s_add_u32 s4, s2, s4
	s_addc_u32 s5, s3, s5
	s_mul_hi_i32 s3, s33, s6
	s_mul_i32 s2, s33, s6
	s_lshl_b64 s[2:3], s[2:3], 3
	s_add_u32 s16, s4, s2
	s_addc_u32 s17, s5, s3
	s_add_i32 s2, s6, 1
	s_cmp_ge_u32 s2, s7
	v_lshlrev_b32_e32 v87, 3, v0
	s_barrier
	s_cbranch_scc1 .LBB36_199
; %bb.142:
	v_lshlrev_b32_e32 v7, 5, v1
	v_add_u32_e32 v4, 0x110, v7
	v_mad_u64_u32 v[2:3], s[2:3], s24, v4, 0
	v_add_u32_e32 v6, 0x298, v7
	v_add_u32_e32 v20, 0x100, v7
	v_mad_u64_u32 v[3:4], s[2:3], s25, v4, v[3:4]
	v_mad_u64_u32 v[4:5], s[2:3], s24, v6, 0
	v_sub_co_u32_e32 v8, vcc, v2, v16
	v_mov_b32_e32 v2, v5
	v_subb_co_u32_e32 v9, vcc, v3, v17, vcc
	v_mad_u64_u32 v[2:3], s[2:3], s25, v6, v[2:3]
	v_add_u32_e32 v3, 0x108, v7
	v_mad_u64_u32 v[5:6], s[2:3], s24, v3, 0
	v_sub_co_u32_e32 v10, vcc, v4, v16
	v_subb_co_u32_e32 v11, vcc, v2, v17, vcc
	v_mov_b32_e32 v2, v6
	v_mad_u64_u32 v[2:3], s[2:3], s25, v3, v[2:3]
	v_add_u32_e32 v6, 0x280, v7
	v_mad_u64_u32 v[3:4], s[2:3], s24, v6, 0
	v_sub_co_u32_e32 v12, vcc, v5, v16
	v_subb_co_u32_e32 v13, vcc, v2, v17, vcc
	v_mov_b32_e32 v2, v4
	v_mad_u64_u32 v[4:5], s[2:3], s25, v6, v[2:3]
	v_mad_u64_u32 v[5:6], s[2:3], s24, v20, 0
	v_sub_co_u32_e32 v21, vcc, v3, v16
	v_mov_b32_e32 v2, v6
	v_mad_u64_u32 v[2:3], s[2:3], s25, v20, v[2:3]
	v_add_u32_e32 v6, 0x288, v7
	v_subb_co_u32_e32 v22, vcc, v4, v17, vcc
	v_mad_u64_u32 v[3:4], s[2:3], s24, v6, 0
	v_sub_co_u32_e32 v20, vcc, v5, v16
	v_subb_co_u32_e32 v23, vcc, v2, v17, vcc
	v_mov_b32_e32 v2, v4
	v_mad_u64_u32 v[4:5], s[2:3], s25, v6, v[2:3]
	v_add_u32_e32 v25, 0x118, v7
	v_mad_u64_u32 v[5:6], s[2:3], s24, v25, 0
	v_sub_co_u32_e32 v26, vcc, v3, v16
	v_mov_b32_e32 v2, v6
	v_mad_u64_u32 v[2:3], s[2:3], s25, v25, v[2:3]
	v_add_u32_e32 v6, 0x190, v7
	v_subb_co_u32_e32 v27, vcc, v4, v17, vcc
	v_mad_u64_u32 v[3:4], s[2:3], s24, v6, 0
	v_sub_co_u32_e32 v25, vcc, v5, v16
	v_subb_co_u32_e32 v28, vcc, v2, v17, vcc
	v_mov_b32_e32 v2, v4
	v_mad_u64_u32 v[4:5], s[2:3], s25, v6, v[2:3]
	v_add_u32_e32 v29, 0x290, v7
	;; [unrolled: 12-line block ×5, first 2 shown]
	v_mad_u64_u32 v[5:6], s[2:3], s24, v41, 0
	v_sub_co_u32_e32 v42, vcc, v3, v16
	v_mov_b32_e32 v2, v6
	v_mad_u64_u32 v[2:3], s[2:3], s25, v41, v[2:3]
	v_add_u32_e32 v6, 0x210, v7
	v_subb_co_u32_e32 v43, vcc, v4, v17, vcc
	v_mad_u64_u32 v[3:4], s[2:3], s24, v6, 0
	v_sub_co_u32_e32 v41, vcc, v5, v16
	v_subb_co_u32_e32 v44, vcc, v2, v17, vcc
	v_mov_b32_e32 v2, v4
	v_mad_u64_u32 v[4:5], s[2:3], s25, v6, v[2:3]
	s_mul_i32 s2, s18, s27
	s_mul_hi_u32 s3, s18, s26
	s_add_i32 s2, s3, s2
	s_mul_i32 s3, s19, s26
	v_sub_co_u32_e32 v2, vcc, v3, v16
	s_add_i32 s3, s2, s3
	s_mul_i32 s2, s18, s26
	v_subb_co_u32_e32 v3, vcc, v4, v17, vcc
	s_lshl_b64 s[2:3], s[2:3], 3
	v_mov_b32_e32 v4, s3
	v_subrev_co_u32_e32 v89, vcc, s2, v14
	v_subb_co_u32_e32 v90, vcc, v15, v4, vcc
	v_add_co_u32_e32 v92, vcc, v18, v8
	v_addc_co_u32_e32 v93, vcc, v19, v9, vcc
	v_add_co_u32_e32 v94, vcc, v18, v10
	v_addc_co_u32_e32 v95, vcc, v19, v11, vcc
	;; [unrolled: 2-line block ×15, first 2 shown]
	v_add_co_u32_e32 v122, vcc, v18, v2
	v_and_b32_e32 v2, 48, v0
	v_lshrrev_b32_e32 v4, 4, v24
	v_and_b32_e32 v5, 15, v0
	s_movk_i32 s4, 0x218
	v_lshlrev_b32_e32 v2, 3, v2
	v_lshlrev_b32_e32 v6, 5, v4
	v_mad_u32_u24 v124, v5, s4, v2
	v_or_b32_e32 v2, 0x78, v87
	v_lshlrev_b32_e32 v88, 2, v1
	v_mad_u32_u24 v91, v5, s4, v6
	v_mad_u32_u24 v125, v5, s4, v2
	s_movk_i32 s4, 0x860
	v_mul_i32_i24_e32 v2, 0xffffffe8, v4
	s_add_i32 s21, s7, -2
	v_cmp_gt_u32_e64 s[2:3], 64, v24
	v_addc_co_u32_e32 v123, vcc, v19, v3, vcc
	v_add_u32_e32 v126, 0x2180, v87
	v_add_u32_e32 v127, 0x2180, v7
	s_add_i32 s26, s26, 64
	s_lshl_b64 s[10:11], s[24:25], 9
	v_add_u32_e32 v128, v91, v2
	v_add_u32_e32 v129, 0x2380, v87
	v_mad_u32_u24 v130, v1, s4, v87
	v_or_b32_e32 v131, 1, v88
	v_or_b32_e32 v132, 2, v88
	;; [unrolled: 1-line block ×3, first 2 shown]
	v_add_u32_e32 v134, 16, v88
	v_add_u32_e32 v135, 17, v88
	;; [unrolled: 1-line block ×12, first 2 shown]
	v_mov_b32_e32 v54, 0
	s_cmp_eq_u32 s21, s6
	s_cselect_b32 s24, s29, 0
	s_and_saveexec_b64 s[4:5], s[0:1]
	s_cbranch_execz .LBB36_148
	s_branch .LBB36_144
.LBB36_143:                             ;   in Loop: Header=BB36_148 Depth=1
	s_mov_b32 s6, s4
	s_cmp_eq_u32 s21, s6
	s_cselect_b32 s24, s29, 0
	s_and_saveexec_b64 s[4:5], s[0:1]
	s_cbranch_execz .LBB36_148
.LBB36_144:
	s_cmp_lg_u32 s24, 0
	s_cselect_b64 s[8:9], -1, 0
	v_cmp_le_i32_e32 vcc, s24, v0
	s_and_b64 s[8:9], s[8:9], vcc
	s_and_saveexec_b64 s[12:13], s[8:9]
	s_xor_b64 s[8:9], exec, s[12:13]
; %bb.145:
	v_mov_b32_e32 v55, v54
	ds_write_b64 v126, v[54:55]
; %bb.146:
	s_andn2_saveexec_b64 s[8:9], s[8:9]
	s_cbranch_execz .LBB36_148
; %bb.147:
	s_ashr_i32 s8, s26, 31
	s_mul_hi_u32 s9, s18, s26
	s_mul_i32 s8, s18, s8
	s_add_i32 s8, s9, s8
	s_mul_i32 s9, s19, s26
	s_add_i32 s9, s8, s9
	s_mul_i32 s8, s18, s26
	s_lshl_b64 s[8:9], s[8:9], 3
	v_mov_b32_e32 v3, s9
	v_add_co_u32_e32 v2, vcc, s8, v89
	v_addc_co_u32_e32 v3, vcc, v90, v3, vcc
	flat_load_dwordx2 v[2:3], v[2:3]
	s_waitcnt vmcnt(0) lgkmcnt(0)
	ds_write_b64 v126, v[2:3]
.LBB36_148:                             ; =>This Inner Loop Header: Depth=1
	s_or_b64 exec, exec, s[4:5]
	s_cmp_eq_u32 s24, 0
	v_add_co_u32_e32 v2, vcc, v100, v87
	s_cselect_b64 s[12:13], -1, 0
	s_cmp_lg_u32 s24, 0
	v_addc_co_u32_e32 v3, vcc, 0, v101, vcc
	s_cselect_b64 s[8:9], -1, 0
	s_and_b64 vcc, exec, s[8:9]
	s_waitcnt lgkmcnt(0)
	s_barrier
	s_cbranch_vccz .LBB36_156
; %bb.149:                              ;   in Loop: Header=BB36_148 Depth=1
	v_cmp_gt_i32_e32 vcc, s24, v88
	v_mov_b32_e32 v57, 0
	v_mov_b32_e32 v55, 0
	v_mov_b32_e32 v56, 0
	s_and_saveexec_b64 s[4:5], vcc
	s_cbranch_execz .LBB36_151
; %bb.150:                              ;   in Loop: Header=BB36_148 Depth=1
	flat_load_dwordx2 v[55:56], v[2:3]
.LBB36_151:                             ;   in Loop: Header=BB36_148 Depth=1
	s_or_b64 exec, exec, s[4:5]
	v_cmp_gt_i32_e32 vcc, s24, v131
	v_mov_b32_e32 v58, 0
	s_and_saveexec_b64 s[4:5], vcc
	s_cbranch_execz .LBB36_153
; %bb.152:                              ;   in Loop: Header=BB36_148 Depth=1
	v_add_co_u32_e32 v4, vcc, v96, v87
	v_addc_co_u32_e32 v5, vcc, 0, v97, vcc
	flat_load_dwordx2 v[57:58], v[4:5]
.LBB36_153:                             ;   in Loop: Header=BB36_148 Depth=1
	s_or_b64 exec, exec, s[4:5]
	v_cmp_gt_i32_e32 vcc, s24, v132
	v_mov_b32_e32 v59, 0
	v_mov_b32_e32 v60, 0
	s_and_saveexec_b64 s[4:5], vcc
	s_cbranch_execz .LBB36_155
; %bb.154:                              ;   in Loop: Header=BB36_148 Depth=1
	v_add_co_u32_e32 v4, vcc, v92, v87
	v_addc_co_u32_e32 v5, vcc, 0, v93, vcc
	flat_load_dwordx2 v[59:60], v[4:5]
.LBB36_155:                             ;   in Loop: Header=BB36_148 Depth=1
	s_or_b64 exec, exec, s[4:5]
	v_cmp_gt_i32_e64 s[4:5], s24, v133
	s_branch .LBB36_158
.LBB36_156:                             ;   in Loop: Header=BB36_148 Depth=1
	s_mov_b64 s[4:5], 0
                                        ; implicit-def: $vgpr56
                                        ; implicit-def: $vgpr58
                                        ; implicit-def: $vgpr60
	s_cbranch_execz .LBB36_158
; %bb.157:                              ;   in Loop: Header=BB36_148 Depth=1
	s_waitcnt vmcnt(0) lgkmcnt(0)
	flat_load_dwordx2 v[55:56], v[2:3]
	v_add_co_u32_e32 v2, vcc, v96, v87
	v_addc_co_u32_e32 v3, vcc, 0, v97, vcc
	flat_load_dwordx2 v[57:58], v[2:3]
	v_add_co_u32_e32 v2, vcc, v92, v87
	v_addc_co_u32_e32 v3, vcc, 0, v93, vcc
	flat_load_dwordx2 v[59:60], v[2:3]
	s_or_b64 s[4:5], s[4:5], exec
.LBB36_158:                             ;   in Loop: Header=BB36_148 Depth=1
	v_mov_b32_e32 v61, 0
	v_mov_b32_e32 v62, 0
	s_and_saveexec_b64 s[14:15], s[4:5]
	s_cbranch_execz .LBB36_160
; %bb.159:                              ;   in Loop: Header=BB36_148 Depth=1
	v_add_co_u32_e32 v2, vcc, v104, v87
	v_addc_co_u32_e32 v3, vcc, 0, v105, vcc
	flat_load_dwordx2 v[61:62], v[2:3]
.LBB36_160:                             ;   in Loop: Header=BB36_148 Depth=1
	s_or_b64 exec, exec, s[14:15]
	ds_read_b64 v[10:11], v129
	ds_read_b128 v[6:9], v127
	ds_read_b128 v[2:5], v127 offset:16
	s_andn2_b64 vcc, exec, s[8:9]
	s_waitcnt vmcnt(0) lgkmcnt(0)
	v_mul_f32_e32 v12, v56, v11
	v_mul_f32_e32 v13, v56, v10
	;; [unrolled: 1-line block ×4, first 2 shown]
	v_fmac_f32_e32 v12, v55, v10
	v_fma_f32 v13, v55, v11, -v13
	v_fmac_f32_e32 v14, v57, v10
	v_fma_f32 v15, v57, v11, -v15
	ds_write2_b64 v130, v[12:13], v[14:15] offset1:67
	v_mul_f32_e32 v12, v60, v11
	v_mul_f32_e32 v14, v62, v11
	v_fmac_f32_e32 v12, v59, v10
	v_mul_f32_e32 v13, v60, v10
	v_fmac_f32_e32 v14, v61, v10
	v_mul_f32_e32 v10, v62, v10
	v_fma_f32 v13, v59, v11, -v13
	v_fma_f32 v15, v61, v11, -v10
	ds_write2_b64 v130, v[12:13], v[14:15] offset0:134 offset1:201
	s_waitcnt lgkmcnt(0)
	s_barrier
	ds_read2_b64 v[22:25], v91 offset1:1
	ds_read2_b64 v[10:13], v91 offset0:2 offset1:3
	v_cndmask_b32_e64 v14, 0, 1, s[8:9]
	v_cmp_ne_u32_e64 s[4:5], 1, v14
	v_add_co_u32_e64 v14, s[8:9], v116, v87
	v_addc_co_u32_e64 v15, s[8:9], 0, v117, s[8:9]
	s_waitcnt lgkmcnt(0)
	s_barrier
	s_cbranch_vccnz .LBB36_168
; %bb.161:                              ;   in Loop: Header=BB36_148 Depth=1
	v_cmp_gt_i32_e32 vcc, s24, v134
	v_mov_b32_e32 v65, 0
	v_mov_b32_e32 v63, 0
	;; [unrolled: 1-line block ×3, first 2 shown]
	s_and_saveexec_b64 s[8:9], vcc
	s_cbranch_execz .LBB36_163
; %bb.162:                              ;   in Loop: Header=BB36_148 Depth=1
	flat_load_dwordx2 v[63:64], v[14:15]
.LBB36_163:                             ;   in Loop: Header=BB36_148 Depth=1
	s_or_b64 exec, exec, s[8:9]
	v_cmp_gt_i32_e32 vcc, s24, v135
	v_mov_b32_e32 v66, 0
	s_and_saveexec_b64 s[8:9], vcc
	s_cbranch_execz .LBB36_165
; %bb.164:                              ;   in Loop: Header=BB36_148 Depth=1
	v_add_co_u32_e32 v16, vcc, v112, v87
	v_addc_co_u32_e32 v17, vcc, 0, v113, vcc
	flat_load_dwordx2 v[65:66], v[16:17]
.LBB36_165:                             ;   in Loop: Header=BB36_148 Depth=1
	s_or_b64 exec, exec, s[8:9]
	v_cmp_gt_i32_e32 vcc, s24, v136
	v_mov_b32_e32 v67, 0
	v_mov_b32_e32 v68, 0
	s_and_saveexec_b64 s[8:9], vcc
	s_cbranch_execz .LBB36_167
; %bb.166:                              ;   in Loop: Header=BB36_148 Depth=1
	v_add_co_u32_e32 v16, vcc, v106, v87
	v_addc_co_u32_e32 v17, vcc, 0, v107, vcc
	flat_load_dwordx2 v[67:68], v[16:17]
.LBB36_167:                             ;   in Loop: Header=BB36_148 Depth=1
	s_or_b64 exec, exec, s[8:9]
	v_cmp_gt_i32_e64 s[8:9], s24, v137
	s_branch .LBB36_170
.LBB36_168:                             ;   in Loop: Header=BB36_148 Depth=1
	s_mov_b64 s[8:9], 0
                                        ; implicit-def: $vgpr64
                                        ; implicit-def: $vgpr66
                                        ; implicit-def: $vgpr68
	s_cbranch_execz .LBB36_170
; %bb.169:                              ;   in Loop: Header=BB36_148 Depth=1
	s_waitcnt vmcnt(0) lgkmcnt(0)
	flat_load_dwordx2 v[63:64], v[14:15]
	v_add_co_u32_e32 v14, vcc, v112, v87
	v_addc_co_u32_e32 v15, vcc, 0, v113, vcc
	flat_load_dwordx2 v[65:66], v[14:15]
	v_add_co_u32_e32 v14, vcc, v106, v87
	v_addc_co_u32_e32 v15, vcc, 0, v107, vcc
	flat_load_dwordx2 v[67:68], v[14:15]
	s_or_b64 s[8:9], s[8:9], exec
.LBB36_170:                             ;   in Loop: Header=BB36_148 Depth=1
	v_mov_b32_e32 v69, 0
	v_mov_b32_e32 v70, 0
	s_and_saveexec_b64 s[14:15], s[8:9]
	s_cbranch_execz .LBB36_172
; %bb.171:                              ;   in Loop: Header=BB36_148 Depth=1
	v_add_co_u32_e32 v14, vcc, v120, v87
	v_addc_co_u32_e32 v15, vcc, 0, v121, vcc
	flat_load_dwordx2 v[69:70], v[14:15]
.LBB36_172:                             ;   in Loop: Header=BB36_148 Depth=1
	s_or_b64 exec, exec, s[14:15]
	ds_read_b64 v[26:27], v129
	ds_read_b128 v[18:21], v127 offset:128
	ds_read_b128 v[14:17], v127 offset:144
	s_and_b64 vcc, exec, s[4:5]
	s_waitcnt vmcnt(0) lgkmcnt(0)
	v_mul_f32_e32 v28, v64, v27
	v_mul_f32_e32 v29, v64, v26
	;; [unrolled: 1-line block ×4, first 2 shown]
	v_fmac_f32_e32 v28, v63, v26
	v_fma_f32 v29, v63, v27, -v29
	v_fmac_f32_e32 v30, v65, v26
	v_fma_f32 v31, v65, v27, -v31
	ds_write2_b64 v130, v[28:29], v[30:31] offset1:67
	v_mul_f32_e32 v28, v68, v27
	v_mul_f32_e32 v30, v70, v27
	v_fmac_f32_e32 v28, v67, v26
	v_mul_f32_e32 v29, v68, v26
	v_fmac_f32_e32 v30, v69, v26
	v_mul_f32_e32 v26, v70, v26
	v_fma_f32 v29, v67, v27, -v29
	v_fma_f32 v31, v69, v27, -v26
	ds_write2_b64 v130, v[28:29], v[30:31] offset0:134 offset1:201
	s_waitcnt lgkmcnt(0)
	s_barrier
	ds_read2_b64 v[38:41], v91 offset1:1
	ds_read2_b64 v[34:37], v91 offset0:2 offset1:3
	v_add_co_u32_e64 v26, s[8:9], v114, v87
	v_addc_co_u32_e64 v27, s[8:9], 0, v115, s[8:9]
	s_waitcnt lgkmcnt(0)
	s_barrier
	s_cbranch_vccnz .LBB36_180
; %bb.173:                              ;   in Loop: Header=BB36_148 Depth=1
	v_cmp_gt_i32_e32 vcc, s24, v138
	v_mov_b32_e32 v73, 0
	v_mov_b32_e32 v71, 0
	;; [unrolled: 1-line block ×3, first 2 shown]
	s_and_saveexec_b64 s[8:9], vcc
	s_cbranch_execz .LBB36_175
; %bb.174:                              ;   in Loop: Header=BB36_148 Depth=1
	flat_load_dwordx2 v[71:72], v[26:27]
.LBB36_175:                             ;   in Loop: Header=BB36_148 Depth=1
	s_or_b64 exec, exec, s[8:9]
	v_cmp_gt_i32_e32 vcc, s24, v139
	v_mov_b32_e32 v74, 0
	s_and_saveexec_b64 s[8:9], vcc
	s_cbranch_execz .LBB36_177
; %bb.176:                              ;   in Loop: Header=BB36_148 Depth=1
	v_add_co_u32_e32 v28, vcc, v118, v87
	v_addc_co_u32_e32 v29, vcc, 0, v119, vcc
	flat_load_dwordx2 v[73:74], v[28:29]
.LBB36_177:                             ;   in Loop: Header=BB36_148 Depth=1
	s_or_b64 exec, exec, s[8:9]
	v_cmp_gt_i32_e32 vcc, s24, v140
	v_mov_b32_e32 v75, 0
	v_mov_b32_e32 v76, 0
	s_and_saveexec_b64 s[8:9], vcc
	s_cbranch_execz .LBB36_179
; %bb.178:                              ;   in Loop: Header=BB36_148 Depth=1
	v_add_co_u32_e32 v28, vcc, v122, v87
	v_addc_co_u32_e32 v29, vcc, 0, v123, vcc
	flat_load_dwordx2 v[75:76], v[28:29]
.LBB36_179:                             ;   in Loop: Header=BB36_148 Depth=1
	s_or_b64 exec, exec, s[8:9]
	v_cmp_gt_i32_e64 s[8:9], s24, v141
	s_branch .LBB36_182
.LBB36_180:                             ;   in Loop: Header=BB36_148 Depth=1
	s_mov_b64 s[8:9], 0
                                        ; implicit-def: $vgpr72
                                        ; implicit-def: $vgpr74
                                        ; implicit-def: $vgpr76
	s_cbranch_execz .LBB36_182
; %bb.181:                              ;   in Loop: Header=BB36_148 Depth=1
	s_waitcnt vmcnt(0) lgkmcnt(0)
	flat_load_dwordx2 v[71:72], v[26:27]
	v_add_co_u32_e32 v26, vcc, v118, v87
	v_addc_co_u32_e32 v27, vcc, 0, v119, vcc
	flat_load_dwordx2 v[73:74], v[26:27]
	v_add_co_u32_e32 v26, vcc, v122, v87
	v_addc_co_u32_e32 v27, vcc, 0, v123, vcc
	flat_load_dwordx2 v[75:76], v[26:27]
	s_or_b64 s[8:9], s[8:9], exec
.LBB36_182:                             ;   in Loop: Header=BB36_148 Depth=1
	v_mov_b32_e32 v77, 0
	v_mov_b32_e32 v78, 0
	s_and_saveexec_b64 s[14:15], s[8:9]
	s_cbranch_execz .LBB36_184
; %bb.183:                              ;   in Loop: Header=BB36_148 Depth=1
	v_add_co_u32_e32 v26, vcc, v110, v87
	v_addc_co_u32_e32 v27, vcc, 0, v111, vcc
	flat_load_dwordx2 v[77:78], v[26:27]
.LBB36_184:                             ;   in Loop: Header=BB36_148 Depth=1
	s_or_b64 exec, exec, s[14:15]
	ds_read_b64 v[42:43], v129
	ds_read_b128 v[30:33], v127 offset:256
	ds_read_b128 v[26:29], v127 offset:272
	s_and_b64 vcc, exec, s[4:5]
	v_add_co_u32_e64 v85, s[4:5], v98, v87
	s_waitcnt vmcnt(0) lgkmcnt(0)
	v_mul_f32_e32 v44, v72, v43
	v_mul_f32_e32 v45, v72, v42
	;; [unrolled: 1-line block ×4, first 2 shown]
	v_fmac_f32_e32 v44, v71, v42
	v_fma_f32 v45, v71, v43, -v45
	v_fmac_f32_e32 v46, v73, v42
	v_fma_f32 v47, v73, v43, -v47
	ds_write2_b64 v130, v[44:45], v[46:47] offset1:67
	v_mul_f32_e32 v44, v76, v43
	v_mul_f32_e32 v46, v78, v43
	v_fmac_f32_e32 v44, v75, v42
	v_mul_f32_e32 v45, v76, v42
	v_fmac_f32_e32 v46, v77, v42
	v_mul_f32_e32 v42, v78, v42
	v_fma_f32 v45, v75, v43, -v45
	v_fma_f32 v47, v77, v43, -v42
	ds_write2_b64 v130, v[44:45], v[46:47] offset0:134 offset1:201
	s_waitcnt lgkmcnt(0)
	s_barrier
	ds_read2_b64 v[46:49], v91 offset1:1
	ds_read2_b64 v[42:45], v91 offset0:2 offset1:3
	v_addc_co_u32_e64 v86, s[4:5], 0, v99, s[4:5]
	s_waitcnt lgkmcnt(0)
	s_barrier
	s_cbranch_vccnz .LBB36_192
; %bb.185:                              ;   in Loop: Header=BB36_148 Depth=1
	v_cmp_gt_i32_e32 vcc, s24, v142
	v_mov_b32_e32 v81, 0
	v_mov_b32_e32 v79, 0
	;; [unrolled: 1-line block ×3, first 2 shown]
	s_and_saveexec_b64 s[4:5], vcc
	s_cbranch_execz .LBB36_187
; %bb.186:                              ;   in Loop: Header=BB36_148 Depth=1
	flat_load_dwordx2 v[79:80], v[85:86]
.LBB36_187:                             ;   in Loop: Header=BB36_148 Depth=1
	s_or_b64 exec, exec, s[4:5]
	v_cmp_gt_i32_e32 vcc, s24, v143
	v_mov_b32_e32 v82, 0
	s_and_saveexec_b64 s[4:5], vcc
	s_cbranch_execz .LBB36_189
; %bb.188:                              ;   in Loop: Header=BB36_148 Depth=1
	v_add_co_u32_e32 v81, vcc, v102, v87
	v_addc_co_u32_e32 v82, vcc, 0, v103, vcc
	flat_load_dwordx2 v[81:82], v[81:82]
.LBB36_189:                             ;   in Loop: Header=BB36_148 Depth=1
	s_or_b64 exec, exec, s[4:5]
	v_cmp_gt_i32_e32 vcc, s24, v144
	v_mov_b32_e32 v83, 0
	v_mov_b32_e32 v84, 0
	s_and_saveexec_b64 s[4:5], vcc
	s_cbranch_execz .LBB36_191
; %bb.190:                              ;   in Loop: Header=BB36_148 Depth=1
	v_add_co_u32_e32 v83, vcc, v108, v87
	v_addc_co_u32_e32 v84, vcc, 0, v109, vcc
	flat_load_dwordx2 v[83:84], v[83:84]
.LBB36_191:                             ;   in Loop: Header=BB36_148 Depth=1
	s_or_b64 exec, exec, s[4:5]
	v_cmp_gt_i32_e64 s[4:5], s24, v145
	s_branch .LBB36_194
.LBB36_192:                             ;   in Loop: Header=BB36_148 Depth=1
	s_mov_b64 s[4:5], 0
                                        ; implicit-def: $vgpr80
                                        ; implicit-def: $vgpr82
                                        ; implicit-def: $vgpr84
	s_cbranch_execz .LBB36_194
; %bb.193:                              ;   in Loop: Header=BB36_148 Depth=1
	s_waitcnt vmcnt(0) lgkmcnt(0)
	v_add_co_u32_e32 v81, vcc, v102, v87
	v_addc_co_u32_e32 v82, vcc, 0, v103, vcc
	v_add_co_u32_e32 v83, vcc, v108, v87
	v_addc_co_u32_e32 v84, vcc, 0, v109, vcc
	flat_load_dwordx2 v[79:80], v[85:86]
	s_or_b64 s[4:5], s[4:5], exec
	flat_load_dwordx2 v[81:82], v[81:82]
	s_nop 0
	flat_load_dwordx2 v[83:84], v[83:84]
.LBB36_194:                             ;   in Loop: Header=BB36_148 Depth=1
	v_mov_b32_e32 v85, 0
	v_mov_b32_e32 v86, 0
	s_and_saveexec_b64 s[8:9], s[4:5]
	s_cbranch_execz .LBB36_196
; %bb.195:                              ;   in Loop: Header=BB36_148 Depth=1
	v_add_co_u32_e32 v85, vcc, v94, v87
	v_addc_co_u32_e32 v86, vcc, 0, v95, vcc
	flat_load_dwordx2 v[85:86], v[85:86]
.LBB36_196:                             ;   in Loop: Header=BB36_148 Depth=1
	s_or_b64 exec, exec, s[8:9]
	v_add_f32_e32 v38, 0, v38
	v_add_f32_e32 v39, 0, v39
	;; [unrolled: 1-line block ×6, first 2 shown]
	ds_read_b64 v[38:39], v129
	v_add_f32_e32 v46, 0, v46
	v_add_f32_e32 v47, 0, v47
	;; [unrolled: 1-line block ×7, first 2 shown]
	s_waitcnt vmcnt(0) lgkmcnt(0)
	v_mul_f32_e32 v40, v80, v39
	v_mul_f32_e32 v41, v80, v38
	;; [unrolled: 1-line block ×4, first 2 shown]
	v_add_f32_e32 v23, 0, v23
	v_add_f32_e32 v22, v22, v24
	v_fmac_f32_e32 v40, v79, v38
	v_fma_f32 v41, v79, v39, -v41
	v_fmac_f32_e32 v46, v81, v38
	v_fma_f32 v47, v81, v39, -v47
	v_add_f32_e32 v42, v42, v44
	v_add_f32_e32 v43, v43, v45
	;; [unrolled: 1-line block ×6, first 2 shown]
	ds_read_b128 v[34:37], v127 offset:384
	ds_read_b128 v[22:25], v127 offset:400
	ds_write2_b64 v130, v[40:41], v[46:47] offset1:67
	v_mul_f32_e32 v40, v84, v39
	v_mul_f32_e32 v46, v86, v39
	v_fmac_f32_e32 v40, v83, v38
	v_mul_f32_e32 v41, v84, v38
	v_fmac_f32_e32 v46, v85, v38
	v_mul_f32_e32 v38, v86, v38
	v_fma_f32 v41, v83, v39, -v41
	v_fma_f32 v47, v85, v39, -v38
	ds_write2_b64 v130, v[40:41], v[46:47] offset0:134 offset1:201
	s_waitcnt lgkmcnt(0)
	s_barrier
	ds_read2_b64 v[38:41], v91 offset1:1
	v_add_f32_e32 v11, v48, v11
	v_add_f32_e32 v46, v10, v12
	;; [unrolled: 1-line block ×3, first 2 shown]
	ds_read2_b64 v[10:13], v91 offset0:2 offset1:3
	s_waitcnt lgkmcnt(1)
	v_add_f32_e32 v38, 0, v38
	v_add_f32_e32 v39, 0, v39
	v_cmp_gt_i32_e32 vcc, s24, v0
	v_add_f32_e32 v38, v38, v40
	v_add_f32_e32 v39, v39, v41
	s_or_b64 s[4:5], s[12:13], vcc
	s_waitcnt lgkmcnt(0)
	v_add_f32_e32 v10, v38, v10
	v_add_f32_e32 v11, v39, v11
	s_and_b64 s[8:9], s[2:3], s[4:5]
	v_add_f32_e32 v10, v10, v12
	v_add_f32_e32 v11, v11, v13
	s_barrier
	ds_write2_b64 v128, v[46:47], v[44:45] offset1:16
	ds_write2_b64 v128, v[42:43], v[10:11] offset0:32 offset1:48
	s_waitcnt lgkmcnt(0)
	s_barrier
	s_and_saveexec_b64 s[4:5], s[8:9]
	s_cbranch_execz .LBB36_198
; %bb.197:                              ;   in Loop: Header=BB36_148 Depth=1
	ds_read_b64 v[42:43], v124
	ds_read2_b64 v[10:13], v124 offset0:1 offset1:2
	ds_read2_b64 v[38:41], v124 offset0:3 offset1:4
	s_waitcnt lgkmcnt(1)
	v_add_f32_e32 v10, v10, v42
	v_add_f32_e32 v11, v11, v43
	v_add_f32_e32 v42, v12, v10
	v_add_f32_e32 v43, v13, v11
	ds_read2_b64 v[10:13], v124 offset0:5 offset1:6
	s_waitcnt lgkmcnt(1)
	v_add_f32_e32 v38, v42, v38
	v_add_f32_e32 v39, v43, v39
	;; [unrolled: 1-line block ×4, first 2 shown]
	s_waitcnt lgkmcnt(0)
	v_add_f32_e32 v10, v38, v10
	ds_read2_b64 v[38:41], v124 offset0:7 offset1:8
	v_add_f32_e32 v11, v42, v11
	v_add_f32_e32 v42, v10, v12
	;; [unrolled: 1-line block ×3, first 2 shown]
	ds_read2_b64 v[10:13], v124 offset0:9 offset1:10
	s_waitcnt lgkmcnt(1)
	v_add_f32_e32 v38, v42, v38
	v_add_f32_e32 v39, v43, v39
	v_add_f32_e32 v38, v38, v40
	v_add_f32_e32 v42, v39, v41
	s_waitcnt lgkmcnt(0)
	v_add_f32_e32 v10, v38, v10
	ds_read2_b64 v[38:41], v124 offset0:11 offset1:12
	v_add_f32_e32 v11, v42, v11
	v_add_f32_e32 v42, v10, v12
	;; [unrolled: 1-line block ×3, first 2 shown]
	ds_read2_b64 v[10:13], v124 offset0:13 offset1:14
	s_waitcnt lgkmcnt(1)
	v_add_f32_e32 v38, v42, v38
	v_add_f32_e32 v39, v43, v39
	;; [unrolled: 1-line block ×4, first 2 shown]
	ds_read_b64 v[38:39], v125
	s_waitcnt lgkmcnt(1)
	v_add_f32_e32 v10, v40, v10
	v_add_f32_e32 v11, v41, v11
	;; [unrolled: 1-line block ×3, first 2 shown]
	v_add_u32_e32 v12, s26, v0
	v_add_f32_e32 v11, v11, v13
	v_ashrrev_i32_e32 v13, 31, v12
	v_lshlrev_b64 v[12:13], 3, v[12:13]
	s_waitcnt lgkmcnt(0)
	v_add_f32_e32 v10, v10, v38
	v_mov_b32_e32 v38, s17
	v_add_co_u32_e32 v12, vcc, s16, v12
	v_add_f32_e32 v11, v11, v39
	v_addc_co_u32_e32 v13, vcc, v38, v13, vcc
	global_store_dwordx2 v[12:13], v[10:11], off
.LBB36_198:                             ;   in Loop: Header=BB36_148 Depth=1
	s_or_b64 exec, exec, s[4:5]
	v_mul_f32_e32 v10, v56, v7
	v_fma_f32 v10, v55, v6, -v10
	v_mul_f32_e32 v11, v58, v9
	v_mul_f32_e32 v7, v55, v7
	v_add_f32_e32 v10, v52, v10
	v_fma_f32 v11, v57, v8, -v11
	v_mul_f32_e32 v9, v57, v9
	v_add_f32_e32 v10, v10, v11
	v_mul_f32_e32 v11, v60, v3
	v_fmac_f32_e32 v7, v56, v6
	v_fma_f32 v11, v59, v2, -v11
	v_mul_f32_e32 v3, v59, v3
	v_add_f32_e32 v6, v53, v7
	v_fmac_f32_e32 v9, v58, v8
	v_add_f32_e32 v10, v10, v11
	v_mul_f32_e32 v11, v62, v5
	v_mul_f32_e32 v5, v61, v5
	v_add_f32_e32 v6, v6, v9
	v_fmac_f32_e32 v3, v60, v2
	v_fma_f32 v11, v61, v4, -v11
	v_add_f32_e32 v2, v6, v3
	v_fmac_f32_e32 v5, v62, v4
	v_mul_f32_e32 v3, v64, v19
	v_add_f32_e32 v10, v10, v11
	v_add_f32_e32 v2, v2, v5
	v_fma_f32 v3, v63, v18, -v3
	v_mul_f32_e32 v5, v66, v21
	v_add_f32_e32 v3, v10, v3
	v_fma_f32 v5, v65, v20, -v5
	v_mul_f32_e32 v4, v63, v19
	v_add_f32_e32 v3, v3, v5
	v_mul_f32_e32 v5, v68, v15
	v_mul_f32_e32 v6, v65, v21
	v_fma_f32 v5, v67, v14, -v5
	v_fmac_f32_e32 v4, v64, v18
	v_mul_f32_e32 v7, v67, v15
	v_add_f32_e32 v3, v3, v5
	v_mul_f32_e32 v5, v70, v17
	v_add_f32_e32 v2, v2, v4
	v_fmac_f32_e32 v6, v66, v20
	v_fma_f32 v5, v69, v16, -v5
	v_mul_f32_e32 v8, v69, v17
	v_add_f32_e32 v2, v2, v6
	v_fmac_f32_e32 v7, v68, v14
	v_add_f32_e32 v3, v3, v5
	v_add_f32_e32 v2, v2, v7
	v_fmac_f32_e32 v8, v70, v16
	v_mul_f32_e32 v5, v71, v31
	v_add_f32_e32 v2, v2, v8
	v_mul_f32_e32 v6, v73, v33
	v_fmac_f32_e32 v5, v72, v30
	v_mul_f32_e32 v7, v75, v27
	v_add_f32_e32 v2, v2, v5
	v_fmac_f32_e32 v6, v74, v32
	v_mul_f32_e32 v8, v77, v29
	v_add_f32_e32 v2, v2, v6
	v_fmac_f32_e32 v7, v76, v26
	v_add_f32_e32 v2, v2, v7
	v_fmac_f32_e32 v8, v78, v28
	v_mul_f32_e32 v5, v79, v35
	v_add_f32_e32 v2, v2, v8
	v_mul_f32_e32 v6, v81, v37
	v_fmac_f32_e32 v5, v80, v34
	v_mul_f32_e32 v7, v83, v23
	v_fmac_f32_e32 v6, v82, v36
	v_add_f32_e32 v2, v2, v5
	v_mul_f32_e32 v8, v85, v25
	v_fmac_f32_e32 v7, v84, v22
	v_add_f32_e32 v2, v2, v6
	v_fmac_f32_e32 v8, v86, v24
	v_add_f32_e32 v2, v2, v7
	v_add_f32_e32 v53, v2, v8
	v_mov_b32_e32 v2, s11
	v_add_co_u32_e32 v92, vcc, s10, v92
	v_addc_co_u32_e32 v93, vcc, v93, v2, vcc
	v_add_co_u32_e32 v94, vcc, s10, v94
	v_addc_co_u32_e32 v95, vcc, v95, v2, vcc
	;; [unrolled: 2-line block ×7, first 2 shown]
	v_add_co_u32_e32 v106, vcc, s10, v106
	v_mul_f32_e32 v4, v72, v31
	v_addc_co_u32_e32 v107, vcc, v107, v2, vcc
	v_fma_f32 v4, v71, v30, -v4
	v_add_co_u32_e32 v108, vcc, s10, v108
	v_add_f32_e32 v3, v3, v4
	v_mul_f32_e32 v4, v74, v33
	v_addc_co_u32_e32 v109, vcc, v109, v2, vcc
	v_fma_f32 v4, v73, v32, -v4
	v_add_co_u32_e32 v110, vcc, s10, v110
	v_add_f32_e32 v3, v3, v4
	;; [unrolled: 5-line block ×7, first 2 shown]
	v_mul_f32_e32 v4, v86, v25
	v_addc_co_u32_e32 v121, vcc, v121, v2, vcc
	v_fma_f32 v4, v85, v24, -v4
	s_add_i32 s4, s6, 1
	s_add_i32 s26, s26, 64
	;; [unrolled: 1-line block ×3, first 2 shown]
	v_add_co_u32_e32 v122, vcc, s10, v122
	v_add_f32_e32 v52, v3, v4
	s_cmp_ge_u32 s5, s7
	v_addc_co_u32_e32 v123, vcc, v123, v2, vcc
	s_waitcnt vmcnt(0)
	s_barrier
	s_cbranch_scc0 .LBB36_143
.LBB36_199:
	s_movk_i32 s2, 0x218
	v_cmp_gt_i32_e32 vcc, s20, v0
	v_mad_u32_u24 v1, v1, s2, v87
	s_or_b64 s[2:3], s[22:23], vcc
	s_and_b64 s[0:1], s[0:1], s[2:3]
	ds_write_b64 v1, v[52:53]
	s_waitcnt lgkmcnt(0)
	s_barrier
	s_and_saveexec_b64 s[2:3], s[0:1]
	s_cbranch_execz .LBB36_201
; %bb.200:
	ds_read2_b64 v[0:3], v87 offset1:67
	ds_read2_b64 v[4:7], v87 offset0:134 offset1:201
	s_waitcnt lgkmcnt(1)
	v_add_f32_e32 v0, v2, v0
	v_add_f32_e32 v1, v3, v1
	v_lshlrev_b64 v[2:3], 3, v[50:51]
	s_waitcnt lgkmcnt(0)
	v_add_f32_e32 v0, v4, v0
	v_add_f32_e32 v1, v5, v1
	v_mov_b32_e32 v4, s17
	v_add_co_u32_e32 v2, vcc, s16, v2
	v_add_f32_e32 v0, v0, v6
	v_add_f32_e32 v1, v1, v7
	v_addc_co_u32_e32 v3, vcc, v4, v3, vcc
	global_store_dwordx2 v[2:3], v[0:1], off
.LBB36_201:
	s_endpgm
	.section	.rodata,"a",@progbits
	.p2align	6, 0x0
	.amdhsa_kernel _ZL26rocblas_hemvn_kernel_upperILb1ELi64ELi4ELi33ELi32ELi16El19rocblas_complex_numIfEPKPKS1_PS1_EviT6_lT7_lT5_lS8_lS9_lS7_lT8_i
		.amdhsa_group_segment_fixed_size 9600
		.amdhsa_private_segment_fixed_size 0
		.amdhsa_kernarg_size 376
		.amdhsa_user_sgpr_count 6
		.amdhsa_user_sgpr_private_segment_buffer 1
		.amdhsa_user_sgpr_dispatch_ptr 0
		.amdhsa_user_sgpr_queue_ptr 0
		.amdhsa_user_sgpr_kernarg_segment_ptr 1
		.amdhsa_user_sgpr_dispatch_id 0
		.amdhsa_user_sgpr_flat_scratch_init 0
		.amdhsa_user_sgpr_private_segment_size 0
		.amdhsa_uses_dynamic_stack 0
		.amdhsa_system_sgpr_private_segment_wavefront_offset 0
		.amdhsa_system_sgpr_workgroup_id_x 1
		.amdhsa_system_sgpr_workgroup_id_y 0
		.amdhsa_system_sgpr_workgroup_id_z 1
		.amdhsa_system_sgpr_workgroup_info 0
		.amdhsa_system_vgpr_workitem_id 1
		.amdhsa_next_free_vgpr 146
		.amdhsa_next_free_sgpr 93
		.amdhsa_reserve_vcc 1
		.amdhsa_reserve_flat_scratch 0
		.amdhsa_float_round_mode_32 0
		.amdhsa_float_round_mode_16_64 0
		.amdhsa_float_denorm_mode_32 3
		.amdhsa_float_denorm_mode_16_64 3
		.amdhsa_dx10_clamp 1
		.amdhsa_ieee_mode 1
		.amdhsa_fp16_overflow 0
		.amdhsa_exception_fp_ieee_invalid_op 0
		.amdhsa_exception_fp_denorm_src 0
		.amdhsa_exception_fp_ieee_div_zero 0
		.amdhsa_exception_fp_ieee_overflow 0
		.amdhsa_exception_fp_ieee_underflow 0
		.amdhsa_exception_fp_ieee_inexact 0
		.amdhsa_exception_int_div_zero 0
	.end_amdhsa_kernel
	.section	.text._ZL26rocblas_hemvn_kernel_upperILb1ELi64ELi4ELi33ELi32ELi16El19rocblas_complex_numIfEPKPKS1_PS1_EviT6_lT7_lT5_lS8_lS9_lS7_lT8_i,"axG",@progbits,_ZL26rocblas_hemvn_kernel_upperILb1ELi64ELi4ELi33ELi32ELi16El19rocblas_complex_numIfEPKPKS1_PS1_EviT6_lT7_lT5_lS8_lS9_lS7_lT8_i,comdat
.Lfunc_end36:
	.size	_ZL26rocblas_hemvn_kernel_upperILb1ELi64ELi4ELi33ELi32ELi16El19rocblas_complex_numIfEPKPKS1_PS1_EviT6_lT7_lT5_lS8_lS9_lS7_lT8_i, .Lfunc_end36-_ZL26rocblas_hemvn_kernel_upperILb1ELi64ELi4ELi33ELi32ELi16El19rocblas_complex_numIfEPKPKS1_PS1_EviT6_lT7_lT5_lS8_lS9_lS7_lT8_i
                                        ; -- End function
	.set _ZL26rocblas_hemvn_kernel_upperILb1ELi64ELi4ELi33ELi32ELi16El19rocblas_complex_numIfEPKPKS1_PS1_EviT6_lT7_lT5_lS8_lS9_lS7_lT8_i.num_vgpr, 146
	.set _ZL26rocblas_hemvn_kernel_upperILb1ELi64ELi4ELi33ELi32ELi16El19rocblas_complex_numIfEPKPKS1_PS1_EviT6_lT7_lT5_lS8_lS9_lS7_lT8_i.num_agpr, 0
	.set _ZL26rocblas_hemvn_kernel_upperILb1ELi64ELi4ELi33ELi32ELi16El19rocblas_complex_numIfEPKPKS1_PS1_EviT6_lT7_lT5_lS8_lS9_lS7_lT8_i.numbered_sgpr, 42
	.set _ZL26rocblas_hemvn_kernel_upperILb1ELi64ELi4ELi33ELi32ELi16El19rocblas_complex_numIfEPKPKS1_PS1_EviT6_lT7_lT5_lS8_lS9_lS7_lT8_i.num_named_barrier, 0
	.set _ZL26rocblas_hemvn_kernel_upperILb1ELi64ELi4ELi33ELi32ELi16El19rocblas_complex_numIfEPKPKS1_PS1_EviT6_lT7_lT5_lS8_lS9_lS7_lT8_i.private_seg_size, 0
	.set _ZL26rocblas_hemvn_kernel_upperILb1ELi64ELi4ELi33ELi32ELi16El19rocblas_complex_numIfEPKPKS1_PS1_EviT6_lT7_lT5_lS8_lS9_lS7_lT8_i.uses_vcc, 1
	.set _ZL26rocblas_hemvn_kernel_upperILb1ELi64ELi4ELi33ELi32ELi16El19rocblas_complex_numIfEPKPKS1_PS1_EviT6_lT7_lT5_lS8_lS9_lS7_lT8_i.uses_flat_scratch, 0
	.set _ZL26rocblas_hemvn_kernel_upperILb1ELi64ELi4ELi33ELi32ELi16El19rocblas_complex_numIfEPKPKS1_PS1_EviT6_lT7_lT5_lS8_lS9_lS7_lT8_i.has_dyn_sized_stack, 0
	.set _ZL26rocblas_hemvn_kernel_upperILb1ELi64ELi4ELi33ELi32ELi16El19rocblas_complex_numIfEPKPKS1_PS1_EviT6_lT7_lT5_lS8_lS9_lS7_lT8_i.has_recursion, 0
	.set _ZL26rocblas_hemvn_kernel_upperILb1ELi64ELi4ELi33ELi32ELi16El19rocblas_complex_numIfEPKPKS1_PS1_EviT6_lT7_lT5_lS8_lS9_lS7_lT8_i.has_indirect_call, 0
	.section	.AMDGPU.csdata,"",@progbits
; Kernel info:
; codeLenInByte = 9012
; TotalNumSgprs: 46
; NumVgprs: 146
; ScratchSize: 0
; MemoryBound: 1
; FloatMode: 240
; IeeeMode: 1
; LDSByteSize: 9600 bytes/workgroup (compile time only)
; SGPRBlocks: 12
; VGPRBlocks: 36
; NumSGPRsForWavesPerEU: 97
; NumVGPRsForWavesPerEU: 146
; Occupancy: 1
; WaveLimiterHint : 1
; COMPUTE_PGM_RSRC2:SCRATCH_EN: 0
; COMPUTE_PGM_RSRC2:USER_SGPR: 6
; COMPUTE_PGM_RSRC2:TRAP_HANDLER: 0
; COMPUTE_PGM_RSRC2:TGID_X_EN: 1
; COMPUTE_PGM_RSRC2:TGID_Y_EN: 0
; COMPUTE_PGM_RSRC2:TGID_Z_EN: 1
; COMPUTE_PGM_RSRC2:TIDIG_COMP_CNT: 1
	.section	.text._ZL36rocblas_hemvn_kernel_upper_block_sumILi64El19rocblas_complex_numIfEPKPS1_S1_EviT1_lS5_lT2_lT0_lPT3_i,"axG",@progbits,_ZL36rocblas_hemvn_kernel_upper_block_sumILi64El19rocblas_complex_numIfEPKPS1_S1_EviT1_lS5_lT2_lT0_lPT3_i,comdat
	.globl	_ZL36rocblas_hemvn_kernel_upper_block_sumILi64El19rocblas_complex_numIfEPKPS1_S1_EviT1_lS5_lT2_lT0_lPT3_i ; -- Begin function _ZL36rocblas_hemvn_kernel_upper_block_sumILi64El19rocblas_complex_numIfEPKPS1_S1_EviT1_lS5_lT2_lT0_lPT3_i
	.p2align	8
	.type	_ZL36rocblas_hemvn_kernel_upper_block_sumILi64El19rocblas_complex_numIfEPKPS1_S1_EviT1_lS5_lT2_lT0_lPT3_i,@function
_ZL36rocblas_hemvn_kernel_upper_block_sumILi64El19rocblas_complex_numIfEPKPS1_S1_EviT1_lS5_lT2_lT0_lPT3_i: ; @_ZL36rocblas_hemvn_kernel_upper_block_sumILi64El19rocblas_complex_numIfEPKPS1_S1_EviT1_lS5_lT2_lT0_lPT3_i
; %bb.0:
	s_load_dwordx4 s[8:11], s[4:5], 0x0
	s_load_dwordx2 s[12:13], s[4:5], 0x18
	s_mov_b32 s14, s7
	s_waitcnt lgkmcnt(0)
	s_or_b32 s0, s9, s10
	s_bitset0_b32 s0, 31
	s_cmp_eq_u32 s0, 0
	s_cselect_b64 s[16:17], -1, 0
	s_cmp_lg_u32 s0, 0
	s_mov_b64 s[0:1], -1
	s_cbranch_scc1 .LBB37_2
; %bb.1:
	v_cmp_neq_f32_e64 s[0:1], s12, 1.0
	v_cmp_neq_f32_e64 s[2:3], s13, 0
	s_or_b64 s[0:1], s[0:1], s[2:3]
.LBB37_2:
	s_andn2_b64 vcc, exec, s[0:1]
	s_cbranch_vccnz .LBB37_19
; %bb.3:
	s_load_dwordx2 s[18:19], s[4:5], 0x28
	s_load_dwordx4 s[0:3], s[4:5], 0x30
	s_mov_b32 s15, 0
	s_lshl_b64 s[20:21], s[14:15], 3
	v_lshl_or_b32 v0, s6, 6, v0
	s_waitcnt lgkmcnt(0)
	s_add_u32 s18, s18, s20
	s_addc_u32 s19, s19, s21
	s_load_dwordx2 s[20:21], s[18:19], 0x0
	s_lshl_b64 s[0:1], s[0:1], 3
	s_mov_b64 s[18:19], -1
	s_waitcnt lgkmcnt(0)
	s_add_u32 s7, s20, s0
	s_addc_u32 s11, s21, s1
	s_andn2_b64 vcc, exec, s[16:17]
	v_cmp_gt_i32_e64 s[0:1], s8, v0
	s_cbranch_vccnz .LBB37_9
; %bb.4:
	s_and_saveexec_b64 s[16:17], s[0:1]
	s_cbranch_execz .LBB37_8
; %bb.5:
	v_ashrrev_i32_e32 v1, 31, v0
	v_mul_lo_u32 v4, s3, v0
	v_mul_lo_u32 v5, s2, v1
	v_mad_u64_u32 v[2:3], s[0:1], s2, v0, 0
	v_cmp_neq_f32_e64 s[0:1], s12, 0
	v_cmp_neq_f32_e64 s[18:19], s13, 0
	v_add3_u32 v3, v3, v5, v4
	s_or_b64 s[0:1], s[0:1], s[18:19]
	v_lshlrev_b64 v[3:4], 3, v[2:3]
	v_mov_b32_e32 v1, 0
	s_andn2_b64 vcc, exec, s[0:1]
	v_mov_b32_e32 v2, 0
	s_cbranch_vccnz .LBB37_7
; %bb.6:
	v_mov_b32_e32 v2, s11
	v_add_co_u32_e32 v1, vcc, s7, v3
	v_addc_co_u32_e32 v2, vcc, v2, v4, vcc
	flat_load_dwordx2 v[5:6], v[1:2]
	s_waitcnt vmcnt(0) lgkmcnt(0)
	v_mul_f32_e32 v1, s13, v6
	v_mul_f32_e32 v2, s12, v6
	v_fma_f32 v1, v5, s12, -v1
	v_fmac_f32_e32 v2, s13, v5
.LBB37_7:
	v_mov_b32_e32 v5, s11
	v_add_co_u32_e32 v3, vcc, s7, v3
	v_addc_co_u32_e32 v4, vcc, v5, v4, vcc
	flat_store_dwordx2 v[3:4], v[1:2]
.LBB37_8:
	s_or_b64 exec, exec, s[16:17]
	s_mov_b64 s[18:19], 0
.LBB37_9:
	s_andn2_b64 vcc, exec, s[18:19]
	s_cbranch_vccnz .LBB37_19
; %bb.10:
	v_cmp_gt_i32_e32 vcc, s8, v0
	s_and_saveexec_b64 s[0:1], vcc
	s_cbranch_execz .LBB37_19
; %bb.11:
	v_ashrrev_i32_e32 v1, 31, v0
	v_mov_b32_e32 v4, 0
	s_cmp_lt_i32 s6, 0
	v_mov_b32_e32 v5, 0
	s_cbranch_scc1 .LBB37_14
; %bb.12:
	s_load_dwordx2 s[16:17], s[4:5], 0x48
	s_load_dword s18, s[4:5], 0x58
	s_ashr_i32 s1, s8, 31
	s_add_i32 s4, s6, 1
	s_mul_hi_u32 s5, s8, s14
	s_mul_i32 s6, s1, s14
	s_add_i32 s5, s5, s6
	s_mul_i32 s6, s8, s14
	s_mov_b32 s0, s8
	s_waitcnt lgkmcnt(0)
	s_mul_i32 s5, s5, s18
	s_mul_hi_u32 s8, s6, s18
	s_add_i32 s15, s8, s5
	s_mul_i32 s14, s6, s18
	s_lshl_b64 s[14:15], s[14:15], 3
	v_lshlrev_b64 v[2:3], 3, v[0:1]
	s_add_u32 s5, s16, s14
	s_addc_u32 s6, s17, s15
	v_mov_b32_e32 v4, s6
	v_add_co_u32_e32 v2, vcc, s5, v2
	v_addc_co_u32_e32 v3, vcc, v4, v3, vcc
	v_add_co_u32_e32 v2, vcc, 4, v2
	s_lshl_b64 s[0:1], s[0:1], 3
	v_addc_co_u32_e32 v3, vcc, 0, v3, vcc
	v_mov_b32_e32 v4, 0
	v_mov_b32_e32 v6, s1
	;; [unrolled: 1-line block ×3, first 2 shown]
.LBB37_13:                              ; =>This Inner Loop Header: Depth=1
	global_load_dwordx2 v[7:8], v[2:3], off offset:-4
	s_add_i32 s4, s4, -1
	v_add_co_u32_e32 v2, vcc, s0, v2
	v_addc_co_u32_e32 v3, vcc, v3, v6, vcc
	s_cmp_eq_u32 s4, 0
	s_waitcnt vmcnt(0)
	v_add_f32_e32 v5, v5, v7
	v_add_f32_e32 v4, v4, v8
	s_cbranch_scc0 .LBB37_13
.LBB37_14:
	v_mul_lo_u32 v6, s3, v0
	v_mul_lo_u32 v7, s2, v1
	v_cmp_neq_f32_e64 s[0:1], s12, 0
	v_cmp_neq_f32_e64 s[4:5], s13, 0
	s_or_b64 s[0:1], s[0:1], s[4:5]
	v_mul_f32_e32 v3, s10, v4
	v_mul_f32_e32 v2, s9, v4
	s_andn2_b64 vcc, exec, s[0:1]
	v_fma_f32 v1, v5, s9, -v3
	v_fmac_f32_e32 v2, s10, v5
	s_cbranch_vccz .LBB37_16
; %bb.15:
	v_mad_u64_u32 v[3:4], s[0:1], s2, v0, 0
	v_add3_u32 v4, v4, v7, v6
	s_cbranch_execz .LBB37_17
	s_branch .LBB37_18
.LBB37_16:
                                        ; implicit-def: $vgpr3_vgpr4
.LBB37_17:
	v_mad_u64_u32 v[3:4], s[0:1], s2, v0, 0
	v_mov_b32_e32 v0, s11
	v_add3_u32 v4, v4, v7, v6
	v_lshlrev_b64 v[5:6], 3, v[3:4]
	v_add_co_u32_e32 v5, vcc, s7, v5
	v_addc_co_u32_e32 v6, vcc, v0, v6, vcc
	flat_load_dwordx2 v[5:6], v[5:6]
	s_waitcnt vmcnt(0) lgkmcnt(0)
	v_mul_f32_e32 v0, s13, v6
	v_mul_f32_e32 v6, s12, v6
	v_fma_f32 v0, v5, s12, -v0
	v_fmac_f32_e32 v6, s13, v5
	v_add_f32_e32 v1, v1, v0
	v_add_f32_e32 v2, v2, v6
.LBB37_18:
	v_lshlrev_b64 v[3:4], 3, v[3:4]
	v_mov_b32_e32 v0, s11
	v_add_co_u32_e32 v3, vcc, s7, v3
	v_addc_co_u32_e32 v4, vcc, v0, v4, vcc
	flat_store_dwordx2 v[3:4], v[1:2]
.LBB37_19:
	s_endpgm
	.section	.rodata,"a",@progbits
	.p2align	6, 0x0
	.amdhsa_kernel _ZL36rocblas_hemvn_kernel_upper_block_sumILi64El19rocblas_complex_numIfEPKPS1_S1_EviT1_lS5_lT2_lT0_lPT3_i
		.amdhsa_group_segment_fixed_size 0
		.amdhsa_private_segment_fixed_size 0
		.amdhsa_kernarg_size 344
		.amdhsa_user_sgpr_count 6
		.amdhsa_user_sgpr_private_segment_buffer 1
		.amdhsa_user_sgpr_dispatch_ptr 0
		.amdhsa_user_sgpr_queue_ptr 0
		.amdhsa_user_sgpr_kernarg_segment_ptr 1
		.amdhsa_user_sgpr_dispatch_id 0
		.amdhsa_user_sgpr_flat_scratch_init 0
		.amdhsa_user_sgpr_private_segment_size 0
		.amdhsa_uses_dynamic_stack 0
		.amdhsa_system_sgpr_private_segment_wavefront_offset 0
		.amdhsa_system_sgpr_workgroup_id_x 1
		.amdhsa_system_sgpr_workgroup_id_y 0
		.amdhsa_system_sgpr_workgroup_id_z 1
		.amdhsa_system_sgpr_workgroup_info 0
		.amdhsa_system_vgpr_workitem_id 0
		.amdhsa_next_free_vgpr 9
		.amdhsa_next_free_sgpr 22
		.amdhsa_reserve_vcc 1
		.amdhsa_reserve_flat_scratch 0
		.amdhsa_float_round_mode_32 0
		.amdhsa_float_round_mode_16_64 0
		.amdhsa_float_denorm_mode_32 3
		.amdhsa_float_denorm_mode_16_64 3
		.amdhsa_dx10_clamp 1
		.amdhsa_ieee_mode 1
		.amdhsa_fp16_overflow 0
		.amdhsa_exception_fp_ieee_invalid_op 0
		.amdhsa_exception_fp_denorm_src 0
		.amdhsa_exception_fp_ieee_div_zero 0
		.amdhsa_exception_fp_ieee_overflow 0
		.amdhsa_exception_fp_ieee_underflow 0
		.amdhsa_exception_fp_ieee_inexact 0
		.amdhsa_exception_int_div_zero 0
	.end_amdhsa_kernel
	.section	.text._ZL36rocblas_hemvn_kernel_upper_block_sumILi64El19rocblas_complex_numIfEPKPS1_S1_EviT1_lS5_lT2_lT0_lPT3_i,"axG",@progbits,_ZL36rocblas_hemvn_kernel_upper_block_sumILi64El19rocblas_complex_numIfEPKPS1_S1_EviT1_lS5_lT2_lT0_lPT3_i,comdat
.Lfunc_end37:
	.size	_ZL36rocblas_hemvn_kernel_upper_block_sumILi64El19rocblas_complex_numIfEPKPS1_S1_EviT1_lS5_lT2_lT0_lPT3_i, .Lfunc_end37-_ZL36rocblas_hemvn_kernel_upper_block_sumILi64El19rocblas_complex_numIfEPKPS1_S1_EviT1_lS5_lT2_lT0_lPT3_i
                                        ; -- End function
	.set _ZL36rocblas_hemvn_kernel_upper_block_sumILi64El19rocblas_complex_numIfEPKPS1_S1_EviT1_lS5_lT2_lT0_lPT3_i.num_vgpr, 9
	.set _ZL36rocblas_hemvn_kernel_upper_block_sumILi64El19rocblas_complex_numIfEPKPS1_S1_EviT1_lS5_lT2_lT0_lPT3_i.num_agpr, 0
	.set _ZL36rocblas_hemvn_kernel_upper_block_sumILi64El19rocblas_complex_numIfEPKPS1_S1_EviT1_lS5_lT2_lT0_lPT3_i.numbered_sgpr, 22
	.set _ZL36rocblas_hemvn_kernel_upper_block_sumILi64El19rocblas_complex_numIfEPKPS1_S1_EviT1_lS5_lT2_lT0_lPT3_i.num_named_barrier, 0
	.set _ZL36rocblas_hemvn_kernel_upper_block_sumILi64El19rocblas_complex_numIfEPKPS1_S1_EviT1_lS5_lT2_lT0_lPT3_i.private_seg_size, 0
	.set _ZL36rocblas_hemvn_kernel_upper_block_sumILi64El19rocblas_complex_numIfEPKPS1_S1_EviT1_lS5_lT2_lT0_lPT3_i.uses_vcc, 1
	.set _ZL36rocblas_hemvn_kernel_upper_block_sumILi64El19rocblas_complex_numIfEPKPS1_S1_EviT1_lS5_lT2_lT0_lPT3_i.uses_flat_scratch, 0
	.set _ZL36rocblas_hemvn_kernel_upper_block_sumILi64El19rocblas_complex_numIfEPKPS1_S1_EviT1_lS5_lT2_lT0_lPT3_i.has_dyn_sized_stack, 0
	.set _ZL36rocblas_hemvn_kernel_upper_block_sumILi64El19rocblas_complex_numIfEPKPS1_S1_EviT1_lS5_lT2_lT0_lPT3_i.has_recursion, 0
	.set _ZL36rocblas_hemvn_kernel_upper_block_sumILi64El19rocblas_complex_numIfEPKPS1_S1_EviT1_lS5_lT2_lT0_lPT3_i.has_indirect_call, 0
	.section	.AMDGPU.csdata,"",@progbits
; Kernel info:
; codeLenInByte = 724
; TotalNumSgprs: 26
; NumVgprs: 9
; ScratchSize: 0
; MemoryBound: 0
; FloatMode: 240
; IeeeMode: 1
; LDSByteSize: 0 bytes/workgroup (compile time only)
; SGPRBlocks: 3
; VGPRBlocks: 2
; NumSGPRsForWavesPerEU: 26
; NumVGPRsForWavesPerEU: 9
; Occupancy: 10
; WaveLimiterHint : 1
; COMPUTE_PGM_RSRC2:SCRATCH_EN: 0
; COMPUTE_PGM_RSRC2:USER_SGPR: 6
; COMPUTE_PGM_RSRC2:TRAP_HANDLER: 0
; COMPUTE_PGM_RSRC2:TGID_X_EN: 1
; COMPUTE_PGM_RSRC2:TGID_Y_EN: 0
; COMPUTE_PGM_RSRC2:TGID_Z_EN: 1
; COMPUTE_PGM_RSRC2:TIDIG_COMP_CNT: 0
	.section	.text._ZL26rocblas_hemvn_kernel_upperILb1ELi64ELi4ELi33ELi32ELi16Ei19rocblas_complex_numIfEPKPKS1_PS1_EviT6_lT7_lT5_lS8_lS9_lS7_lT8_i,"axG",@progbits,_ZL26rocblas_hemvn_kernel_upperILb1ELi64ELi4ELi33ELi32ELi16Ei19rocblas_complex_numIfEPKPKS1_PS1_EviT6_lT7_lT5_lS8_lS9_lS7_lT8_i,comdat
	.globl	_ZL26rocblas_hemvn_kernel_upperILb1ELi64ELi4ELi33ELi32ELi16Ei19rocblas_complex_numIfEPKPKS1_PS1_EviT6_lT7_lT5_lS8_lS9_lS7_lT8_i ; -- Begin function _ZL26rocblas_hemvn_kernel_upperILb1ELi64ELi4ELi33ELi32ELi16Ei19rocblas_complex_numIfEPKPKS1_PS1_EviT6_lT7_lT5_lS8_lS9_lS7_lT8_i
	.p2align	8
	.type	_ZL26rocblas_hemvn_kernel_upperILb1ELi64ELi4ELi33ELi32ELi16Ei19rocblas_complex_numIfEPKPKS1_PS1_EviT6_lT7_lT5_lS8_lS9_lS7_lT8_i,@function
_ZL26rocblas_hemvn_kernel_upperILb1ELi64ELi4ELi33ELi32ELi16Ei19rocblas_complex_numIfEPKPKS1_PS1_EviT6_lT7_lT5_lS8_lS9_lS7_lT8_i: ; @_ZL26rocblas_hemvn_kernel_upperILb1ELi64ELi4ELi33ELi32ELi16Ei19rocblas_complex_numIfEPKPKS1_PS1_EviT6_lT7_lT5_lS8_lS9_lS7_lT8_i
; %bb.0:
	s_load_dwordx2 s[0:1], s[4:5], 0x84
	s_add_u32 s10, s4, 0x78
	s_addc_u32 s11, s5, 0
	s_waitcnt lgkmcnt(0)
	s_lshr_b32 s2, s0, 16
	s_and_b32 s0, s0, 0xffff
	s_and_b32 s1, s1, 0xffff
	s_mul_i32 s0, s2, s0
	s_mul_i32 s0, s0, s1
	s_cmpk_lg_i32 s0, 0x100
	s_cbranch_scc1 .LBB38_201
; %bb.1:
	s_load_dwordx2 s[0:1], s[4:5], 0x4
	s_mov_b32 s22, s7
	s_waitcnt lgkmcnt(0)
	s_or_b32 s0, s0, s1
	s_bitset0_b32 s0, 31
	s_cmp_lg_u32 s0, 0
	s_mov_b64 s[0:1], -1
	s_cbranch_scc1 .LBB38_3
; %bb.2:
	s_load_dwordx2 s[0:1], s[4:5], 0x58
	s_waitcnt lgkmcnt(0)
	v_cmp_eq_f32_e64 s[2:3], s0, 1.0
	v_cmp_eq_f32_e64 s[0:1], s1, 0
	s_and_b64 s[0:1], s[2:3], s[0:1]
	s_andn2_b64 vcc, exec, s[0:1]
	s_mov_b64 s[0:1], 0
.LBB38_3:
	s_andn2_b64 vcc, exec, s[0:1]
	s_cbranch_vccnz .LBB38_201
; %bb.4:
	s_load_dwordx4 s[0:3], s[4:5], 0x18
	s_load_dwordx4 s[12:15], s[4:5], 0x38
	s_load_dword s33, s[4:5], 0x48
	s_mov_b32 s23, 0
	s_lshl_b64 s[8:9], s[22:23], 3
	s_waitcnt lgkmcnt(0)
	s_add_u32 s0, s0, s8
	s_addc_u32 s1, s1, s9
	s_add_u32 s12, s12, s8
	s_addc_u32 s13, s13, s9
	s_load_dwordx2 s[16:17], s[12:13], 0x0
	s_load_dword s40, s[4:5], 0x0
	s_load_dword s7, s[10:11], 0x0
	s_load_dwordx2 s[8:9], s[0:1], 0x0
	s_lshl_b64 s[0:1], s[14:15], 3
	s_waitcnt lgkmcnt(0)
	s_add_u32 s0, s16, s0
	s_addc_u32 s1, s17, s1
	s_lshl_b32 s26, s6, 6
	v_add_u32_e32 v50, s26, v0
	v_mul_lo_u32 v2, s33, v50
	s_ashr_i32 s41, s40, 31
	s_lshr_b32 s11, s41, 26
	s_add_i32 s11, s40, s11
	v_ashrrev_i32_e32 v3, 31, v2
	s_andn2_b32 s11, s11, 63
	v_lshlrev_b64 v[2:3], 3, v[2:3]
	s_add_i32 s10, s7, -1
	s_sub_i32 s23, s40, s11
	s_cmp_eq_u32 s6, s10
	v_mov_b32_e32 v4, s1
	v_add_co_u32_e32 v16, vcc, s0, v2
	s_cselect_b32 s18, s23, 0
	v_addc_co_u32_e32 v17, vcc, v4, v3, vcc
	v_cmp_eq_u32_e64 s[0:1], 0, v1
	s_and_saveexec_b64 s[10:11], s[0:1]
	s_cbranch_execz .LBB38_9
; %bb.5:
	s_cmp_lg_u32 s18, 0
	s_cselect_b64 s[12:13], -1, 0
	v_cmp_le_i32_e32 vcc, s18, v0
	v_mov_b32_e32 v2, 0x2380
	s_and_b64 s[12:13], s[12:13], vcc
	v_lshl_add_u32 v2, v0, 3, v2
	s_and_saveexec_b64 s[14:15], s[12:13]
	s_xor_b64 s[12:13], exec, s[14:15]
; %bb.6:
	v_mov_b32_e32 v3, 0
	v_mov_b32_e32 v4, v3
	ds_write_b64 v2, v[3:4]
                                        ; implicit-def: $vgpr2
; %bb.7:
	s_andn2_saveexec_b64 s[12:13], s[12:13]
	s_cbranch_execz .LBB38_9
; %bb.8:
	flat_load_dwordx2 v[3:4], v[16:17]
	s_waitcnt vmcnt(0) lgkmcnt(0)
	ds_write_b64 v2, v[3:4]
.LBB38_9:
	s_or_b64 exec, exec, s[10:11]
	s_load_dword s24, s[4:5], 0x28
	s_lshl_b64 s[2:3], s[2:3], 3
	v_lshl_add_u32 v24, v1, 6, v0
	s_add_u32 s8, s8, s2
	v_and_b32_e32 v2, 31, v0
	v_lshrrev_b32_e32 v9, 5, v24
	s_addc_u32 s9, s9, s3
	s_waitcnt lgkmcnt(0)
	v_mad_u64_u32 v[3:4], s[2:3], s24, v9, v[2:3]
	s_ashr_i32 s27, s26, 31
	s_lshl_b64 s[2:3], s[26:27], 3
	v_ashrrev_i32_e32 v4, 31, v3
	v_lshlrev_b64 v[14:15], 3, v[3:4]
	s_add_u32 s2, s8, s2
	s_addc_u32 s3, s9, s3
	v_add_co_u32_e32 v4, vcc, s2, v14
	s_mul_i32 s2, s24, s26
	v_mov_b32_e32 v3, s3
	s_ashr_i32 s3, s2, 31
	s_lshl_b64 s[2:3], s[2:3], 3
	v_addc_co_u32_e32 v3, vcc, v3, v15, vcc
	s_cmp_eq_u32 s18, 0
	v_mov_b32_e32 v6, s3
	v_add_co_u32_e32 v5, vcc, s2, v4
	s_cselect_b64 s[20:21], -1, 0
	s_cmp_lg_u32 s18, 0
	v_addc_co_u32_e32 v6, vcc, v3, v6, vcc
	s_cselect_b64 s[30:31], -1, 0
	s_and_b64 vcc, exec, s[30:31]
	v_cmp_gt_i32_e64 s[2:3], s18, v2
	v_lshlrev_b32_e32 v10, 3, v2
	s_cbranch_vccz .LBB38_27
; %bb.10:
	v_sub_co_u32_e32 v3, vcc, v5, v10
	s_ashr_i32 s19, s18, 31
	v_subbrev_co_u32_e32 v4, vcc, 0, v6, vcc
	s_lshl_b64 s[8:9], s[18:19], 3
	v_mov_b32_e32 v7, s9
	v_add_co_u32_e32 v3, vcc, s8, v3
	v_addc_co_u32_e32 v4, vcc, v4, v7, vcc
	v_add_co_u32_e32 v3, vcc, -8, v3
	v_addc_co_u32_e32 v4, vcc, -1, v4, vcc
	v_mul_u32_u24_e32 v7, 0x108, v9
	v_cndmask_b32_e64 v4, v4, v6, s[2:3]
	v_cndmask_b32_e64 v3, v3, v5, s[2:3]
	v_cmp_le_i32_e32 vcc, s18, v9
	v_add_u32_e32 v7, v10, v7
	s_and_saveexec_b64 s[10:11], vcc
	s_xor_b64 s[10:11], exec, s[10:11]
; %bb.11:
	v_mov_b32_e32 v11, 0
	v_mov_b32_e32 v12, v11
	ds_write_b64 v7, v[11:12]
; %bb.12:
	s_andn2_saveexec_b64 s[10:11], s[10:11]
	s_cbranch_execz .LBB38_14
; %bb.13:
	flat_load_dwordx2 v[11:12], v[3:4]
	s_waitcnt vmcnt(0) lgkmcnt(0)
	ds_write_b64 v7, v[11:12]
.LBB38_14:
	s_or_b64 exec, exec, s[10:11]
	v_add_u32_e32 v8, 8, v9
	v_cmp_le_i32_e32 vcc, s18, v8
	s_and_saveexec_b64 s[10:11], vcc
	s_xor_b64 s[10:11], exec, s[10:11]
; %bb.15:
	v_mov_b32_e32 v11, 0
	v_mov_b32_e32 v12, v11
	ds_write_b64 v7, v[11:12] offset:2112
; %bb.16:
	s_andn2_saveexec_b64 s[10:11], s[10:11]
	s_cbranch_execz .LBB38_18
; %bb.17:
	s_lshl_b32 s12, s24, 3
	s_ashr_i32 s13, s12, 31
	s_lshl_b64 s[12:13], s[12:13], 3
	v_mov_b32_e32 v8, s13
	v_add_co_u32_e32 v11, vcc, s12, v3
	v_addc_co_u32_e32 v12, vcc, v4, v8, vcc
	flat_load_dwordx2 v[11:12], v[11:12]
	s_waitcnt vmcnt(0) lgkmcnt(0)
	ds_write_b64 v7, v[11:12] offset:2112
.LBB38_18:
	s_or_b64 exec, exec, s[10:11]
	v_add_u32_e32 v8, 16, v9
	v_cmp_le_i32_e32 vcc, s18, v8
	s_and_saveexec_b64 s[10:11], vcc
	s_xor_b64 s[10:11], exec, s[10:11]
; %bb.19:
	v_mov_b32_e32 v11, 0
	v_mov_b32_e32 v12, v11
	ds_write_b64 v7, v[11:12] offset:4224
; %bb.20:
	s_andn2_saveexec_b64 s[10:11], s[10:11]
	s_cbranch_execz .LBB38_22
; %bb.21:
	s_lshl_b32 s12, s24, 4
	s_ashr_i32 s13, s12, 31
	s_lshl_b64 s[12:13], s[12:13], 3
	v_mov_b32_e32 v8, s13
	v_add_co_u32_e32 v11, vcc, s12, v3
	v_addc_co_u32_e32 v12, vcc, v4, v8, vcc
	flat_load_dwordx2 v[11:12], v[11:12]
	s_waitcnt vmcnt(0) lgkmcnt(0)
	ds_write_b64 v7, v[11:12] offset:4224
.LBB38_22:
	s_or_b64 exec, exec, s[10:11]
	v_add_u32_e32 v8, 24, v9
	v_cmp_le_i32_e32 vcc, s18, v8
	s_and_saveexec_b64 s[10:11], vcc
	s_xor_b64 s[10:11], exec, s[10:11]
; %bb.23:
	v_mov_b32_e32 v11, 0
	v_mov_b32_e32 v12, v11
	ds_write_b64 v7, v[11:12] offset:6336
                                        ; implicit-def: $vgpr7
; %bb.24:
	s_andn2_saveexec_b64 s[10:11], s[10:11]
	s_cbranch_execz .LBB38_26
; %bb.25:
	s_mul_i32 s12, s24, 24
	s_ashr_i32 s13, s12, 31
	s_lshl_b64 s[12:13], s[12:13], 3
	v_mov_b32_e32 v8, s13
	v_add_co_u32_e32 v11, vcc, s12, v3
	v_addc_co_u32_e32 v12, vcc, v4, v8, vcc
	flat_load_dwordx2 v[11:12], v[11:12]
	s_waitcnt vmcnt(0) lgkmcnt(0)
	ds_write_b64 v7, v[11:12] offset:6336
.LBB38_26:
	s_or_b64 exec, exec, s[10:11]
	v_add_co_u32_e32 v3, vcc, v3, v10
	v_addc_co_u32_e32 v4, vcc, 0, v4, vcc
	v_mov_b32_e32 v7, s9
	v_subrev_co_u32_e32 v3, vcc, s8, v3
	v_subb_co_u32_e32 v4, vcc, v4, v7, vcc
	v_add_co_u32_e32 v3, vcc, 8, v3
	v_addc_co_u32_e32 v4, vcc, 0, v4, vcc
	v_cndmask_b32_e64 v4, v4, v6, s[2:3]
	v_cndmask_b32_e64 v3, v3, v5, s[2:3]
	s_branch .LBB38_29
.LBB38_27:
                                        ; implicit-def: $vgpr3_vgpr4
	s_cbranch_execz .LBB38_29
; %bb.28:
	s_lshl_b32 s2, s24, 3
	s_ashr_i32 s3, s2, 31
	s_lshl_b64 s[2:3], s[2:3], 3
	v_mov_b32_e32 v4, s3
	v_add_co_u32_e32 v3, vcc, s2, v5
	s_ashr_i32 s25, s24, 31
	v_addc_co_u32_e32 v4, vcc, v6, v4, vcc
	s_lshl_b64 s[2:3], s[24:25], 6
	v_mov_b32_e32 v12, s3
	v_add_co_u32_e32 v7, vcc, s2, v3
	v_addc_co_u32_e32 v8, vcc, v4, v12, vcc
	v_add_co_u32_e32 v11, vcc, s2, v7
	v_addc_co_u32_e32 v12, vcc, v8, v12, vcc
	flat_load_dwordx2 v[18:19], v[5:6]
	flat_load_dwordx2 v[20:21], v[3:4]
	;; [unrolled: 1-line block ×4, first 2 shown]
	v_mul_u32_u24_e32 v3, 0x108, v9
	v_lshl_add_u32 v3, v2, 3, v3
	s_waitcnt vmcnt(0) lgkmcnt(0)
	ds_write_b64 v3, v[18:19]
	ds_write_b64 v3, v[20:21] offset:2112
	ds_write_b64 v3, v[22:23] offset:4224
	;; [unrolled: 1-line block ×3, first 2 shown]
	v_mov_b32_e32 v3, v5
	v_mov_b32_e32 v4, v6
.LBB38_29:
	v_lshlrev_b32_e32 v12, 2, v9
	v_mul_u32_u24_e32 v11, 0x108, v2
	v_cmp_le_u32_e64 s[16:17], v12, v2
	s_mov_b64 s[2:3], 0
	s_waitcnt lgkmcnt(0)
	s_barrier
                                        ; implicit-def: $vgpr6
	s_and_saveexec_b64 s[8:9], s[16:17]
	s_xor_b64 s[8:9], exec, s[8:9]
	s_cbranch_execz .LBB38_33
; %bb.30:
	v_cmp_eq_u32_e32 vcc, v12, v2
                                        ; implicit-def: $vgpr6
	s_and_saveexec_b64 s[10:11], vcc
	s_xor_b64 s[10:11], exec, s[10:11]
; %bb.31:
	s_mov_b64 s[2:3], exec
	v_add_u32_e32 v6, v10, v11
; %bb.32:
	s_or_b64 exec, exec, s[10:11]
	s_and_b64 s[2:3], s[2:3], exec
.LBB38_33:
	s_or_saveexec_b64 s[8:9], s[8:9]
	v_lshl_or_b32 v5, v2, 8, v10
	v_mov_b32_e32 v7, 0
	v_lshl_add_u32 v5, v12, 3, v5
	s_xor_b64 exec, exec, s[8:9]
	s_cbranch_execz .LBB38_35
; %bb.34:
	s_movk_i32 s10, 0x420
	v_mad_u32_u24 v6, v9, s10, v10
	ds_read_b64 v[6:7], v6
	s_or_b64 s[2:3], s[2:3], exec
	s_waitcnt lgkmcnt(0)
	v_xor_b32_e32 v7, 0x80000000, v7
	ds_write_b32 v5, v6
	v_mov_b32_e32 v6, v5
.LBB38_35:
	s_or_b64 exec, exec, s[8:9]
	s_and_saveexec_b64 s[8:9], s[2:3]
; %bb.36:
	ds_write_b32 v6, v7 offset:4
; %bb.37:
	s_or_b64 exec, exec, s[8:9]
	v_or_b32_e32 v13, 1, v12
	v_cmp_ge_u32_e64 s[8:9], v12, v2
	s_mov_b64 s[2:3], 0
                                        ; implicit-def: $vgpr7
                                        ; implicit-def: $vgpr6
	s_and_saveexec_b64 s[10:11], s[8:9]
	s_xor_b64 s[10:11], exec, s[10:11]
	s_cbranch_execz .LBB38_73
; %bb.38:
	s_movk_i32 s12, 0x108
	v_mad_u32_u24 v6, v13, s12, v10
	ds_read_b64 v[18:19], v6
	s_mov_b64 s[2:3], exec
	v_add_u32_e32 v6, 8, v5
	s_waitcnt lgkmcnt(0)
	v_xor_b32_e32 v7, 0x80000000, v19
	ds_write_b32 v5, v18 offset:8
	s_andn2_saveexec_b64 s[10:11], s[10:11]
	s_cbranch_execnz .LBB38_74
.LBB38_39:
	s_or_b64 exec, exec, s[10:11]
	s_and_saveexec_b64 s[10:11], s[2:3]
.LBB38_40:
	ds_write_b32 v6, v7 offset:4
.LBB38_41:
	s_or_b64 exec, exec, s[10:11]
	v_or_b32_e32 v18, 2, v12
	v_cmp_le_u32_e64 s[10:11], v18, v2
	s_mov_b64 s[2:3], 0
                                        ; implicit-def: $vgpr6
	s_and_saveexec_b64 s[12:13], s[10:11]
	s_xor_b64 s[12:13], exec, s[12:13]
	s_cbranch_execz .LBB38_77
; %bb.42:
	v_cmp_eq_u32_e32 vcc, v18, v2
                                        ; implicit-def: $vgpr6
	s_and_saveexec_b64 s[14:15], vcc
; %bb.43:
	s_mov_b64 s[2:3], exec
	v_add_u32_e32 v6, v10, v11
; %bb.44:
	s_or_b64 exec, exec, s[14:15]
	s_and_b64 s[2:3], s[2:3], exec
	s_or_saveexec_b64 s[12:13], s[12:13]
	v_mov_b32_e32 v7, 0
	s_xor_b64 exec, exec, s[12:13]
	s_cbranch_execnz .LBB38_78
.LBB38_45:
	s_or_b64 exec, exec, s[12:13]
	s_and_saveexec_b64 s[12:13], s[2:3]
.LBB38_46:
	ds_write_b32 v6, v7 offset:4
.LBB38_47:
	s_or_b64 exec, exec, s[12:13]
	v_or_b32_e32 v19, 3, v12
	v_cmp_le_u32_e64 s[12:13], v19, v2
	s_mov_b64 s[2:3], 0
                                        ; implicit-def: $vgpr6
	s_and_saveexec_b64 s[14:15], s[12:13]
	s_xor_b64 s[14:15], exec, s[14:15]
	s_cbranch_execz .LBB38_79
; %bb.48:
	v_cmp_eq_u32_e32 vcc, v19, v2
                                        ; implicit-def: $vgpr6
	s_and_saveexec_b64 s[28:29], vcc
; %bb.49:
	s_mov_b64 s[2:3], exec
	v_add_u32_e32 v6, v10, v11
; %bb.50:
	s_or_b64 exec, exec, s[28:29]
	s_and_b64 s[2:3], s[2:3], exec
                                        ; implicit-def: $vgpr5
	s_or_saveexec_b64 s[14:15], s[14:15]
	v_mov_b32_e32 v7, 0
	s_xor_b64 exec, exec, s[14:15]
	s_cbranch_execnz .LBB38_80
.LBB38_51:
	s_or_b64 exec, exec, s[14:15]
	s_and_saveexec_b64 s[14:15], s[2:3]
.LBB38_52:
	ds_write_b32 v6, v7 offset:4
.LBB38_53:
	s_or_b64 exec, exec, s[14:15]
	s_movk_i32 s2, 0x420
	v_mad_u32_u24 v5, v9, s2, v10
	s_waitcnt lgkmcnt(0)
	s_barrier
	v_lshlrev_b32_e32 v22, 3, v12
	ds_read_b64 v[20:21], v5
	ds_read_b128 v[5:8], v22 offset:9088
	ds_read_b128 v[25:28], v22 offset:9104
	s_movk_i32 s2, 0x108
	v_mov_b32_e32 v51, 0
	v_mov_b32_e32 v52, 0
	s_waitcnt lgkmcnt(1)
	v_mul_f32_e32 v23, v6, v21
	v_fma_f32 v23, v5, v20, -v23
	v_mul_f32_e32 v5, v5, v21
	v_mad_u32_u24 v21, v13, s2, v10
	ds_read2_b64 v[29:32], v21 offset1:33
	v_fmac_f32_e32 v5, v6, v20
	v_add_f32_e32 v6, 0, v23
	v_add_f32_e32 v5, 0, v5
	v_cmp_gt_u32_e64 s[2:3], 32, v24
	s_waitcnt lgkmcnt(0)
	v_mul_f32_e32 v20, v8, v30
	v_fma_f32 v20, v7, v29, -v20
	v_mul_f32_e32 v7, v7, v30
	v_fmac_f32_e32 v7, v8, v29
	v_add_f32_e32 v8, v6, v20
	v_add_f32_e32 v7, v5, v7
	ds_read_b64 v[5:6], v21 offset:528
	v_mul_f32_e32 v20, v26, v32
	v_fma_f32 v20, v25, v31, -v20
	v_mul_f32_e32 v21, v25, v32
	v_fmac_f32_e32 v21, v26, v31
	v_add_f32_e32 v8, v8, v20
	s_waitcnt lgkmcnt(0)
	v_mul_f32_e32 v20, v28, v6
	v_mul_f32_e32 v6, v27, v6
	v_add_f32_e32 v7, v7, v21
	v_fmac_f32_e32 v6, v28, v5
	v_add_f32_e32 v6, v7, v6
	v_mul_u32_u24_e32 v7, 33, v2
	v_fma_f32 v20, v27, v5, -v20
	v_lshlrev_b32_e32 v25, 3, v7
	v_add_f32_e32 v5, v8, v20
	v_lshl_add_u32 v26, v9, 3, v25
	s_barrier
	ds_write_b64 v26, v[5:6]
	s_waitcnt lgkmcnt(0)
	s_barrier
	s_and_saveexec_b64 s[14:15], s[2:3]
	s_cbranch_execz .LBB38_55
; %bb.54:
	ds_read2_b64 v[5:8], v25 offset1:7
	ds_read2_b64 v[27:30], v25 offset0:1 offset1:2
	ds_read2_b64 v[31:34], v25 offset0:3 offset1:4
	s_waitcnt lgkmcnt(1)
	v_add_f32_e32 v5, v27, v5
	v_add_f32_e32 v6, v28, v6
	;; [unrolled: 1-line block ×4, first 2 shown]
	ds_read2_b64 v[27:30], v25 offset0:5 offset1:6
	s_waitcnt lgkmcnt(1)
	v_add_f32_e32 v5, v5, v31
	v_add_f32_e32 v6, v6, v32
	;; [unrolled: 1-line block ×4, first 2 shown]
	s_waitcnt lgkmcnt(0)
	v_add_f32_e32 v5, v5, v27
	v_add_f32_e32 v6, v6, v28
	;; [unrolled: 1-line block ×6, first 2 shown]
.LBB38_55:
	s_or_b64 exec, exec, s[14:15]
	s_lshl_b32 s34, s24, 5
	s_ashr_i32 s35, s34, 31
	s_lshl_b64 s[28:29], s[34:35], 3
	v_mov_b32_e32 v5, s29
	v_add_co_u32_e32 v7, vcc, s28, v3
	v_addc_co_u32_e32 v8, vcc, v4, v5, vcc
	v_add_co_u32_e32 v5, vcc, 0x100, v7
	v_addc_co_u32_e32 v6, vcc, 0, v8, vcc
	s_and_b64 vcc, exec, s[30:31]
	s_barrier
	s_cbranch_vccz .LBB38_81
; %bb.56:
	v_sub_co_u32_e32 v4, vcc, v7, v10
	s_ashr_i32 s19, s18, 31
	v_subbrev_co_u32_e32 v20, vcc, 0, v8, vcc
	s_lshl_b64 s[36:37], s[18:19], 3
	v_mov_b32_e32 v21, s37
	v_add_co_u32_e32 v4, vcc, s36, v4
	v_addc_co_u32_e32 v20, vcc, v20, v21, vcc
	v_or_b32_e32 v3, 32, v2
	v_add_co_u32_e32 v21, vcc, -8, v4
	v_addc_co_u32_e32 v4, vcc, -1, v20, vcc
	v_cmp_gt_i32_e64 s[14:15], s18, v3
	s_sub_i32 s19, s18, 32
	v_mul_u32_u24_e32 v20, 0x108, v9
	v_cndmask_b32_e64 v4, v4, v6, s[14:15]
	v_cndmask_b32_e64 v3, v21, v5, s[14:15]
	v_cmp_le_i32_e32 vcc, s19, v9
	v_add_u32_e32 v20, v10, v20
	s_and_saveexec_b64 s[38:39], vcc
	s_xor_b64 s[38:39], exec, s[38:39]
; %bb.57:
	v_mov_b32_e32 v27, 0
	v_mov_b32_e32 v28, v27
	ds_write_b64 v20, v[27:28]
; %bb.58:
	s_andn2_saveexec_b64 s[38:39], s[38:39]
	s_cbranch_execz .LBB38_60
; %bb.59:
	flat_load_dwordx2 v[27:28], v[3:4]
	s_waitcnt vmcnt(0) lgkmcnt(0)
	ds_write_b64 v20, v[27:28]
.LBB38_60:
	s_or_b64 exec, exec, s[38:39]
	v_add_u32_e32 v21, 8, v9
	v_cmp_le_i32_e32 vcc, s19, v21
	s_and_saveexec_b64 s[38:39], vcc
	s_xor_b64 s[38:39], exec, s[38:39]
; %bb.61:
	v_mov_b32_e32 v27, 0
	v_mov_b32_e32 v28, v27
	ds_write_b64 v20, v[27:28] offset:2112
; %bb.62:
	s_andn2_saveexec_b64 s[38:39], s[38:39]
	s_cbranch_execz .LBB38_64
; %bb.63:
	s_lshl_b32 s42, s24, 3
	s_ashr_i32 s43, s42, 31
	s_lshl_b64 s[42:43], s[42:43], 3
	v_mov_b32_e32 v21, s43
	v_add_co_u32_e32 v27, vcc, s42, v3
	v_addc_co_u32_e32 v28, vcc, v4, v21, vcc
	flat_load_dwordx2 v[27:28], v[27:28]
	s_waitcnt vmcnt(0) lgkmcnt(0)
	ds_write_b64 v20, v[27:28] offset:2112
.LBB38_64:
	s_or_b64 exec, exec, s[38:39]
	v_add_u32_e32 v21, 16, v9
	v_cmp_le_i32_e32 vcc, s19, v21
	s_and_saveexec_b64 s[38:39], vcc
	s_xor_b64 s[38:39], exec, s[38:39]
; %bb.65:
	v_mov_b32_e32 v27, 0
	v_mov_b32_e32 v28, v27
	ds_write_b64 v20, v[27:28] offset:4224
; %bb.66:
	s_andn2_saveexec_b64 s[38:39], s[38:39]
	s_cbranch_execz .LBB38_68
; %bb.67:
	s_lshl_b32 s42, s24, 4
	s_ashr_i32 s43, s42, 31
	s_lshl_b64 s[42:43], s[42:43], 3
	v_mov_b32_e32 v21, s43
	v_add_co_u32_e32 v27, vcc, s42, v3
	v_addc_co_u32_e32 v28, vcc, v4, v21, vcc
	flat_load_dwordx2 v[27:28], v[27:28]
	s_waitcnt vmcnt(0) lgkmcnt(0)
	ds_write_b64 v20, v[27:28] offset:4224
.LBB38_68:
	s_or_b64 exec, exec, s[38:39]
	v_add_u32_e32 v21, 24, v9
	v_cmp_le_i32_e32 vcc, s19, v21
	s_and_saveexec_b64 s[38:39], vcc
	s_xor_b64 s[38:39], exec, s[38:39]
; %bb.69:
	v_mov_b32_e32 v27, 0
	v_mov_b32_e32 v28, v27
	ds_write_b64 v20, v[27:28] offset:6336
                                        ; implicit-def: $vgpr20
; %bb.70:
	s_andn2_saveexec_b64 s[38:39], s[38:39]
	s_cbranch_execz .LBB38_72
; %bb.71:
	s_mul_i32 s42, s24, 24
	s_ashr_i32 s43, s42, 31
	s_lshl_b64 s[42:43], s[42:43], 3
	v_mov_b32_e32 v21, s43
	v_add_co_u32_e32 v27, vcc, s42, v3
	v_addc_co_u32_e32 v28, vcc, v4, v21, vcc
	flat_load_dwordx2 v[27:28], v[27:28]
	s_waitcnt vmcnt(0) lgkmcnt(0)
	ds_write_b64 v20, v[27:28] offset:6336
.LBB38_72:
	s_or_b64 exec, exec, s[38:39]
	v_add_co_u32_e32 v3, vcc, v3, v10
	v_addc_co_u32_e32 v4, vcc, 0, v4, vcc
	v_mov_b32_e32 v20, s37
	v_subrev_co_u32_e32 v3, vcc, s36, v3
	v_subb_co_u32_e32 v4, vcc, v4, v20, vcc
	v_add_co_u32_e32 v3, vcc, 0x108, v3
	v_addc_co_u32_e32 v4, vcc, 0, v4, vcc
	v_cndmask_b32_e64 v4, v4, v6, s[14:15]
	v_cndmask_b32_e64 v3, v3, v5, s[14:15]
	s_branch .LBB38_83
.LBB38_73:
	s_andn2_saveexec_b64 s[10:11], s[10:11]
	s_cbranch_execz .LBB38_39
.LBB38_74:
	v_cmp_eq_u32_e32 vcc, v13, v2
	s_mov_b64 s[12:13], s[2:3]
                                        ; implicit-def: $vgpr6
	s_and_saveexec_b64 s[14:15], vcc
; %bb.75:
	v_add_u32_e32 v6, v10, v11
	s_or_b64 s[12:13], s[2:3], exec
; %bb.76:
	s_or_b64 exec, exec, s[14:15]
	s_andn2_b64 s[2:3], s[2:3], exec
	s_and_b64 s[12:13], s[12:13], exec
	v_mov_b32_e32 v7, 0
	s_or_b64 s[2:3], s[2:3], s[12:13]
	s_or_b64 exec, exec, s[10:11]
	s_and_saveexec_b64 s[10:11], s[2:3]
	s_cbranch_execnz .LBB38_40
	s_branch .LBB38_41
.LBB38_77:
	s_or_saveexec_b64 s[12:13], s[12:13]
	v_mov_b32_e32 v7, 0
	s_xor_b64 exec, exec, s[12:13]
	s_cbranch_execz .LBB38_45
.LBB38_78:
	s_movk_i32 s14, 0x108
	v_mad_u32_u24 v6, v18, s14, v10
	ds_read_b64 v[19:20], v6
	v_add_u32_e32 v6, 16, v5
	s_or_b64 s[2:3], s[2:3], exec
	s_waitcnt lgkmcnt(0)
	v_xor_b32_e32 v7, 0x80000000, v20
	ds_write_b32 v5, v19 offset:16
	s_or_b64 exec, exec, s[12:13]
	s_and_saveexec_b64 s[12:13], s[2:3]
	s_cbranch_execnz .LBB38_46
	s_branch .LBB38_47
.LBB38_79:
	s_or_saveexec_b64 s[14:15], s[14:15]
	v_mov_b32_e32 v7, 0
	s_xor_b64 exec, exec, s[14:15]
	s_cbranch_execz .LBB38_51
.LBB38_80:
	s_movk_i32 s19, 0x108
	v_mad_u32_u24 v6, v19, s19, v10
	ds_read_b64 v[20:21], v6
	v_add_u32_e32 v6, 24, v5
	s_or_b64 s[2:3], s[2:3], exec
	s_waitcnt lgkmcnt(0)
	v_xor_b32_e32 v7, 0x80000000, v21
	ds_write_b32 v5, v20 offset:24
	s_or_b64 exec, exec, s[14:15]
	s_and_saveexec_b64 s[14:15], s[2:3]
	s_cbranch_execnz .LBB38_52
	s_branch .LBB38_53
.LBB38_81:
                                        ; implicit-def: $vgpr3_vgpr4
	s_cbranch_execz .LBB38_83
; %bb.82:
	s_lshl_b32 s14, s24, 3
	s_ashr_i32 s15, s14, 31
	s_lshl_b64 s[14:15], s[14:15], 3
	v_mov_b32_e32 v4, s15
	v_add_co_u32_e32 v3, vcc, s14, v7
	s_ashr_i32 s25, s24, 31
	v_addc_co_u32_e32 v4, vcc, v8, v4, vcc
	s_lshl_b64 s[14:15], s[24:25], 6
	v_mov_b32_e32 v23, s15
	v_add_co_u32_e32 v20, vcc, s14, v3
	v_addc_co_u32_e32 v21, vcc, v4, v23, vcc
	v_add_co_u32_e32 v27, vcc, s14, v20
	v_addc_co_u32_e32 v28, vcc, v21, v23, vcc
	flat_load_dwordx2 v[29:30], v[7:8] offset:256
	flat_load_dwordx2 v[31:32], v[3:4] offset:256
	;; [unrolled: 1-line block ×4, first 2 shown]
	s_movk_i32 s14, 0x108
	v_mad_u32_u24 v3, v9, s14, v10
	s_waitcnt vmcnt(0) lgkmcnt(0)
	ds_write_b64 v3, v[29:30]
	ds_write_b64 v3, v[31:32] offset:2112
	ds_write_b64 v3, v[33:34] offset:4224
	;; [unrolled: 1-line block ×3, first 2 shown]
	v_mov_b32_e32 v3, v5
	v_mov_b32_e32 v4, v6
.LBB38_83:
	v_mul_u32_u24_e32 v5, 0x420, v9
	s_mov_b64 s[14:15], 0
	s_waitcnt lgkmcnt(0)
	s_barrier
                                        ; implicit-def: $vgpr6
	s_and_saveexec_b64 s[36:37], s[16:17]
	s_xor_b64 s[16:17], exec, s[36:37]
	s_cbranch_execz .LBB38_87
; %bb.84:
	v_cmp_eq_u32_e32 vcc, v12, v2
                                        ; implicit-def: $vgpr6
	s_and_saveexec_b64 s[36:37], vcc
	s_xor_b64 s[36:37], exec, s[36:37]
; %bb.85:
	s_mov_b64 s[14:15], exec
	v_add_u32_e32 v6, v10, v11
; %bb.86:
	s_or_b64 exec, exec, s[36:37]
	s_and_b64 s[14:15], s[14:15], exec
.LBB38_87:
	s_or_saveexec_b64 s[16:17], s[16:17]
	v_mov_b32_e32 v7, 0
	v_add_u32_e32 v20, v10, v5
	v_lshl_add_u32 v5, v12, 3, v25
	s_xor_b64 exec, exec, s[16:17]
	s_cbranch_execz .LBB38_89
; %bb.88:
	ds_read_b64 v[6:7], v20
	s_or_b64 s[14:15], s[14:15], exec
	s_waitcnt lgkmcnt(0)
	v_xor_b32_e32 v7, 0x80000000, v7
	ds_write_b32 v5, v6
	v_mov_b32_e32 v6, v5
.LBB38_89:
	s_or_b64 exec, exec, s[16:17]
	v_mul_u32_u24_e32 v8, 0x108, v13
	s_and_saveexec_b64 s[16:17], s[14:15]
; %bb.90:
	ds_write_b32 v6, v7 offset:4
; %bb.91:
	s_or_b64 exec, exec, s[16:17]
	s_mov_b64 s[14:15], 0
	v_add_u32_e32 v21, v10, v8
                                        ; implicit-def: $vgpr7
                                        ; implicit-def: $vgpr6
	s_and_saveexec_b64 s[16:17], s[8:9]
	s_xor_b64 s[8:9], exec, s[16:17]
	s_cbranch_execz .LBB38_127
; %bb.92:
	ds_read_b64 v[12:13], v21
	s_mov_b64 s[14:15], exec
	v_add_u32_e32 v6, 8, v5
	s_waitcnt lgkmcnt(0)
	v_xor_b32_e32 v7, 0x80000000, v13
	ds_write_b32 v5, v12 offset:8
                                        ; implicit-def: $vgpr13
	s_andn2_saveexec_b64 s[8:9], s[8:9]
	s_cbranch_execnz .LBB38_128
.LBB38_93:
	s_or_b64 exec, exec, s[8:9]
	s_and_saveexec_b64 s[8:9], s[14:15]
.LBB38_94:
	ds_write_b32 v6, v7 offset:4
.LBB38_95:
	s_or_b64 exec, exec, s[8:9]
	s_mov_b64 s[8:9], 0
                                        ; implicit-def: $vgpr6
	s_and_saveexec_b64 s[14:15], s[10:11]
	s_xor_b64 s[10:11], exec, s[14:15]
	s_cbranch_execz .LBB38_131
; %bb.96:
	v_cmp_eq_u32_e32 vcc, v18, v2
                                        ; implicit-def: $vgpr6
	s_and_saveexec_b64 s[14:15], vcc
; %bb.97:
	s_mov_b64 s[8:9], exec
	v_add_u32_e32 v6, v10, v11
; %bb.98:
	s_or_b64 exec, exec, s[14:15]
	s_and_b64 s[8:9], s[8:9], exec
	s_or_saveexec_b64 s[10:11], s[10:11]
	v_mov_b32_e32 v7, 0
	s_xor_b64 exec, exec, s[10:11]
	s_cbranch_execnz .LBB38_132
.LBB38_99:
	s_or_b64 exec, exec, s[10:11]
	s_and_saveexec_b64 s[10:11], s[8:9]
.LBB38_100:
	ds_write_b32 v6, v7 offset:4
.LBB38_101:
	s_or_b64 exec, exec, s[10:11]
	s_mov_b64 s[8:9], 0
                                        ; implicit-def: $vgpr6
	s_and_saveexec_b64 s[10:11], s[12:13]
	s_xor_b64 s[10:11], exec, s[10:11]
	s_cbranch_execz .LBB38_133
; %bb.102:
	v_cmp_eq_u32_e32 vcc, v19, v2
                                        ; implicit-def: $vgpr6
	s_and_saveexec_b64 s[12:13], vcc
; %bb.103:
	s_mov_b64 s[8:9], exec
	v_add_u32_e32 v6, v10, v11
; %bb.104:
	s_or_b64 exec, exec, s[12:13]
	s_and_b64 s[8:9], s[8:9], exec
                                        ; implicit-def: $vgpr5
	s_or_saveexec_b64 s[10:11], s[10:11]
	v_mov_b32_e32 v7, 0
	s_xor_b64 exec, exec, s[10:11]
	s_cbranch_execnz .LBB38_134
.LBB38_105:
	s_or_b64 exec, exec, s[10:11]
	v_add_u32_e32 v11, 0x2380, v22
	s_and_saveexec_b64 s[10:11], s[8:9]
.LBB38_106:
	ds_write_b32 v6, v7 offset:4
.LBB38_107:
	s_or_b64 exec, exec, s[10:11]
	s_waitcnt lgkmcnt(0)
	s_barrier
	ds_read_b64 v[12:13], v20
	ds_read_b128 v[5:8], v11 offset:256
	ds_read_b128 v[27:30], v11 offset:272
	ds_read_b64 v[18:19], v21 offset:528
	ds_read2_b64 v[31:34], v21 offset1:33
	v_cmp_eq_u32_e64 s[8:9], 1, v9
	s_waitcnt lgkmcnt(3)
	v_mul_f32_e32 v22, v6, v13
	v_fma_f32 v22, v5, v12, -v22
	v_mul_f32_e32 v5, v5, v13
	v_fmac_f32_e32 v5, v6, v12
	s_waitcnt lgkmcnt(0)
	v_mul_f32_e32 v12, v8, v32
	v_fma_f32 v12, v7, v31, -v12
	v_mul_f32_e32 v7, v7, v32
	v_add_f32_e32 v5, 0, v5
	v_fmac_f32_e32 v7, v8, v31
	v_add_f32_e32 v6, 0, v22
	v_add_f32_e32 v5, v5, v7
	v_mul_f32_e32 v7, v28, v34
	v_mul_f32_e32 v8, v27, v34
	v_add_f32_e32 v6, v6, v12
	v_fma_f32 v7, v27, v33, -v7
	v_fmac_f32_e32 v8, v28, v33
	v_add_f32_e32 v6, v6, v7
	v_add_f32_e32 v7, v5, v8
	v_mul_f32_e32 v5, v30, v19
	v_mul_f32_e32 v8, v29, v19
	v_fma_f32 v5, v29, v18, -v5
	v_fmac_f32_e32 v8, v30, v18
	v_add_f32_e32 v5, v6, v5
	v_add_f32_e32 v6, v7, v8
	s_barrier
	ds_write_b64 v26, v[5:6]
	s_waitcnt lgkmcnt(0)
	s_barrier
	s_and_saveexec_b64 s[10:11], s[8:9]
	s_cbranch_execz .LBB38_109
; %bb.108:
	ds_read2_b64 v[5:8], v25 offset1:7
	ds_read2_b64 v[27:30], v25 offset0:1 offset1:2
	ds_read2_b64 v[31:34], v25 offset0:3 offset1:4
	s_waitcnt lgkmcnt(1)
	v_add_f32_e32 v5, v27, v5
	v_add_f32_e32 v6, v28, v6
	;; [unrolled: 1-line block ×4, first 2 shown]
	ds_read2_b64 v[27:30], v25 offset0:5 offset1:6
	s_waitcnt lgkmcnt(1)
	v_add_f32_e32 v5, v5, v31
	v_add_f32_e32 v6, v6, v32
	;; [unrolled: 1-line block ×4, first 2 shown]
	s_waitcnt lgkmcnt(0)
	v_add_f32_e32 v5, v5, v27
	v_add_f32_e32 v6, v6, v28
	v_add_f32_e32 v5, v5, v29
	v_add_f32_e32 v6, v6, v30
	v_add_f32_e32 v51, v5, v7
	v_add_f32_e32 v52, v6, v8
.LBB38_109:
	s_or_b64 exec, exec, s[10:11]
	v_add_co_u32_e32 v3, vcc, 0xffffff00, v3
	v_addc_co_u32_e32 v4, vcc, -1, v4, vcc
	s_and_b64 vcc, exec, s[30:31]
	s_barrier
	s_cbranch_vccz .LBB38_135
; %bb.110:
	v_sub_co_u32_e32 v5, vcc, v3, v10
	s_ashr_i32 s19, s18, 31
	v_subbrev_co_u32_e32 v6, vcc, 0, v4, vcc
	s_lshl_b64 s[12:13], s[18:19], 3
	v_mov_b32_e32 v7, s13
	v_add_co_u32_e32 v5, vcc, s12, v5
	v_addc_co_u32_e32 v6, vcc, v6, v7, vcc
	v_add_co_u32_e32 v5, vcc, -8, v5
	v_addc_co_u32_e32 v6, vcc, -1, v6, vcc
	v_cmp_gt_i32_e32 vcc, s18, v2
	s_sub_i32 s16, s18, 32
	v_mul_u32_u24_e32 v2, 0x108, v9
	v_cndmask_b32_e32 v6, v6, v4, vcc
	v_cndmask_b32_e32 v5, v5, v3, vcc
	v_cmp_le_i32_e64 s[10:11], s16, v9
	v_add_u32_e32 v12, v10, v2
	s_and_saveexec_b64 s[14:15], s[10:11]
	s_xor_b64 s[10:11], exec, s[14:15]
; %bb.111:
	v_mov_b32_e32 v7, 0
	v_mov_b32_e32 v8, v7
	ds_write_b64 v12, v[7:8]
; %bb.112:
	s_andn2_saveexec_b64 s[10:11], s[10:11]
	s_cbranch_execz .LBB38_114
; %bb.113:
	flat_load_dwordx2 v[7:8], v[5:6]
	s_waitcnt vmcnt(0) lgkmcnt(0)
	ds_write_b64 v12, v[7:8]
.LBB38_114:
	s_or_b64 exec, exec, s[10:11]
	v_add_u32_e32 v2, 8, v9
	v_cmp_le_i32_e64 s[10:11], s16, v2
	s_and_saveexec_b64 s[14:15], s[10:11]
	s_xor_b64 s[10:11], exec, s[14:15]
; %bb.115:
	v_mov_b32_e32 v7, 0
	v_mov_b32_e32 v8, v7
	ds_write_b64 v12, v[7:8] offset:2112
; %bb.116:
	s_andn2_saveexec_b64 s[14:15], s[10:11]
	s_cbranch_execz .LBB38_118
; %bb.117:
	s_lshl_b32 s10, s24, 3
	s_ashr_i32 s11, s10, 31
	s_lshl_b64 s[10:11], s[10:11], 3
	v_mov_b32_e32 v8, s11
	v_add_co_u32_e64 v7, s[10:11], s10, v5
	v_addc_co_u32_e64 v8, s[10:11], v6, v8, s[10:11]
	flat_load_dwordx2 v[7:8], v[7:8]
	s_waitcnt vmcnt(0) lgkmcnt(0)
	ds_write_b64 v12, v[7:8] offset:2112
.LBB38_118:
	s_or_b64 exec, exec, s[14:15]
	v_add_u32_e32 v7, 16, v9
	v_cmp_le_i32_e64 s[10:11], s16, v7
	s_and_saveexec_b64 s[14:15], s[10:11]
	s_xor_b64 s[10:11], exec, s[14:15]
; %bb.119:
	v_mov_b32_e32 v18, 0
	v_mov_b32_e32 v19, v18
	ds_write_b64 v12, v[18:19] offset:4224
; %bb.120:
	s_andn2_saveexec_b64 s[14:15], s[10:11]
	s_cbranch_execz .LBB38_122
; %bb.121:
	s_lshl_b32 s10, s24, 4
	s_ashr_i32 s11, s10, 31
	s_lshl_b64 s[10:11], s[10:11], 3
	v_mov_b32_e32 v8, s11
	v_add_co_u32_e64 v18, s[10:11], s10, v5
	v_addc_co_u32_e64 v19, s[10:11], v6, v8, s[10:11]
	flat_load_dwordx2 v[18:19], v[18:19]
	s_waitcnt vmcnt(0) lgkmcnt(0)
	ds_write_b64 v12, v[18:19] offset:4224
.LBB38_122:
	s_or_b64 exec, exec, s[14:15]
	v_add_u32_e32 v8, 24, v9
	v_cmp_le_i32_e64 s[10:11], s16, v8
	s_and_saveexec_b64 s[14:15], s[10:11]
	s_xor_b64 s[10:11], exec, s[14:15]
; %bb.123:
	v_mov_b32_e32 v18, 0
	v_mov_b32_e32 v19, v18
	ds_write_b64 v12, v[18:19] offset:6336
                                        ; implicit-def: $vgpr12
; %bb.124:
	s_andn2_saveexec_b64 s[14:15], s[10:11]
	s_cbranch_execz .LBB38_126
; %bb.125:
	s_mul_i32 s10, s24, 24
	s_ashr_i32 s11, s10, 31
	s_lshl_b64 s[10:11], s[10:11], 3
	v_mov_b32_e32 v13, s11
	v_add_co_u32_e64 v18, s[10:11], s10, v5
	v_addc_co_u32_e64 v19, s[10:11], v6, v13, s[10:11]
	flat_load_dwordx2 v[18:19], v[18:19]
	s_waitcnt vmcnt(0) lgkmcnt(0)
	ds_write_b64 v12, v[18:19] offset:6336
.LBB38_126:
	s_or_b64 exec, exec, s[14:15]
	v_add_co_u32_e64 v5, s[10:11], v5, v10
	v_addc_co_u32_e64 v6, s[10:11], 0, v6, s[10:11]
	v_mov_b32_e32 v12, s13
	v_subrev_co_u32_e64 v5, s[10:11], s12, v5
	v_subb_co_u32_e64 v6, s[10:11], v6, v12, s[10:11]
	v_add_co_u32_e64 v5, s[10:11], 8, v5
	v_addc_co_u32_e64 v6, s[10:11], 0, v6, s[10:11]
	v_cndmask_b32_e32 v19, v6, v4, vcc
	v_cndmask_b32_e32 v18, v5, v3, vcc
	s_branch .LBB38_137
.LBB38_127:
	s_andn2_saveexec_b64 s[8:9], s[8:9]
	s_cbranch_execz .LBB38_93
.LBB38_128:
	v_cmp_eq_u32_e32 vcc, v13, v2
	s_mov_b64 s[16:17], s[14:15]
                                        ; implicit-def: $vgpr6
	s_and_saveexec_b64 s[36:37], vcc
; %bb.129:
	v_add_u32_e32 v6, v10, v11
	s_or_b64 s[16:17], s[14:15], exec
; %bb.130:
	s_or_b64 exec, exec, s[36:37]
	s_andn2_b64 s[14:15], s[14:15], exec
	s_and_b64 s[16:17], s[16:17], exec
	v_mov_b32_e32 v7, 0
	s_or_b64 s[14:15], s[14:15], s[16:17]
	s_or_b64 exec, exec, s[8:9]
	s_and_saveexec_b64 s[8:9], s[14:15]
	s_cbranch_execnz .LBB38_94
	s_branch .LBB38_95
.LBB38_131:
	s_or_saveexec_b64 s[10:11], s[10:11]
	v_mov_b32_e32 v7, 0
	s_xor_b64 exec, exec, s[10:11]
	s_cbranch_execz .LBB38_99
.LBB38_132:
	ds_read_b64 v[12:13], v21 offset:264
	v_add_u32_e32 v6, 16, v5
	s_or_b64 s[8:9], s[8:9], exec
	s_waitcnt lgkmcnt(0)
	v_xor_b32_e32 v7, 0x80000000, v13
	ds_write_b32 v5, v12 offset:16
	s_or_b64 exec, exec, s[10:11]
	s_and_saveexec_b64 s[10:11], s[8:9]
	s_cbranch_execnz .LBB38_100
	s_branch .LBB38_101
.LBB38_133:
	s_or_saveexec_b64 s[10:11], s[10:11]
	v_mov_b32_e32 v7, 0
	s_xor_b64 exec, exec, s[10:11]
	s_cbranch_execz .LBB38_105
.LBB38_134:
	ds_read_b64 v[11:12], v21 offset:528
	v_add_u32_e32 v6, 24, v5
	s_or_b64 s[8:9], s[8:9], exec
	s_waitcnt lgkmcnt(0)
	v_xor_b32_e32 v7, 0x80000000, v12
	ds_write_b32 v5, v11 offset:24
	s_or_b64 exec, exec, s[10:11]
	v_add_u32_e32 v11, 0x2380, v22
	s_and_saveexec_b64 s[10:11], s[8:9]
	s_cbranch_execnz .LBB38_106
	s_branch .LBB38_107
.LBB38_135:
                                        ; implicit-def: $vgpr18_vgpr19
                                        ; implicit-def: $vgpr2
                                        ; implicit-def: $vgpr7
                                        ; implicit-def: $vgpr8
	s_cbranch_execz .LBB38_137
; %bb.136:
	s_lshl_b32 s10, s24, 3
	s_ashr_i32 s11, s10, 31
	s_lshl_b64 s[10:11], s[10:11], 3
	v_mov_b32_e32 v2, s11
	v_add_co_u32_e32 v5, vcc, s10, v3
	s_ashr_i32 s25, s24, 31
	v_addc_co_u32_e32 v6, vcc, v4, v2, vcc
	s_lshl_b64 s[10:11], s[24:25], 6
	v_mov_b32_e32 v2, s11
	v_add_co_u32_e32 v7, vcc, s10, v5
	v_addc_co_u32_e32 v8, vcc, v6, v2, vcc
	v_add_co_u32_e32 v12, vcc, s10, v7
	v_addc_co_u32_e32 v13, vcc, v8, v2, vcc
	flat_load_dwordx2 v[18:19], v[3:4]
	flat_load_dwordx2 v[22:23], v[5:6]
	;; [unrolled: 1-line block ×4, first 2 shown]
	s_movk_i32 s10, 0x108
	v_mad_u32_u24 v5, v9, s10, v10
	v_add_u32_e32 v2, 8, v9
	v_add_u32_e32 v7, 16, v9
	;; [unrolled: 1-line block ×3, first 2 shown]
	s_waitcnt vmcnt(0) lgkmcnt(0)
	ds_write_b64 v5, v[18:19]
	ds_write_b64 v5, v[22:23] offset:2112
	ds_write_b64 v5, v[27:28] offset:4224
	;; [unrolled: 1-line block ×3, first 2 shown]
	v_mov_b32_e32 v19, v4
	v_mov_b32_e32 v18, v3
.LBB38_137:
	v_lshlrev_b32_e32 v3, 3, v9
	v_add_u32_e32 v4, v25, v3
	v_lshlrev_b32_e32 v2, 3, v2
	s_waitcnt lgkmcnt(0)
	s_barrier
	v_add_u32_e32 v5, v25, v2
	ds_read_b64 v[12:13], v4
	ds_read_b64 v[27:28], v2 offset:9088
	ds_read_b64 v[29:30], v5
	ds_read_b64 v[9:10], v3 offset:9088
	v_lshlrev_b32_e32 v3, 3, v7
	v_add_u32_e32 v4, v25, v3
	v_lshlrev_b32_e32 v5, 3, v8
	v_add_u32_e32 v6, v25, v5
	ds_read_b64 v[31:32], v4
	ds_read_b64 v[33:34], v6
	ds_read_b64 v[35:36], v5 offset:9088
	ds_read_b64 v[37:38], v3 offset:9088
	s_waitcnt lgkmcnt(4)
	v_mul_f32_e32 v2, v13, v10
	v_fmac_f32_e32 v2, v12, v9
	v_mul_f32_e32 v3, v30, v28
	v_add_f32_e32 v2, 0, v2
	v_fmac_f32_e32 v3, v29, v27
	v_add_f32_e32 v2, v2, v3
	s_waitcnt lgkmcnt(0)
	v_mul_f32_e32 v3, v32, v38
	v_fmac_f32_e32 v3, v31, v37
	v_add_f32_e32 v2, v2, v3
	v_mul_f32_e32 v3, v34, v36
	v_mul_f32_e32 v13, v13, v9
	v_fmac_f32_e32 v3, v33, v35
	v_mul_f32_e32 v30, v30, v27
	v_mul_f32_e32 v34, v34, v35
	v_add_f32_e32 v27, v2, v3
	ds_read_b128 v[6:9], v11 offset:256
	ds_read_b128 v[2:5], v11 offset:272
	v_fma_f32 v35, v12, v10, -v13
	ds_read2_b64 v[10:13], v21 offset1:33
	ds_read_b64 v[22:23], v20
	ds_read_b64 v[20:21], v21 offset:528
	v_mul_f32_e32 v32, v32, v37
	v_add_f32_e32 v35, 0, v35
	v_fma_f32 v28, v29, v28, -v30
	v_add_f32_e32 v28, v35, v28
	v_fma_f32 v29, v31, v38, -v32
	;; [unrolled: 2-line block ×3, first 2 shown]
	v_add_f32_e32 v28, v28, v29
	s_waitcnt lgkmcnt(0)
	s_barrier
	ds_write_b64 v26, v[27:28]
	s_waitcnt lgkmcnt(0)
	s_barrier
	s_and_saveexec_b64 s[10:11], s[8:9]
	s_cbranch_execz .LBB38_139
; %bb.138:
	ds_read2_b64 v[27:30], v25 offset1:1
	ds_read2_b64 v[31:34], v25 offset0:2 offset1:3
	ds_read2_b64 v[35:38], v25 offset0:4 offset1:5
	s_waitcnt lgkmcnt(2)
	v_add_f32_e32 v27, v51, v27
	v_add_f32_e32 v28, v52, v28
	v_add_f32_e32 v27, v27, v29
	v_add_f32_e32 v28, v28, v30
	s_waitcnt lgkmcnt(1)
	v_add_f32_e32 v27, v27, v31
	v_add_f32_e32 v28, v28, v32
	v_add_f32_e32 v31, v27, v33
	v_add_f32_e32 v32, v28, v34
	ds_read2_b64 v[27:30], v25 offset0:6 offset1:7
	s_waitcnt lgkmcnt(1)
	v_add_f32_e32 v31, v31, v35
	v_add_f32_e32 v32, v32, v36
	;; [unrolled: 1-line block ×4, first 2 shown]
	s_waitcnt lgkmcnt(0)
	v_add_f32_e32 v27, v31, v27
	v_add_f32_e32 v28, v32, v28
	;; [unrolled: 1-line block ×4, first 2 shown]
.LBB38_139:
	s_or_b64 exec, exec, s[10:11]
	v_mul_f32_e32 v27, v7, v23
	v_fma_f32 v27, v6, v22, -v27
	v_mul_f32_e32 v6, v6, v23
	v_fmac_f32_e32 v6, v7, v22
	v_mul_f32_e32 v22, v9, v11
	v_fma_f32 v22, v8, v10, -v22
	v_mul_f32_e32 v8, v8, v11
	v_add_f32_e32 v6, 0, v6
	v_fmac_f32_e32 v8, v9, v10
	v_add_f32_e32 v6, v6, v8
	v_mul_f32_e32 v8, v3, v13
	v_fma_f32 v8, v2, v12, -v8
	v_mul_f32_e32 v2, v2, v13
	v_fmac_f32_e32 v2, v3, v12
	v_add_f32_e32 v7, 0, v27
	v_add_f32_e32 v6, v6, v2
	v_mul_f32_e32 v2, v5, v21
	v_add_f32_e32 v7, v7, v22
	v_fma_f32 v2, v4, v20, -v2
	v_mul_f32_e32 v4, v4, v21
	v_add_f32_e32 v3, v7, v8
	v_fmac_f32_e32 v4, v5, v20
	v_add_f32_e32 v2, v3, v2
	v_add_f32_e32 v3, v6, v4
	s_barrier
	ds_write_b64 v26, v[2:3]
	s_waitcnt lgkmcnt(0)
	s_barrier
	s_and_saveexec_b64 s[8:9], s[2:3]
	s_cbranch_execz .LBB38_141
; %bb.140:
	ds_read2_b64 v[2:5], v25 offset1:1
	ds_read2_b64 v[6:9], v25 offset0:2 offset1:3
	ds_read2_b64 v[10:13], v25 offset0:4 offset1:5
	s_waitcnt lgkmcnt(2)
	v_add_f32_e32 v2, v51, v2
	v_add_f32_e32 v3, v52, v3
	;; [unrolled: 1-line block ×4, first 2 shown]
	s_waitcnt lgkmcnt(1)
	v_add_f32_e32 v2, v2, v6
	v_add_f32_e32 v3, v3, v7
	;; [unrolled: 1-line block ×4, first 2 shown]
	ds_read2_b64 v[2:5], v25 offset0:6 offset1:7
	s_waitcnt lgkmcnt(1)
	v_add_f32_e32 v6, v6, v10
	v_add_f32_e32 v7, v7, v11
	;; [unrolled: 1-line block ×4, first 2 shown]
	s_waitcnt lgkmcnt(0)
	v_add_f32_e32 v2, v6, v2
	v_add_f32_e32 v3, v7, v3
	;; [unrolled: 1-line block ×4, first 2 shown]
.LBB38_141:
	s_or_b64 exec, exec, s[8:9]
	s_load_dwordx2 s[2:3], s[4:5], 0x68
	s_mul_hi_u32 s4, s40, s22
	s_mul_i32 s41, s41, s22
	s_add_i32 s4, s4, s41
	s_mul_i32 s8, s40, s22
	s_mul_i32 s4, s4, s7
	s_mul_hi_u32 s5, s8, s7
	s_add_i32 s5, s5, s4
	s_mul_i32 s4, s8, s7
	s_lshl_b64 s[4:5], s[4:5], 3
	s_waitcnt lgkmcnt(0)
	s_add_u32 s4, s2, s4
	s_addc_u32 s5, s3, s5
	s_mul_hi_i32 s3, s40, s6
	s_mul_i32 s2, s40, s6
	s_lshl_b64 s[2:3], s[2:3], 3
	s_add_u32 s19, s4, s2
	s_addc_u32 s22, s5, s3
	s_add_i32 s8, s6, 1
	s_cmp_ge_u32 s8, s7
	v_lshlrev_b32_e32 v88, 3, v0
	s_barrier
	s_cbranch_scc1 .LBB38_199
; %bb.142:
	v_lshlrev_b32_e32 v89, 2, v1
	s_mul_i32 s2, s33, s26
	v_mad_u64_u32 v[2:3], s[4:5], s24, v89, v[0:1]
	s_ashr_i32 s3, s2, 31
	s_lshl_b64 s[2:3], s[2:3], 3
	v_subrev_co_u32_e32 v90, vcc, s2, v16
	s_lshl_b32 s27, s33, 6
	s_lshl_b32 s2, s24, 4
	s_ashr_i32 s25, s24, 31
	s_lshl_b32 s14, s24, 1
	s_mul_i32 s30, s24, 3
	s_mul_i32 s33, s33, s8
	v_mov_b32_e32 v4, s3
	v_ashrrev_i32_e32 v3, 31, v2
	s_add_i32 s26, s7, -2
	s_ashr_i32 s3, s2, 31
	s_ashr_i32 s15, s14, 31
	;; [unrolled: 1-line block ×3, first 2 shown]
	s_lshl_b64 s[4:5], s[24:25], 3
	s_lshl_b32 s10, s33, 6
	s_lshl_b64 s[16:17], s[24:25], 4
	v_subb_co_u32_e32 v91, vcc, v17, v4, vcc
	s_add_u32 s11, s16, s28
	v_lshlrev_b64 v[4:5], 3, v[2:3]
	s_addc_u32 s33, s17, s29
	v_mov_b32_e32 v6, s33
	v_add_co_u32_e32 v7, vcc, s11, v4
	v_addc_co_u32_e32 v6, vcc, v6, v5, vcc
	s_lshl_b64 s[12:13], s[2:3], 5
	s_lshl_b64 s[8:9], s[30:31], 3
	v_mov_b32_e32 v8, s35
	v_add_co_u32_e32 v2, vcc, s34, v2
	s_add_u32 s30, s4, s28
	v_addc_co_u32_e32 v3, vcc, v8, v3, vcc
	s_addc_u32 s31, s5, s29
	v_mov_b32_e32 v8, s31
	v_add_co_u32_e32 v9, vcc, s30, v4
	v_addc_co_u32_e32 v8, vcc, v8, v5, vcc
	s_lshl_b64 s[14:15], s[14:15], 3
	s_mul_i32 s36, s24, 0x180
	v_mov_b32_e32 v10, s29
	v_add_co_u32_e32 v11, vcc, s28, v4
	s_add_u32 s24, s28, s14
	v_addc_co_u32_e32 v10, vcc, v10, v5, vcc
	s_addc_u32 s25, s29, s15
	v_mov_b32_e32 v12, s25
	v_add_co_u32_e32 v13, vcc, s24, v4
	s_add_u32 s24, s28, s8
	v_addc_co_u32_e32 v12, vcc, v12, v5, vcc
	s_addc_u32 s25, s29, s9
	v_mov_b32_e32 v16, s25
	v_add_co_u32_e32 v17, vcc, s24, v4
	s_lshl_b64 s[24:25], s[2:3], 3
	s_add_u32 s34, s11, s24
	v_addc_co_u32_e32 v16, vcc, v16, v5, vcc
	s_addc_u32 s35, s33, s25
	s_mul_hi_i32 s37, s2, 24
	v_add_co_u32_e32 v21, vcc, s34, v4
	s_add_u32 s34, s36, s16
	v_mov_b32_e32 v20, s35
	s_addc_u32 s35, s37, s17
	s_lshl_b64 s[16:17], s[2:3], 4
	s_add_u32 s3, s16, s28
	s_addc_u32 s36, s17, s29
	s_add_u32 s37, s3, s8
	v_addc_co_u32_e32 v20, vcc, v20, v5, vcc
	s_addc_u32 s38, s36, s9
	v_mov_b32_e32 v22, s38
	v_add_co_u32_e32 v23, vcc, s37, v4
	s_add_u32 s30, s30, s24
	v_addc_co_u32_e32 v22, vcc, v22, v5, vcc
	s_addc_u32 s31, s31, s25
	v_mov_b32_e32 v25, s31
	v_add_co_u32_e32 v26, vcc, s30, v4
	;; [unrolled: 5-line block ×4, first 2 shown]
	v_addc_co_u32_e32 v29, vcc, v29, v5, vcc
	v_mov_b32_e32 v31, s36
	v_add_co_u32_e32 v32, vcc, s3, v4
	s_add_u32 s28, s24, s14
	v_addc_co_u32_e32 v31, vcc, v31, v5, vcc
	s_addc_u32 s29, s25, s15
	v_mov_b32_e32 v33, s29
	v_add_co_u32_e32 v34, vcc, s28, v4
	s_add_u32 s3, s3, s4
	v_addc_co_u32_e32 v33, vcc, v33, v5, vcc
	s_addc_u32 s28, s36, s5
	;; [unrolled: 5-line block ×4, first 2 shown]
	v_lshlrev_b64 v[2:3], 3, v[2:3]
	v_mov_b32_e32 v39, s11
	v_add_co_u32_e32 v40, vcc, s3, v4
	v_addc_co_u32_e32 v39, vcc, v39, v5, vcc
	v_mad_i64_i32 v[4:5], s[2:3], s2, 24, v[2:3]
	v_mov_b32_e32 v41, s35
	v_add_co_u32_e32 v2, vcc, s34, v2
	v_addc_co_u32_e32 v3, vcc, v41, v3, vcc
	v_mov_b32_e32 v41, s9
	v_add_co_u32_e32 v42, vcc, s8, v4
	v_addc_co_u32_e32 v41, vcc, v5, v41, vcc
	;; [unrolled: 3-line block ×4, first 2 shown]
	v_add_co_u32_e32 v92, vcc, v18, v4
	v_addc_co_u32_e32 v93, vcc, v19, v5, vcc
	v_add_co_u32_e32 v94, vcc, v18, v7
	v_addc_co_u32_e32 v95, vcc, v19, v6, vcc
	;; [unrolled: 2-line block ×18, first 2 shown]
	v_lshrrev_b32_e32 v2, 4, v24
	v_add_co_u32_e32 v128, vcc, v18, v38
	s_movk_i32 s4, 0x218
	v_and_b32_e32 v3, 15, v0
	v_lshlrev_b32_e32 v4, 5, v2
	v_addc_co_u32_e32 v129, vcc, v19, v37, vcc
	v_mad_u32_u24 v132, v3, s4, v4
	v_and_b32_e32 v4, 48, v0
	v_add_co_u32_e32 v130, vcc, v18, v40
	v_lshlrev_b32_e32 v4, 3, v4
	v_addc_co_u32_e32 v131, vcc, v19, v39, vcc
	v_mad_u32_u24 v133, v3, s4, v4
	v_or_b32_e32 v4, 0x78, v88
	v_mad_u32_u24 v134, v3, s4, v4
	v_sub_co_u32_e32 v135, vcc, 0, v14
	v_mov_b32_e32 v3, 0x2180
	s_movk_i32 s4, 0x860
	v_mul_i32_i24_e32 v2, 0xffffffe8, v2
	v_cmp_gt_u32_e64 s[2:3], 64, v24
	v_subb_co_u32_e32 v136, vcc, 0, v15, vcc
	v_lshl_add_u32 v137, v1, 5, v3
	v_add_u32_e32 v138, v132, v2
	v_add_u32_e32 v139, 0x2180, v88
	;; [unrolled: 1-line block ×3, first 2 shown]
	v_mad_u32_u24 v141, v1, s4, v88
	v_or_b32_e32 v142, 1, v89
	v_or_b32_e32 v143, 2, v89
	;; [unrolled: 1-line block ×3, first 2 shown]
	v_add_u32_e32 v145, 16, v89
	v_add_u32_e32 v146, 17, v89
	v_add_u32_e32 v147, 18, v89
	v_add_u32_e32 v148, 19, v89
	v_add_u32_e32 v149, 32, v89
	v_add_u32_e32 v150, 33, v89
	v_add_u32_e32 v151, 34, v89
	v_add_u32_e32 v152, 35, v89
	v_add_u32_e32 v153, 48, v89
	v_add_u32_e32 v154, 49, v89
	v_add_u32_e32 v155, 50, v89
	v_add_u32_e32 v156, 51, v89
	v_add_u32_e32 v53, 64, v50
	v_mov_b32_e32 v55, 0
	s_cmp_eq_u32 s26, s6
	s_cselect_b32 s24, s23, 0
	s_and_saveexec_b64 s[4:5], s[0:1]
	s_cbranch_execz .LBB38_148
	s_branch .LBB38_144
.LBB38_143:                             ;   in Loop: Header=BB38_148 Depth=1
	s_mov_b32 s6, s4
	s_cmp_eq_u32 s26, s6
	s_cselect_b32 s24, s23, 0
	s_and_saveexec_b64 s[4:5], s[0:1]
	s_cbranch_execz .LBB38_148
.LBB38_144:
	s_cmp_lg_u32 s24, 0
	s_cselect_b64 s[8:9], -1, 0
	v_cmp_le_i32_e32 vcc, s24, v0
	s_and_b64 s[8:9], s[8:9], vcc
	s_and_saveexec_b64 s[14:15], s[8:9]
	s_xor_b64 s[8:9], exec, s[14:15]
; %bb.145:
	v_mov_b32_e32 v56, v55
	ds_write_b64 v139, v[55:56]
; %bb.146:
	s_andn2_saveexec_b64 s[8:9], s[8:9]
	s_cbranch_execz .LBB38_148
; %bb.147:
	s_ashr_i32 s11, s10, 31
	s_lshl_b64 s[8:9], s[10:11], 3
	v_mov_b32_e32 v3, s9
	v_add_co_u32_e32 v2, vcc, s8, v90
	v_addc_co_u32_e32 v3, vcc, v91, v3, vcc
	flat_load_dwordx2 v[2:3], v[2:3]
	s_waitcnt vmcnt(0) lgkmcnt(0)
	ds_write_b64 v139, v[2:3]
.LBB38_148:                             ; =>This Inner Loop Header: Depth=1
	s_or_b64 exec, exec, s[4:5]
	s_cmp_eq_u32 s24, 0
	v_add_co_u32_e32 v2, vcc, v102, v135
	s_cselect_b64 s[14:15], -1, 0
	s_cmp_lg_u32 s24, 0
	v_addc_co_u32_e32 v3, vcc, v103, v136, vcc
	s_cselect_b64 s[8:9], -1, 0
	s_and_b64 vcc, exec, s[8:9]
	s_waitcnt lgkmcnt(0)
	s_barrier
	s_cbranch_vccz .LBB38_156
; %bb.149:                              ;   in Loop: Header=BB38_148 Depth=1
	v_cmp_gt_i32_e32 vcc, s24, v89
	v_mov_b32_e32 v58, 0
	v_mov_b32_e32 v56, 0
	;; [unrolled: 1-line block ×3, first 2 shown]
	s_and_saveexec_b64 s[4:5], vcc
	s_cbranch_execz .LBB38_151
; %bb.150:                              ;   in Loop: Header=BB38_148 Depth=1
	flat_load_dwordx2 v[56:57], v[2:3]
.LBB38_151:                             ;   in Loop: Header=BB38_148 Depth=1
	s_or_b64 exec, exec, s[4:5]
	v_cmp_gt_i32_e32 vcc, s24, v142
	v_mov_b32_e32 v59, 0
	s_and_saveexec_b64 s[4:5], vcc
	s_cbranch_execz .LBB38_153
; %bb.152:                              ;   in Loop: Header=BB38_148 Depth=1
	v_add_co_u32_e32 v4, vcc, v98, v135
	v_addc_co_u32_e32 v5, vcc, v99, v136, vcc
	flat_load_dwordx2 v[58:59], v[4:5]
.LBB38_153:                             ;   in Loop: Header=BB38_148 Depth=1
	s_or_b64 exec, exec, s[4:5]
	v_cmp_gt_i32_e32 vcc, s24, v143
	v_mov_b32_e32 v60, 0
	v_mov_b32_e32 v61, 0
	s_and_saveexec_b64 s[4:5], vcc
	s_cbranch_execz .LBB38_155
; %bb.154:                              ;   in Loop: Header=BB38_148 Depth=1
	v_add_co_u32_e32 v4, vcc, v104, v135
	v_addc_co_u32_e32 v5, vcc, v105, v136, vcc
	flat_load_dwordx2 v[60:61], v[4:5]
.LBB38_155:                             ;   in Loop: Header=BB38_148 Depth=1
	s_or_b64 exec, exec, s[4:5]
	v_cmp_gt_i32_e64 s[4:5], s24, v144
	s_branch .LBB38_158
.LBB38_156:                             ;   in Loop: Header=BB38_148 Depth=1
	s_mov_b64 s[4:5], 0
                                        ; implicit-def: $vgpr57
                                        ; implicit-def: $vgpr59
                                        ; implicit-def: $vgpr61
	s_cbranch_execz .LBB38_158
; %bb.157:                              ;   in Loop: Header=BB38_148 Depth=1
	s_waitcnt vmcnt(0) lgkmcnt(0)
	flat_load_dwordx2 v[56:57], v[2:3]
	v_add_co_u32_e32 v2, vcc, v98, v135
	v_addc_co_u32_e32 v3, vcc, v99, v136, vcc
	flat_load_dwordx2 v[58:59], v[2:3]
	v_add_co_u32_e32 v2, vcc, v94, v135
	v_addc_co_u32_e32 v3, vcc, v95, v136, vcc
	flat_load_dwordx2 v[60:61], v[2:3]
	s_or_b64 s[4:5], s[4:5], exec
.LBB38_158:                             ;   in Loop: Header=BB38_148 Depth=1
	v_mov_b32_e32 v62, 0
	v_mov_b32_e32 v63, 0
	s_and_saveexec_b64 s[16:17], s[4:5]
	s_cbranch_execz .LBB38_160
; %bb.159:                              ;   in Loop: Header=BB38_148 Depth=1
	v_add_co_u32_e32 v2, vcc, v108, v135
	v_addc_co_u32_e32 v3, vcc, v109, v136, vcc
	flat_load_dwordx2 v[62:63], v[2:3]
.LBB38_160:                             ;   in Loop: Header=BB38_148 Depth=1
	s_or_b64 exec, exec, s[16:17]
	ds_read_b64 v[10:11], v140
	ds_read_b128 v[6:9], v137
	ds_read_b128 v[2:5], v137 offset:16
	s_andn2_b64 vcc, exec, s[8:9]
	s_waitcnt vmcnt(0) lgkmcnt(0)
	v_mul_f32_e32 v12, v57, v11
	v_mul_f32_e32 v13, v57, v10
	;; [unrolled: 1-line block ×4, first 2 shown]
	v_fmac_f32_e32 v12, v56, v10
	v_fma_f32 v13, v56, v11, -v13
	v_fmac_f32_e32 v14, v58, v10
	v_fma_f32 v15, v58, v11, -v15
	ds_write2_b64 v141, v[12:13], v[14:15] offset1:67
	v_mul_f32_e32 v12, v61, v11
	v_mul_f32_e32 v14, v63, v11
	v_fmac_f32_e32 v12, v60, v10
	v_mul_f32_e32 v13, v61, v10
	v_fmac_f32_e32 v14, v62, v10
	v_mul_f32_e32 v10, v63, v10
	v_fma_f32 v13, v60, v11, -v13
	v_fma_f32 v15, v62, v11, -v10
	ds_write2_b64 v141, v[12:13], v[14:15] offset0:134 offset1:201
	s_waitcnt lgkmcnt(0)
	s_barrier
	ds_read2_b64 v[22:25], v132 offset1:1
	ds_read2_b64 v[10:13], v132 offset0:2 offset1:3
	v_cndmask_b32_e64 v14, 0, 1, s[8:9]
	v_cmp_ne_u32_e64 s[4:5], 1, v14
	v_add_co_u32_e64 v14, s[8:9], v120, v135
	v_addc_co_u32_e64 v15, s[8:9], v121, v136, s[8:9]
	s_waitcnt lgkmcnt(0)
	s_barrier
	s_cbranch_vccnz .LBB38_168
; %bb.161:                              ;   in Loop: Header=BB38_148 Depth=1
	v_cmp_gt_i32_e32 vcc, s24, v145
	v_mov_b32_e32 v66, 0
	v_mov_b32_e32 v64, 0
	;; [unrolled: 1-line block ×3, first 2 shown]
	s_and_saveexec_b64 s[8:9], vcc
	s_cbranch_execz .LBB38_163
; %bb.162:                              ;   in Loop: Header=BB38_148 Depth=1
	flat_load_dwordx2 v[64:65], v[14:15]
.LBB38_163:                             ;   in Loop: Header=BB38_148 Depth=1
	s_or_b64 exec, exec, s[8:9]
	v_cmp_gt_i32_e32 vcc, s24, v146
	v_mov_b32_e32 v67, 0
	s_and_saveexec_b64 s[8:9], vcc
	s_cbranch_execz .LBB38_165
; %bb.164:                              ;   in Loop: Header=BB38_148 Depth=1
	v_add_co_u32_e32 v16, vcc, v116, v135
	v_addc_co_u32_e32 v17, vcc, v117, v136, vcc
	flat_load_dwordx2 v[66:67], v[16:17]
.LBB38_165:                             ;   in Loop: Header=BB38_148 Depth=1
	s_or_b64 exec, exec, s[8:9]
	v_cmp_gt_i32_e32 vcc, s24, v147
	v_mov_b32_e32 v68, 0
	v_mov_b32_e32 v69, 0
	s_and_saveexec_b64 s[8:9], vcc
	s_cbranch_execz .LBB38_167
; %bb.166:                              ;   in Loop: Header=BB38_148 Depth=1
	v_add_co_u32_e32 v16, vcc, v124, v135
	v_addc_co_u32_e32 v17, vcc, v125, v136, vcc
	flat_load_dwordx2 v[68:69], v[16:17]
.LBB38_167:                             ;   in Loop: Header=BB38_148 Depth=1
	s_or_b64 exec, exec, s[8:9]
	v_cmp_gt_i32_e64 s[8:9], s24, v148
	s_branch .LBB38_170
.LBB38_168:                             ;   in Loop: Header=BB38_148 Depth=1
	s_mov_b64 s[8:9], 0
                                        ; implicit-def: $vgpr65
                                        ; implicit-def: $vgpr67
                                        ; implicit-def: $vgpr69
	s_cbranch_execz .LBB38_170
; %bb.169:                              ;   in Loop: Header=BB38_148 Depth=1
	s_waitcnt vmcnt(0) lgkmcnt(0)
	flat_load_dwordx2 v[64:65], v[14:15]
	v_add_co_u32_e32 v14, vcc, v116, v135
	v_addc_co_u32_e32 v15, vcc, v117, v136, vcc
	flat_load_dwordx2 v[66:67], v[14:15]
	v_add_co_u32_e32 v14, vcc, v110, v135
	v_addc_co_u32_e32 v15, vcc, v111, v136, vcc
	flat_load_dwordx2 v[68:69], v[14:15]
	s_or_b64 s[8:9], s[8:9], exec
.LBB38_170:                             ;   in Loop: Header=BB38_148 Depth=1
	v_mov_b32_e32 v70, 0
	v_mov_b32_e32 v71, 0
	s_and_saveexec_b64 s[16:17], s[8:9]
	s_cbranch_execz .LBB38_172
; %bb.171:                              ;   in Loop: Header=BB38_148 Depth=1
	v_add_co_u32_e32 v14, vcc, v128, v135
	v_addc_co_u32_e32 v15, vcc, v129, v136, vcc
	flat_load_dwordx2 v[70:71], v[14:15]
.LBB38_172:                             ;   in Loop: Header=BB38_148 Depth=1
	s_or_b64 exec, exec, s[16:17]
	ds_read_b64 v[26:27], v140
	ds_read_b128 v[18:21], v137 offset:128
	ds_read_b128 v[14:17], v137 offset:144
	s_and_b64 vcc, exec, s[4:5]
	s_waitcnt vmcnt(0) lgkmcnt(0)
	v_mul_f32_e32 v28, v65, v27
	v_mul_f32_e32 v29, v65, v26
	;; [unrolled: 1-line block ×4, first 2 shown]
	v_fmac_f32_e32 v28, v64, v26
	v_fma_f32 v29, v64, v27, -v29
	v_fmac_f32_e32 v30, v66, v26
	v_fma_f32 v31, v66, v27, -v31
	ds_write2_b64 v141, v[28:29], v[30:31] offset1:67
	v_mul_f32_e32 v28, v69, v27
	v_mul_f32_e32 v30, v71, v27
	v_fmac_f32_e32 v28, v68, v26
	v_mul_f32_e32 v29, v69, v26
	v_fmac_f32_e32 v30, v70, v26
	v_mul_f32_e32 v26, v71, v26
	v_fma_f32 v29, v68, v27, -v29
	v_fma_f32 v31, v70, v27, -v26
	ds_write2_b64 v141, v[28:29], v[30:31] offset0:134 offset1:201
	s_waitcnt lgkmcnt(0)
	s_barrier
	ds_read2_b64 v[38:41], v132 offset1:1
	ds_read2_b64 v[34:37], v132 offset0:2 offset1:3
	v_add_co_u32_e64 v26, s[8:9], v122, v135
	v_addc_co_u32_e64 v27, s[8:9], v123, v136, s[8:9]
	s_waitcnt lgkmcnt(0)
	s_barrier
	s_cbranch_vccnz .LBB38_180
; %bb.173:                              ;   in Loop: Header=BB38_148 Depth=1
	v_cmp_gt_i32_e32 vcc, s24, v149
	v_mov_b32_e32 v74, 0
	v_mov_b32_e32 v72, 0
	;; [unrolled: 1-line block ×3, first 2 shown]
	s_and_saveexec_b64 s[8:9], vcc
	s_cbranch_execz .LBB38_175
; %bb.174:                              ;   in Loop: Header=BB38_148 Depth=1
	flat_load_dwordx2 v[72:73], v[26:27]
.LBB38_175:                             ;   in Loop: Header=BB38_148 Depth=1
	s_or_b64 exec, exec, s[8:9]
	v_cmp_gt_i32_e32 vcc, s24, v150
	v_mov_b32_e32 v75, 0
	s_and_saveexec_b64 s[8:9], vcc
	s_cbranch_execz .LBB38_177
; %bb.176:                              ;   in Loop: Header=BB38_148 Depth=1
	v_add_co_u32_e32 v28, vcc, v126, v135
	v_addc_co_u32_e32 v29, vcc, v127, v136, vcc
	flat_load_dwordx2 v[74:75], v[28:29]
.LBB38_177:                             ;   in Loop: Header=BB38_148 Depth=1
	s_or_b64 exec, exec, s[8:9]
	v_cmp_gt_i32_e32 vcc, s24, v151
	v_mov_b32_e32 v76, 0
	v_mov_b32_e32 v77, 0
	s_and_saveexec_b64 s[8:9], vcc
	s_cbranch_execz .LBB38_179
; %bb.178:                              ;   in Loop: Header=BB38_148 Depth=1
	v_add_co_u32_e32 v28, vcc, v118, v135
	v_addc_co_u32_e32 v29, vcc, v119, v136, vcc
	flat_load_dwordx2 v[76:77], v[28:29]
.LBB38_179:                             ;   in Loop: Header=BB38_148 Depth=1
	s_or_b64 exec, exec, s[8:9]
	v_cmp_gt_i32_e64 s[8:9], s24, v152
	s_branch .LBB38_182
.LBB38_180:                             ;   in Loop: Header=BB38_148 Depth=1
	s_mov_b64 s[8:9], 0
                                        ; implicit-def: $vgpr73
                                        ; implicit-def: $vgpr75
                                        ; implicit-def: $vgpr77
	s_cbranch_execz .LBB38_182
; %bb.181:                              ;   in Loop: Header=BB38_148 Depth=1
	s_waitcnt vmcnt(0) lgkmcnt(0)
	flat_load_dwordx2 v[72:73], v[26:27]
	v_add_co_u32_e32 v26, vcc, v126, v135
	v_addc_co_u32_e32 v27, vcc, v127, v136, vcc
	flat_load_dwordx2 v[74:75], v[26:27]
	v_add_co_u32_e32 v26, vcc, v130, v135
	v_addc_co_u32_e32 v27, vcc, v131, v136, vcc
	flat_load_dwordx2 v[76:77], v[26:27]
	s_or_b64 s[8:9], s[8:9], exec
.LBB38_182:                             ;   in Loop: Header=BB38_148 Depth=1
	v_mov_b32_e32 v78, 0
	v_mov_b32_e32 v79, 0
	s_and_saveexec_b64 s[16:17], s[8:9]
	s_cbranch_execz .LBB38_184
; %bb.183:                              ;   in Loop: Header=BB38_148 Depth=1
	v_add_co_u32_e32 v26, vcc, v114, v135
	v_addc_co_u32_e32 v27, vcc, v115, v136, vcc
	flat_load_dwordx2 v[78:79], v[26:27]
.LBB38_184:                             ;   in Loop: Header=BB38_148 Depth=1
	s_or_b64 exec, exec, s[16:17]
	ds_read_b64 v[42:43], v140
	ds_read_b128 v[30:33], v137 offset:256
	ds_read_b128 v[26:29], v137 offset:272
	s_and_b64 vcc, exec, s[4:5]
	v_add_co_u32_e64 v86, s[4:5], v92, v135
	s_waitcnt vmcnt(0) lgkmcnt(0)
	v_mul_f32_e32 v44, v73, v43
	v_mul_f32_e32 v45, v73, v42
	;; [unrolled: 1-line block ×4, first 2 shown]
	v_fmac_f32_e32 v44, v72, v42
	v_fma_f32 v45, v72, v43, -v45
	v_fmac_f32_e32 v46, v74, v42
	v_fma_f32 v47, v74, v43, -v47
	ds_write2_b64 v141, v[44:45], v[46:47] offset1:67
	v_mul_f32_e32 v44, v77, v43
	v_mul_f32_e32 v46, v79, v43
	v_fmac_f32_e32 v44, v76, v42
	v_mul_f32_e32 v45, v77, v42
	v_fmac_f32_e32 v46, v78, v42
	v_mul_f32_e32 v42, v79, v42
	v_fma_f32 v45, v76, v43, -v45
	v_fma_f32 v47, v78, v43, -v42
	ds_write2_b64 v141, v[44:45], v[46:47] offset0:134 offset1:201
	s_waitcnt lgkmcnt(0)
	s_barrier
	ds_read2_b64 v[46:49], v132 offset1:1
	ds_read2_b64 v[42:45], v132 offset0:2 offset1:3
	v_addc_co_u32_e64 v87, s[4:5], v93, v136, s[4:5]
	s_waitcnt lgkmcnt(0)
	s_barrier
	s_cbranch_vccnz .LBB38_192
; %bb.185:                              ;   in Loop: Header=BB38_148 Depth=1
	v_cmp_gt_i32_e32 vcc, s24, v153
	v_mov_b32_e32 v82, 0
	v_mov_b32_e32 v80, 0
	;; [unrolled: 1-line block ×3, first 2 shown]
	s_and_saveexec_b64 s[4:5], vcc
	s_cbranch_execz .LBB38_187
; %bb.186:                              ;   in Loop: Header=BB38_148 Depth=1
	flat_load_dwordx2 v[80:81], v[86:87]
.LBB38_187:                             ;   in Loop: Header=BB38_148 Depth=1
	s_or_b64 exec, exec, s[4:5]
	v_cmp_gt_i32_e32 vcc, s24, v154
	v_mov_b32_e32 v83, 0
	s_and_saveexec_b64 s[4:5], vcc
	s_cbranch_execz .LBB38_189
; %bb.188:                              ;   in Loop: Header=BB38_148 Depth=1
	v_add_co_u32_e32 v82, vcc, v106, v135
	v_addc_co_u32_e32 v83, vcc, v107, v136, vcc
	flat_load_dwordx2 v[82:83], v[82:83]
.LBB38_189:                             ;   in Loop: Header=BB38_148 Depth=1
	s_or_b64 exec, exec, s[4:5]
	v_cmp_gt_i32_e32 vcc, s24, v155
	v_mov_b32_e32 v84, 0
	v_mov_b32_e32 v85, 0
	s_and_saveexec_b64 s[4:5], vcc
	s_cbranch_execz .LBB38_191
; %bb.190:                              ;   in Loop: Header=BB38_148 Depth=1
	v_add_co_u32_e32 v84, vcc, v100, v135
	v_addc_co_u32_e32 v85, vcc, v101, v136, vcc
	flat_load_dwordx2 v[84:85], v[84:85]
.LBB38_191:                             ;   in Loop: Header=BB38_148 Depth=1
	s_or_b64 exec, exec, s[4:5]
	v_cmp_gt_i32_e64 s[4:5], s24, v156
	s_branch .LBB38_194
.LBB38_192:                             ;   in Loop: Header=BB38_148 Depth=1
	s_mov_b64 s[4:5], 0
                                        ; implicit-def: $vgpr81
                                        ; implicit-def: $vgpr83
                                        ; implicit-def: $vgpr85
	s_cbranch_execz .LBB38_194
; %bb.193:                              ;   in Loop: Header=BB38_148 Depth=1
	s_waitcnt vmcnt(0) lgkmcnt(0)
	v_add_co_u32_e32 v82, vcc, v106, v135
	v_addc_co_u32_e32 v83, vcc, v107, v136, vcc
	v_add_co_u32_e32 v84, vcc, v112, v135
	v_addc_co_u32_e32 v85, vcc, v113, v136, vcc
	flat_load_dwordx2 v[80:81], v[86:87]
	s_or_b64 s[4:5], s[4:5], exec
	flat_load_dwordx2 v[82:83], v[82:83]
	s_nop 0
	flat_load_dwordx2 v[84:85], v[84:85]
.LBB38_194:                             ;   in Loop: Header=BB38_148 Depth=1
	v_mov_b32_e32 v86, 0
	v_mov_b32_e32 v87, 0
	s_and_saveexec_b64 s[8:9], s[4:5]
	s_cbranch_execz .LBB38_196
; %bb.195:                              ;   in Loop: Header=BB38_148 Depth=1
	v_add_co_u32_e32 v86, vcc, v96, v135
	v_addc_co_u32_e32 v87, vcc, v97, v136, vcc
	flat_load_dwordx2 v[86:87], v[86:87]
.LBB38_196:                             ;   in Loop: Header=BB38_148 Depth=1
	s_or_b64 exec, exec, s[8:9]
	v_add_f32_e32 v38, 0, v38
	v_add_f32_e32 v39, 0, v39
	;; [unrolled: 1-line block ×6, first 2 shown]
	ds_read_b64 v[38:39], v140
	v_add_f32_e32 v46, 0, v46
	v_add_f32_e32 v47, 0, v47
	;; [unrolled: 1-line block ×7, first 2 shown]
	s_waitcnt vmcnt(0) lgkmcnt(0)
	v_mul_f32_e32 v40, v81, v39
	v_mul_f32_e32 v41, v81, v38
	;; [unrolled: 1-line block ×4, first 2 shown]
	v_add_f32_e32 v23, 0, v23
	v_add_f32_e32 v22, v22, v24
	v_fmac_f32_e32 v40, v80, v38
	v_fma_f32 v41, v80, v39, -v41
	v_fmac_f32_e32 v46, v82, v38
	v_fma_f32 v47, v82, v39, -v47
	v_add_f32_e32 v42, v42, v44
	v_add_f32_e32 v43, v43, v45
	;; [unrolled: 1-line block ×6, first 2 shown]
	ds_read_b128 v[34:37], v137 offset:384
	ds_read_b128 v[22:25], v137 offset:400
	ds_write2_b64 v141, v[40:41], v[46:47] offset1:67
	v_mul_f32_e32 v40, v85, v39
	v_mul_f32_e32 v46, v87, v39
	v_fmac_f32_e32 v40, v84, v38
	v_mul_f32_e32 v41, v85, v38
	v_fmac_f32_e32 v46, v86, v38
	v_mul_f32_e32 v38, v87, v38
	v_fma_f32 v41, v84, v39, -v41
	v_fma_f32 v47, v86, v39, -v38
	ds_write2_b64 v141, v[40:41], v[46:47] offset0:134 offset1:201
	s_waitcnt lgkmcnt(0)
	s_barrier
	ds_read2_b64 v[38:41], v132 offset1:1
	v_add_f32_e32 v11, v48, v11
	v_add_f32_e32 v46, v10, v12
	;; [unrolled: 1-line block ×3, first 2 shown]
	ds_read2_b64 v[10:13], v132 offset0:2 offset1:3
	s_waitcnt lgkmcnt(1)
	v_add_f32_e32 v38, 0, v38
	v_add_f32_e32 v39, 0, v39
	v_cmp_gt_i32_e32 vcc, s24, v0
	v_add_f32_e32 v38, v38, v40
	v_add_f32_e32 v39, v39, v41
	s_or_b64 s[4:5], s[14:15], vcc
	s_waitcnt lgkmcnt(0)
	v_add_f32_e32 v10, v38, v10
	v_add_f32_e32 v11, v39, v11
	s_and_b64 s[8:9], s[2:3], s[4:5]
	v_add_f32_e32 v10, v10, v12
	v_add_f32_e32 v11, v11, v13
	s_barrier
	ds_write2_b64 v138, v[46:47], v[44:45] offset1:16
	ds_write2_b64 v138, v[42:43], v[10:11] offset0:32 offset1:48
	s_waitcnt lgkmcnt(0)
	s_barrier
	s_and_saveexec_b64 s[4:5], s[8:9]
	s_cbranch_execz .LBB38_198
; %bb.197:                              ;   in Loop: Header=BB38_148 Depth=1
	ds_read_b64 v[42:43], v133
	ds_read2_b64 v[10:13], v133 offset0:1 offset1:2
	ds_read2_b64 v[38:41], v133 offset0:3 offset1:4
	v_ashrrev_i32_e32 v54, 31, v53
	s_waitcnt lgkmcnt(1)
	v_add_f32_e32 v10, v10, v42
	v_add_f32_e32 v11, v11, v43
	;; [unrolled: 1-line block ×4, first 2 shown]
	ds_read2_b64 v[10:13], v133 offset0:5 offset1:6
	s_waitcnt lgkmcnt(1)
	v_add_f32_e32 v38, v42, v38
	v_add_f32_e32 v39, v43, v39
	;; [unrolled: 1-line block ×4, first 2 shown]
	s_waitcnt lgkmcnt(0)
	v_add_f32_e32 v10, v38, v10
	ds_read2_b64 v[38:41], v133 offset0:7 offset1:8
	v_add_f32_e32 v11, v42, v11
	v_add_f32_e32 v42, v10, v12
	;; [unrolled: 1-line block ×3, first 2 shown]
	ds_read2_b64 v[10:13], v133 offset0:9 offset1:10
	s_waitcnt lgkmcnt(1)
	v_add_f32_e32 v38, v42, v38
	v_add_f32_e32 v39, v43, v39
	;; [unrolled: 1-line block ×4, first 2 shown]
	s_waitcnt lgkmcnt(0)
	v_add_f32_e32 v10, v38, v10
	ds_read2_b64 v[38:41], v133 offset0:11 offset1:12
	v_add_f32_e32 v11, v42, v11
	v_add_f32_e32 v42, v10, v12
	;; [unrolled: 1-line block ×3, first 2 shown]
	ds_read2_b64 v[10:13], v133 offset0:13 offset1:14
	s_waitcnt lgkmcnt(1)
	v_add_f32_e32 v38, v42, v38
	v_add_f32_e32 v39, v43, v39
	;; [unrolled: 1-line block ×4, first 2 shown]
	ds_read_b64 v[38:39], v134
	s_waitcnt lgkmcnt(1)
	v_add_f32_e32 v10, v40, v10
	v_add_f32_e32 v11, v41, v11
	;; [unrolled: 1-line block ×4, first 2 shown]
	v_lshlrev_b64 v[12:13], 3, v[53:54]
	s_waitcnt lgkmcnt(0)
	v_add_f32_e32 v10, v10, v38
	v_mov_b32_e32 v38, s22
	v_add_co_u32_e32 v12, vcc, s19, v12
	v_add_f32_e32 v11, v11, v39
	v_addc_co_u32_e32 v13, vcc, v38, v13, vcc
	global_store_dwordx2 v[12:13], v[10:11], off
.LBB38_198:                             ;   in Loop: Header=BB38_148 Depth=1
	s_or_b64 exec, exec, s[4:5]
	v_mul_f32_e32 v10, v57, v7
	v_fma_f32 v10, v56, v6, -v10
	v_mul_f32_e32 v11, v59, v9
	v_mul_f32_e32 v7, v56, v7
	v_add_f32_e32 v10, v51, v10
	v_fma_f32 v11, v58, v8, -v11
	v_mul_f32_e32 v9, v58, v9
	v_add_f32_e32 v10, v10, v11
	v_mul_f32_e32 v11, v61, v3
	v_fmac_f32_e32 v7, v57, v6
	v_fma_f32 v11, v60, v2, -v11
	v_mul_f32_e32 v3, v60, v3
	v_add_f32_e32 v6, v52, v7
	v_fmac_f32_e32 v9, v59, v8
	v_add_f32_e32 v10, v10, v11
	v_mul_f32_e32 v11, v63, v5
	v_mul_f32_e32 v5, v62, v5
	v_add_f32_e32 v6, v6, v9
	v_fmac_f32_e32 v3, v61, v2
	v_fma_f32 v11, v62, v4, -v11
	v_add_f32_e32 v2, v6, v3
	v_fmac_f32_e32 v5, v63, v4
	v_mul_f32_e32 v3, v65, v19
	v_add_f32_e32 v10, v10, v11
	v_add_f32_e32 v2, v2, v5
	v_fma_f32 v3, v64, v18, -v3
	v_mul_f32_e32 v5, v67, v21
	v_add_f32_e32 v3, v10, v3
	v_fma_f32 v5, v66, v20, -v5
	v_mul_f32_e32 v4, v64, v19
	v_add_f32_e32 v3, v3, v5
	v_mul_f32_e32 v5, v69, v15
	v_mul_f32_e32 v6, v66, v21
	v_fma_f32 v5, v68, v14, -v5
	v_fmac_f32_e32 v4, v65, v18
	v_mul_f32_e32 v7, v68, v15
	v_add_f32_e32 v3, v3, v5
	v_mul_f32_e32 v5, v71, v17
	v_add_f32_e32 v2, v2, v4
	v_fmac_f32_e32 v6, v67, v20
	v_fma_f32 v5, v70, v16, -v5
	v_mul_f32_e32 v8, v70, v17
	v_add_f32_e32 v2, v2, v6
	v_fmac_f32_e32 v7, v69, v14
	v_add_f32_e32 v3, v3, v5
	v_add_f32_e32 v2, v2, v7
	v_fmac_f32_e32 v8, v71, v16
	v_mul_f32_e32 v5, v72, v31
	v_add_f32_e32 v2, v2, v8
	v_mul_f32_e32 v6, v74, v33
	v_fmac_f32_e32 v5, v73, v30
	v_mul_f32_e32 v7, v76, v27
	v_add_f32_e32 v2, v2, v5
	v_fmac_f32_e32 v6, v75, v32
	v_mul_f32_e32 v8, v78, v29
	v_add_f32_e32 v2, v2, v6
	v_fmac_f32_e32 v7, v77, v26
	v_add_f32_e32 v2, v2, v7
	v_fmac_f32_e32 v8, v79, v28
	v_mul_f32_e32 v5, v80, v35
	v_add_f32_e32 v2, v2, v8
	v_mul_f32_e32 v6, v82, v37
	v_fmac_f32_e32 v5, v81, v34
	v_mul_f32_e32 v7, v84, v23
	v_fmac_f32_e32 v6, v83, v36
	v_add_f32_e32 v2, v2, v5
	v_mul_f32_e32 v8, v86, v25
	v_fmac_f32_e32 v7, v85, v22
	v_add_f32_e32 v2, v2, v6
	v_fmac_f32_e32 v8, v87, v24
	v_add_f32_e32 v2, v2, v7
	v_add_f32_e32 v52, v2, v8
	v_mov_b32_e32 v2, s13
	v_add_co_u32_e32 v94, vcc, s12, v94
	v_addc_co_u32_e32 v95, vcc, v95, v2, vcc
	v_add_co_u32_e32 v96, vcc, s12, v96
	v_addc_co_u32_e32 v97, vcc, v97, v2, vcc
	;; [unrolled: 2-line block ×11, first 2 shown]
	v_add_co_u32_e32 v114, vcc, s12, v114
	v_mul_f32_e32 v4, v73, v31
	v_addc_co_u32_e32 v115, vcc, v115, v2, vcc
	v_fma_f32 v4, v72, v30, -v4
	v_add_co_u32_e32 v116, vcc, s12, v116
	v_add_f32_e32 v3, v3, v4
	v_mul_f32_e32 v4, v75, v33
	v_addc_co_u32_e32 v117, vcc, v117, v2, vcc
	v_fma_f32 v4, v74, v32, -v4
	v_add_co_u32_e32 v118, vcc, s12, v118
	v_add_f32_e32 v3, v3, v4
	;; [unrolled: 5-line block ×7, first 2 shown]
	v_mul_f32_e32 v4, v87, v25
	v_addc_co_u32_e32 v129, vcc, v129, v2, vcc
	v_fma_f32 v4, v86, v24, -v4
	s_add_i32 s4, s6, 1
	s_add_i32 s10, s10, s27
	;; [unrolled: 1-line block ×3, first 2 shown]
	v_add_co_u32_e32 v130, vcc, s12, v130
	v_add_f32_e32 v51, v3, v4
	v_add_u32_e32 v53, 64, v53
	s_cmp_ge_u32 s5, s7
	v_addc_co_u32_e32 v131, vcc, v131, v2, vcc
	s_waitcnt vmcnt(0)
	s_barrier
	s_cbranch_scc0 .LBB38_143
.LBB38_199:
	s_movk_i32 s2, 0x218
	v_cmp_gt_i32_e32 vcc, s18, v0
	v_mad_u32_u24 v1, v1, s2, v88
	s_or_b64 s[2:3], s[20:21], vcc
	s_and_b64 s[0:1], s[0:1], s[2:3]
	ds_write_b64 v1, v[51:52]
	s_waitcnt lgkmcnt(0)
	s_barrier
	s_and_saveexec_b64 s[2:3], s[0:1]
	s_cbranch_execz .LBB38_201
; %bb.200:
	ds_read2_b64 v[0:3], v88 offset1:67
	ds_read2_b64 v[4:7], v88 offset0:134 offset1:201
	v_ashrrev_i32_e32 v51, 31, v50
	s_waitcnt lgkmcnt(1)
	v_add_f32_e32 v0, v2, v0
	v_add_f32_e32 v1, v3, v1
	v_lshlrev_b64 v[2:3], 3, v[50:51]
	s_waitcnt lgkmcnt(0)
	v_add_f32_e32 v0, v4, v0
	v_add_f32_e32 v1, v5, v1
	v_mov_b32_e32 v4, s22
	v_add_co_u32_e32 v2, vcc, s19, v2
	v_add_f32_e32 v0, v0, v6
	v_add_f32_e32 v1, v1, v7
	v_addc_co_u32_e32 v3, vcc, v4, v3, vcc
	global_store_dwordx2 v[2:3], v[0:1], off
.LBB38_201:
	s_endpgm
	.section	.rodata,"a",@progbits
	.p2align	6, 0x0
	.amdhsa_kernel _ZL26rocblas_hemvn_kernel_upperILb1ELi64ELi4ELi33ELi32ELi16Ei19rocblas_complex_numIfEPKPKS1_PS1_EviT6_lT7_lT5_lS8_lS9_lS7_lT8_i
		.amdhsa_group_segment_fixed_size 9600
		.amdhsa_private_segment_fixed_size 0
		.amdhsa_kernarg_size 376
		.amdhsa_user_sgpr_count 6
		.amdhsa_user_sgpr_private_segment_buffer 1
		.amdhsa_user_sgpr_dispatch_ptr 0
		.amdhsa_user_sgpr_queue_ptr 0
		.amdhsa_user_sgpr_kernarg_segment_ptr 1
		.amdhsa_user_sgpr_dispatch_id 0
		.amdhsa_user_sgpr_flat_scratch_init 0
		.amdhsa_user_sgpr_private_segment_size 0
		.amdhsa_uses_dynamic_stack 0
		.amdhsa_system_sgpr_private_segment_wavefront_offset 0
		.amdhsa_system_sgpr_workgroup_id_x 1
		.amdhsa_system_sgpr_workgroup_id_y 0
		.amdhsa_system_sgpr_workgroup_id_z 1
		.amdhsa_system_sgpr_workgroup_info 0
		.amdhsa_system_vgpr_workitem_id 1
		.amdhsa_next_free_vgpr 157
		.amdhsa_next_free_sgpr 93
		.amdhsa_reserve_vcc 1
		.amdhsa_reserve_flat_scratch 0
		.amdhsa_float_round_mode_32 0
		.amdhsa_float_round_mode_16_64 0
		.amdhsa_float_denorm_mode_32 3
		.amdhsa_float_denorm_mode_16_64 3
		.amdhsa_dx10_clamp 1
		.amdhsa_ieee_mode 1
		.amdhsa_fp16_overflow 0
		.amdhsa_exception_fp_ieee_invalid_op 0
		.amdhsa_exception_fp_denorm_src 0
		.amdhsa_exception_fp_ieee_div_zero 0
		.amdhsa_exception_fp_ieee_overflow 0
		.amdhsa_exception_fp_ieee_underflow 0
		.amdhsa_exception_fp_ieee_inexact 0
		.amdhsa_exception_int_div_zero 0
	.end_amdhsa_kernel
	.section	.text._ZL26rocblas_hemvn_kernel_upperILb1ELi64ELi4ELi33ELi32ELi16Ei19rocblas_complex_numIfEPKPKS1_PS1_EviT6_lT7_lT5_lS8_lS9_lS7_lT8_i,"axG",@progbits,_ZL26rocblas_hemvn_kernel_upperILb1ELi64ELi4ELi33ELi32ELi16Ei19rocblas_complex_numIfEPKPKS1_PS1_EviT6_lT7_lT5_lS8_lS9_lS7_lT8_i,comdat
.Lfunc_end38:
	.size	_ZL26rocblas_hemvn_kernel_upperILb1ELi64ELi4ELi33ELi32ELi16Ei19rocblas_complex_numIfEPKPKS1_PS1_EviT6_lT7_lT5_lS8_lS9_lS7_lT8_i, .Lfunc_end38-_ZL26rocblas_hemvn_kernel_upperILb1ELi64ELi4ELi33ELi32ELi16Ei19rocblas_complex_numIfEPKPKS1_PS1_EviT6_lT7_lT5_lS8_lS9_lS7_lT8_i
                                        ; -- End function
	.set _ZL26rocblas_hemvn_kernel_upperILb1ELi64ELi4ELi33ELi32ELi16Ei19rocblas_complex_numIfEPKPKS1_PS1_EviT6_lT7_lT5_lS8_lS9_lS7_lT8_i.num_vgpr, 157
	.set _ZL26rocblas_hemvn_kernel_upperILb1ELi64ELi4ELi33ELi32ELi16Ei19rocblas_complex_numIfEPKPKS1_PS1_EviT6_lT7_lT5_lS8_lS9_lS7_lT8_i.num_agpr, 0
	.set _ZL26rocblas_hemvn_kernel_upperILb1ELi64ELi4ELi33ELi32ELi16Ei19rocblas_complex_numIfEPKPKS1_PS1_EviT6_lT7_lT5_lS8_lS9_lS7_lT8_i.numbered_sgpr, 44
	.set _ZL26rocblas_hemvn_kernel_upperILb1ELi64ELi4ELi33ELi32ELi16Ei19rocblas_complex_numIfEPKPKS1_PS1_EviT6_lT7_lT5_lS8_lS9_lS7_lT8_i.num_named_barrier, 0
	.set _ZL26rocblas_hemvn_kernel_upperILb1ELi64ELi4ELi33ELi32ELi16Ei19rocblas_complex_numIfEPKPKS1_PS1_EviT6_lT7_lT5_lS8_lS9_lS7_lT8_i.private_seg_size, 0
	.set _ZL26rocblas_hemvn_kernel_upperILb1ELi64ELi4ELi33ELi32ELi16Ei19rocblas_complex_numIfEPKPKS1_PS1_EviT6_lT7_lT5_lS8_lS9_lS7_lT8_i.uses_vcc, 1
	.set _ZL26rocblas_hemvn_kernel_upperILb1ELi64ELi4ELi33ELi32ELi16Ei19rocblas_complex_numIfEPKPKS1_PS1_EviT6_lT7_lT5_lS8_lS9_lS7_lT8_i.uses_flat_scratch, 0
	.set _ZL26rocblas_hemvn_kernel_upperILb1ELi64ELi4ELi33ELi32ELi16Ei19rocblas_complex_numIfEPKPKS1_PS1_EviT6_lT7_lT5_lS8_lS9_lS7_lT8_i.has_dyn_sized_stack, 0
	.set _ZL26rocblas_hemvn_kernel_upperILb1ELi64ELi4ELi33ELi32ELi16Ei19rocblas_complex_numIfEPKPKS1_PS1_EviT6_lT7_lT5_lS8_lS9_lS7_lT8_i.has_recursion, 0
	.set _ZL26rocblas_hemvn_kernel_upperILb1ELi64ELi4ELi33ELi32ELi16Ei19rocblas_complex_numIfEPKPKS1_PS1_EviT6_lT7_lT5_lS8_lS9_lS7_lT8_i.has_indirect_call, 0
	.section	.AMDGPU.csdata,"",@progbits
; Kernel info:
; codeLenInByte = 9012
; TotalNumSgprs: 48
; NumVgprs: 157
; ScratchSize: 0
; MemoryBound: 1
; FloatMode: 240
; IeeeMode: 1
; LDSByteSize: 9600 bytes/workgroup (compile time only)
; SGPRBlocks: 12
; VGPRBlocks: 39
; NumSGPRsForWavesPerEU: 97
; NumVGPRsForWavesPerEU: 157
; Occupancy: 1
; WaveLimiterHint : 1
; COMPUTE_PGM_RSRC2:SCRATCH_EN: 0
; COMPUTE_PGM_RSRC2:USER_SGPR: 6
; COMPUTE_PGM_RSRC2:TRAP_HANDLER: 0
; COMPUTE_PGM_RSRC2:TGID_X_EN: 1
; COMPUTE_PGM_RSRC2:TGID_Y_EN: 0
; COMPUTE_PGM_RSRC2:TGID_Z_EN: 1
; COMPUTE_PGM_RSRC2:TIDIG_COMP_CNT: 1
	.section	.text._ZL36rocblas_hemvn_kernel_upper_block_sumILi64Ei19rocblas_complex_numIfEPKPS1_S1_EviT1_lS5_lT2_lT0_lPT3_i,"axG",@progbits,_ZL36rocblas_hemvn_kernel_upper_block_sumILi64Ei19rocblas_complex_numIfEPKPS1_S1_EviT1_lS5_lT2_lT0_lPT3_i,comdat
	.globl	_ZL36rocblas_hemvn_kernel_upper_block_sumILi64Ei19rocblas_complex_numIfEPKPS1_S1_EviT1_lS5_lT2_lT0_lPT3_i ; -- Begin function _ZL36rocblas_hemvn_kernel_upper_block_sumILi64Ei19rocblas_complex_numIfEPKPS1_S1_EviT1_lS5_lT2_lT0_lPT3_i
	.p2align	8
	.type	_ZL36rocblas_hemvn_kernel_upper_block_sumILi64Ei19rocblas_complex_numIfEPKPS1_S1_EviT1_lS5_lT2_lT0_lPT3_i,@function
_ZL36rocblas_hemvn_kernel_upper_block_sumILi64Ei19rocblas_complex_numIfEPKPS1_S1_EviT1_lS5_lT2_lT0_lPT3_i: ; @_ZL36rocblas_hemvn_kernel_upper_block_sumILi64Ei19rocblas_complex_numIfEPKPS1_S1_EviT1_lS5_lT2_lT0_lPT3_i
; %bb.0:
	s_load_dwordx4 s[8:11], s[4:5], 0x0
	s_load_dwordx2 s[2:3], s[4:5], 0x18
	s_mov_b32 s12, s7
	s_mov_b64 s[14:15], -1
	s_waitcnt lgkmcnt(0)
	s_or_b32 s0, s9, s10
	s_and_b32 s7, s0, 0x7fffffff
	s_cmp_eq_u32 s7, 0
	s_cselect_b64 s[0:1], -1, 0
	s_cmp_lg_u32 s7, 0
	s_cbranch_scc1 .LBB39_2
; %bb.1:
	v_cmp_neq_f32_e64 s[14:15], s2, 1.0
	v_cmp_neq_f32_e64 s[16:17], s3, 0
	s_or_b64 s[14:15], s[14:15], s[16:17]
.LBB39_2:
	s_andn2_b64 vcc, exec, s[14:15]
	s_cbranch_vccnz .LBB39_19
; %bb.3:
	s_load_dwordx4 s[20:23], s[4:5], 0x28
	s_load_dword s16, s[4:5], 0x38
	s_mov_b32 s13, 0
	s_lshl_b64 s[14:15], s[12:13], 3
	v_lshl_or_b32 v0, s6, 6, v0
	s_waitcnt lgkmcnt(0)
	s_add_u32 s14, s20, s14
	s_addc_u32 s15, s21, s15
	s_load_dwordx2 s[18:19], s[14:15], 0x0
	s_lshl_b64 s[20:21], s[22:23], 3
	s_mov_b64 s[14:15], -1
	s_waitcnt lgkmcnt(0)
	s_add_u32 s7, s18, s20
	s_addc_u32 s11, s19, s21
	s_andn2_b64 vcc, exec, s[0:1]
	v_cmp_gt_i32_e64 s[0:1], s8, v0
	s_cbranch_vccnz .LBB39_9
; %bb.4:
	s_and_saveexec_b64 s[14:15], s[0:1]
	s_cbranch_execz .LBB39_8
; %bb.5:
	v_mul_lo_u32 v2, s16, v0
	v_cmp_neq_f32_e64 s[0:1], s2, 0
	v_cmp_neq_f32_e64 s[18:19], s3, 0
	s_or_b64 s[0:1], s[0:1], s[18:19]
	v_ashrrev_i32_e32 v3, 31, v2
	v_lshlrev_b64 v[3:4], 3, v[2:3]
	v_mov_b32_e32 v1, 0
	s_andn2_b64 vcc, exec, s[0:1]
	v_mov_b32_e32 v2, 0
	s_cbranch_vccnz .LBB39_7
; %bb.6:
	v_mov_b32_e32 v2, s11
	v_add_co_u32_e32 v1, vcc, s7, v3
	v_addc_co_u32_e32 v2, vcc, v2, v4, vcc
	flat_load_dwordx2 v[5:6], v[1:2]
	s_waitcnt vmcnt(0) lgkmcnt(0)
	v_mul_f32_e32 v1, s3, v6
	v_mul_f32_e32 v2, s2, v6
	v_fma_f32 v1, v5, s2, -v1
	v_fmac_f32_e32 v2, s3, v5
.LBB39_7:
	v_mov_b32_e32 v5, s11
	v_add_co_u32_e32 v3, vcc, s7, v3
	v_addc_co_u32_e32 v4, vcc, v5, v4, vcc
	flat_store_dwordx2 v[3:4], v[1:2]
.LBB39_8:
	s_or_b64 exec, exec, s[14:15]
	s_mov_b64 s[14:15], 0
.LBB39_9:
	s_andn2_b64 vcc, exec, s[14:15]
	s_cbranch_vccnz .LBB39_19
; %bb.10:
	v_cmp_gt_i32_e32 vcc, s8, v0
	s_and_saveexec_b64 s[0:1], vcc
	s_cbranch_execz .LBB39_19
; %bb.11:
	v_mov_b32_e32 v1, 0
	s_cmp_lt_i32 s6, 0
	v_mov_b32_e32 v4, 0
	s_cbranch_scc1 .LBB39_14
; %bb.12:
	s_load_dwordx2 s[14:15], s[4:5], 0x48
	s_load_dword s17, s[4:5], 0x58
	s_ashr_i32 s1, s8, 31
	s_add_i32 s4, s6, 1
	s_mul_hi_u32 s5, s8, s12
	s_mul_i32 s6, s1, s12
	s_add_i32 s5, s5, s6
	s_mul_i32 s6, s8, s12
	s_mov_b32 s0, s8
	s_waitcnt lgkmcnt(0)
	s_mul_i32 s5, s5, s17
	s_mul_hi_u32 s8, s6, s17
	s_add_i32 s13, s8, s5
	s_mul_i32 s12, s6, s17
	v_mov_b32_e32 v1, 0
	s_lshl_b64 s[12:13], s[12:13], 3
	v_lshlrev_b64 v[2:3], 3, v[0:1]
	s_add_u32 s5, s14, s12
	s_addc_u32 s6, s15, s13
	v_mov_b32_e32 v4, s6
	v_add_co_u32_e32 v2, vcc, s5, v2
	v_addc_co_u32_e32 v3, vcc, v4, v3, vcc
	v_add_co_u32_e32 v2, vcc, 4, v2
	s_lshl_b64 s[0:1], s[0:1], 3
	v_addc_co_u32_e32 v3, vcc, 0, v3, vcc
	v_mov_b32_e32 v5, s1
	v_mov_b32_e32 v4, v1
.LBB39_13:                              ; =>This Inner Loop Header: Depth=1
	global_load_dwordx2 v[6:7], v[2:3], off offset:-4
	s_add_i32 s4, s4, -1
	v_add_co_u32_e32 v2, vcc, s0, v2
	v_addc_co_u32_e32 v3, vcc, v3, v5, vcc
	s_cmp_eq_u32 s4, 0
	s_waitcnt vmcnt(0)
	v_add_f32_e32 v4, v4, v6
	v_add_f32_e32 v1, v1, v7
	s_cbranch_scc0 .LBB39_13
.LBB39_14:
	v_mul_lo_u32 v2, s16, v0
	v_cmp_neq_f32_e64 s[0:1], s2, 0
	v_cmp_neq_f32_e64 s[4:5], s3, 0
	s_or_b64 s[0:1], s[0:1], s[4:5]
	v_mul_f32_e32 v3, s10, v1
	v_mul_f32_e32 v1, s9, v1
	s_andn2_b64 vcc, exec, s[0:1]
	v_fma_f32 v0, v4, s9, -v3
	v_fmac_f32_e32 v1, s10, v4
	v_ashrrev_i32_e32 v3, 31, v2
	s_cbranch_vccz .LBB39_16
; %bb.15:
	s_cbranch_execz .LBB39_17
	s_branch .LBB39_18
.LBB39_16:
.LBB39_17:
	v_lshlrev_b64 v[4:5], 3, v[2:3]
	v_mov_b32_e32 v6, s11
	v_add_co_u32_e32 v4, vcc, s7, v4
	v_addc_co_u32_e32 v5, vcc, v6, v5, vcc
	flat_load_dwordx2 v[4:5], v[4:5]
	s_waitcnt vmcnt(0) lgkmcnt(0)
	v_mul_f32_e32 v6, s3, v5
	v_mul_f32_e32 v5, s2, v5
	v_fma_f32 v6, v4, s2, -v6
	v_fmac_f32_e32 v5, s3, v4
	v_add_f32_e32 v0, v0, v6
	v_add_f32_e32 v1, v1, v5
.LBB39_18:
	v_lshlrev_b64 v[2:3], 3, v[2:3]
	v_mov_b32_e32 v4, s11
	v_add_co_u32_e32 v2, vcc, s7, v2
	v_addc_co_u32_e32 v3, vcc, v4, v3, vcc
	flat_store_dwordx2 v[2:3], v[0:1]
.LBB39_19:
	s_endpgm
	.section	.rodata,"a",@progbits
	.p2align	6, 0x0
	.amdhsa_kernel _ZL36rocblas_hemvn_kernel_upper_block_sumILi64Ei19rocblas_complex_numIfEPKPS1_S1_EviT1_lS5_lT2_lT0_lPT3_i
		.amdhsa_group_segment_fixed_size 0
		.amdhsa_private_segment_fixed_size 0
		.amdhsa_kernarg_size 344
		.amdhsa_user_sgpr_count 6
		.amdhsa_user_sgpr_private_segment_buffer 1
		.amdhsa_user_sgpr_dispatch_ptr 0
		.amdhsa_user_sgpr_queue_ptr 0
		.amdhsa_user_sgpr_kernarg_segment_ptr 1
		.amdhsa_user_sgpr_dispatch_id 0
		.amdhsa_user_sgpr_flat_scratch_init 0
		.amdhsa_user_sgpr_private_segment_size 0
		.amdhsa_uses_dynamic_stack 0
		.amdhsa_system_sgpr_private_segment_wavefront_offset 0
		.amdhsa_system_sgpr_workgroup_id_x 1
		.amdhsa_system_sgpr_workgroup_id_y 0
		.amdhsa_system_sgpr_workgroup_id_z 1
		.amdhsa_system_sgpr_workgroup_info 0
		.amdhsa_system_vgpr_workitem_id 0
		.amdhsa_next_free_vgpr 8
		.amdhsa_next_free_sgpr 24
		.amdhsa_reserve_vcc 1
		.amdhsa_reserve_flat_scratch 0
		.amdhsa_float_round_mode_32 0
		.amdhsa_float_round_mode_16_64 0
		.amdhsa_float_denorm_mode_32 3
		.amdhsa_float_denorm_mode_16_64 3
		.amdhsa_dx10_clamp 1
		.amdhsa_ieee_mode 1
		.amdhsa_fp16_overflow 0
		.amdhsa_exception_fp_ieee_invalid_op 0
		.amdhsa_exception_fp_denorm_src 0
		.amdhsa_exception_fp_ieee_div_zero 0
		.amdhsa_exception_fp_ieee_overflow 0
		.amdhsa_exception_fp_ieee_underflow 0
		.amdhsa_exception_fp_ieee_inexact 0
		.amdhsa_exception_int_div_zero 0
	.end_amdhsa_kernel
	.section	.text._ZL36rocblas_hemvn_kernel_upper_block_sumILi64Ei19rocblas_complex_numIfEPKPS1_S1_EviT1_lS5_lT2_lT0_lPT3_i,"axG",@progbits,_ZL36rocblas_hemvn_kernel_upper_block_sumILi64Ei19rocblas_complex_numIfEPKPS1_S1_EviT1_lS5_lT2_lT0_lPT3_i,comdat
.Lfunc_end39:
	.size	_ZL36rocblas_hemvn_kernel_upper_block_sumILi64Ei19rocblas_complex_numIfEPKPS1_S1_EviT1_lS5_lT2_lT0_lPT3_i, .Lfunc_end39-_ZL36rocblas_hemvn_kernel_upper_block_sumILi64Ei19rocblas_complex_numIfEPKPS1_S1_EviT1_lS5_lT2_lT0_lPT3_i
                                        ; -- End function
	.set _ZL36rocblas_hemvn_kernel_upper_block_sumILi64Ei19rocblas_complex_numIfEPKPS1_S1_EviT1_lS5_lT2_lT0_lPT3_i.num_vgpr, 8
	.set _ZL36rocblas_hemvn_kernel_upper_block_sumILi64Ei19rocblas_complex_numIfEPKPS1_S1_EviT1_lS5_lT2_lT0_lPT3_i.num_agpr, 0
	.set _ZL36rocblas_hemvn_kernel_upper_block_sumILi64Ei19rocblas_complex_numIfEPKPS1_S1_EviT1_lS5_lT2_lT0_lPT3_i.numbered_sgpr, 24
	.set _ZL36rocblas_hemvn_kernel_upper_block_sumILi64Ei19rocblas_complex_numIfEPKPS1_S1_EviT1_lS5_lT2_lT0_lPT3_i.num_named_barrier, 0
	.set _ZL36rocblas_hemvn_kernel_upper_block_sumILi64Ei19rocblas_complex_numIfEPKPS1_S1_EviT1_lS5_lT2_lT0_lPT3_i.private_seg_size, 0
	.set _ZL36rocblas_hemvn_kernel_upper_block_sumILi64Ei19rocblas_complex_numIfEPKPS1_S1_EviT1_lS5_lT2_lT0_lPT3_i.uses_vcc, 1
	.set _ZL36rocblas_hemvn_kernel_upper_block_sumILi64Ei19rocblas_complex_numIfEPKPS1_S1_EviT1_lS5_lT2_lT0_lPT3_i.uses_flat_scratch, 0
	.set _ZL36rocblas_hemvn_kernel_upper_block_sumILi64Ei19rocblas_complex_numIfEPKPS1_S1_EviT1_lS5_lT2_lT0_lPT3_i.has_dyn_sized_stack, 0
	.set _ZL36rocblas_hemvn_kernel_upper_block_sumILi64Ei19rocblas_complex_numIfEPKPS1_S1_EviT1_lS5_lT2_lT0_lPT3_i.has_recursion, 0
	.set _ZL36rocblas_hemvn_kernel_upper_block_sumILi64Ei19rocblas_complex_numIfEPKPS1_S1_EviT1_lS5_lT2_lT0_lPT3_i.has_indirect_call, 0
	.section	.AMDGPU.csdata,"",@progbits
; Kernel info:
; codeLenInByte = 664
; TotalNumSgprs: 28
; NumVgprs: 8
; ScratchSize: 0
; MemoryBound: 0
; FloatMode: 240
; IeeeMode: 1
; LDSByteSize: 0 bytes/workgroup (compile time only)
; SGPRBlocks: 3
; VGPRBlocks: 1
; NumSGPRsForWavesPerEU: 28
; NumVGPRsForWavesPerEU: 8
; Occupancy: 10
; WaveLimiterHint : 1
; COMPUTE_PGM_RSRC2:SCRATCH_EN: 0
; COMPUTE_PGM_RSRC2:USER_SGPR: 6
; COMPUTE_PGM_RSRC2:TRAP_HANDLER: 0
; COMPUTE_PGM_RSRC2:TGID_X_EN: 1
; COMPUTE_PGM_RSRC2:TGID_Y_EN: 0
; COMPUTE_PGM_RSRC2:TGID_Z_EN: 1
; COMPUTE_PGM_RSRC2:TIDIG_COMP_CNT: 0
	.section	.text._ZL26rocblas_hemvn_kernel_lowerILb1ELi64ELi4ELi33ELi32ELi16ElPK19rocblas_complex_numIfEPKS3_PS1_EviT6_lT7_lT5_lS8_lS9_lS7_lT8_i,"axG",@progbits,_ZL26rocblas_hemvn_kernel_lowerILb1ELi64ELi4ELi33ELi32ELi16ElPK19rocblas_complex_numIfEPKS3_PS1_EviT6_lT7_lT5_lS8_lS9_lS7_lT8_i,comdat
	.globl	_ZL26rocblas_hemvn_kernel_lowerILb1ELi64ELi4ELi33ELi32ELi16ElPK19rocblas_complex_numIfEPKS3_PS1_EviT6_lT7_lT5_lS8_lS9_lS7_lT8_i ; -- Begin function _ZL26rocblas_hemvn_kernel_lowerILb1ELi64ELi4ELi33ELi32ELi16ElPK19rocblas_complex_numIfEPKS3_PS1_EviT6_lT7_lT5_lS8_lS9_lS7_lT8_i
	.p2align	8
	.type	_ZL26rocblas_hemvn_kernel_lowerILb1ELi64ELi4ELi33ELi32ELi16ElPK19rocblas_complex_numIfEPKS3_PS1_EviT6_lT7_lT5_lS8_lS9_lS7_lT8_i,@function
_ZL26rocblas_hemvn_kernel_lowerILb1ELi64ELi4ELi33ELi32ELi16ElPK19rocblas_complex_numIfEPKS3_PS1_EviT6_lT7_lT5_lS8_lS9_lS7_lT8_i: ; @_ZL26rocblas_hemvn_kernel_lowerILb1ELi64ELi4ELi33ELi32ELi16ElPK19rocblas_complex_numIfEPKS3_PS1_EviT6_lT7_lT5_lS8_lS9_lS7_lT8_i
; %bb.0:
	s_load_dwordx2 s[0:1], s[4:5], 0x84
	s_add_u32 s16, s4, 0x78
	s_addc_u32 s17, s5, 0
	s_waitcnt lgkmcnt(0)
	s_lshr_b32 s2, s0, 16
	s_and_b32 s0, s0, 0xffff
	s_and_b32 s1, s1, 0xffff
	s_mul_i32 s0, s2, s0
	s_mul_i32 s0, s0, s1
	s_cmpk_lg_i32 s0, 0x100
	s_cbranch_scc1 .LBB40_150
; %bb.1:
	s_load_dwordx8 s[8:15], s[4:5], 0x8
	s_mov_b32 s22, s7
	s_mov_b32 s23, 0
	s_waitcnt lgkmcnt(0)
	s_mul_i32 s0, s11, s7
	s_mul_hi_u32 s1, s10, s7
	s_add_i32 s1, s1, s0
	s_mul_i32 s0, s10, s7
	s_lshl_b64 s[0:1], s[0:1], 3
	s_add_u32 s8, s8, s0
	s_addc_u32 s9, s9, s1
	s_load_dwordx2 s[10:11], s[8:9], 0x0
	s_load_dwordx2 s[26:27], s[4:5], 0x68
	s_load_dwordx4 s[0:3], s[4:5], 0x58
	s_mov_b64 s[8:9], -1
	s_waitcnt lgkmcnt(0)
	s_or_b32 s7, s10, s11
	s_bitset0_b32 s7, 31
	s_cmp_lg_u32 s7, 0
	s_cbranch_scc1 .LBB40_3
; %bb.2:
	s_mul_i32 s3, s3, s22
	s_mul_hi_u32 s7, s2, s22
	s_add_i32 s3, s7, s3
	s_mul_i32 s2, s2, s22
	s_lshl_b64 s[2:3], s[2:3], 3
	s_add_u32 s0, s0, s2
	s_addc_u32 s1, s1, s3
	s_load_dwordx2 s[2:3], s[0:1], 0x0
	s_mov_b64 s[8:9], 0
	s_waitcnt lgkmcnt(0)
	v_cmp_eq_f32_e64 s[0:1], s2, 1.0
	v_cmp_eq_f32_e64 s[2:3], s3, 0
	s_and_b64 s[0:1], s[0:1], s[2:3]
	s_andn2_b64 vcc, exec, s[0:1]
.LBB40_3:
	s_andn2_b64 vcc, exec, s[8:9]
	s_cbranch_vccnz .LBB40_150
; %bb.4:
	s_load_dword s7, s[16:17], 0x0
	s_load_dwordx4 s[0:3], s[4:5], 0x38
	s_load_dwordx2 s[20:21], s[4:5], 0x48
	s_lshl_b64 s[8:9], s[22:23], 3
	s_add_u32 s10, s12, s8
	s_addc_u32 s11, s13, s9
	s_waitcnt lgkmcnt(0)
	s_add_u32 s0, s0, s8
	s_addc_u32 s1, s1, s9
	s_load_dwordx2 s[12:13], s[0:1], 0x0
	s_load_dwordx2 s[24:25], s[4:5], 0x28
	s_load_dword s23, s[4:5], 0x0
	s_load_dwordx2 s[8:9], s[10:11], 0x0
	s_lshl_b64 s[0:1], s[2:3], 3
	s_waitcnt lgkmcnt(0)
	s_add_u32 s2, s12, s0
	s_addc_u32 s3, s13, s1
	s_lshl_b32 s30, s6, 6
	s_ashr_i32 s33, s23, 31
	s_lshr_b32 s0, s33, 26
	v_add_u32_e32 v34, s30, v0
	s_add_i32 s0, s23, s0
	v_ashrrev_i32_e32 v35, 31, v34
	s_and_b32 s5, s0, 0xffffffc0
	v_mul_lo_u32 v4, s20, v35
	v_mul_lo_u32 v5, s21, v34
	v_mad_u64_u32 v[2:3], s[0:1], s20, v34, 0
	s_add_i32 s4, s7, -1
	s_sub_i32 s0, s23, s5
	v_add3_u32 v3, v3, v4, v5
	v_lshlrev_b64 v[2:3], 3, v[2:3]
	s_cmp_eq_u32 s6, s4
	v_mov_b32_e32 v4, s3
	v_add_co_u32_e32 v18, vcc, s2, v2
	s_cselect_b32 s28, s0, 0
	v_addc_co_u32_e32 v19, vcc, v4, v3, vcc
	v_cmp_ne_u32_e64 s[0:1], 0, v1
	v_cmp_eq_u32_e64 s[2:3], 0, v1
	s_and_saveexec_b64 s[4:5], s[2:3]
	s_cbranch_execz .LBB40_9
; %bb.5:
	s_cmp_lg_u32 s28, 0
	s_cselect_b64 s[10:11], -1, 0
	v_cmp_le_i32_e32 vcc, s28, v0
	v_mov_b32_e32 v2, 0x2380
	s_and_b64 s[10:11], s[10:11], vcc
	v_lshl_add_u32 v2, v0, 3, v2
	s_and_saveexec_b64 s[12:13], s[10:11]
	s_xor_b64 s[10:11], exec, s[12:13]
; %bb.6:
	v_mov_b32_e32 v3, 0
	v_mov_b32_e32 v4, v3
	ds_write_b64 v2, v[3:4]
                                        ; implicit-def: $vgpr2
; %bb.7:
	s_andn2_saveexec_b64 s[10:11], s[10:11]
	s_cbranch_execz .LBB40_9
; %bb.8:
	flat_load_dwordx2 v[3:4], v[18:19]
	s_waitcnt vmcnt(0) lgkmcnt(0)
	ds_write_b64 v2, v[3:4]
.LBB40_9:
	s_or_b64 exec, exec, s[4:5]
	v_lshl_add_u32 v24, v1, 6, v0
	v_and_b32_e32 v2, 31, v0
	v_lshrrev_b32_e32 v7, 5, v24
	v_mov_b32_e32 v3, 0
	v_mad_u64_u32 v[3:4], s[10:11], s24, v7, v[2:3]
	s_lshl_b64 s[4:5], s[14:15], 3
	s_add_u32 s8, s8, s4
	s_addc_u32 s9, s9, s5
	v_mad_u64_u32 v[4:5], s[4:5], s25, v7, v[4:5]
	s_ashr_i32 s31, s30, 31
	s_lshl_b64 s[4:5], s[30:31], 3
	s_add_u32 s4, s8, s4
	v_lshlrev_b64 v[20:21], 3, v[3:4]
	s_addc_u32 s5, s9, s5
	v_mov_b32_e32 v3, s5
	v_add_co_u32_e32 v4, vcc, s4, v20
	s_mul_hi_u32 s4, s24, s30
	s_mul_i32 s5, s24, s31
	s_add_i32 s4, s4, s5
	s_mul_i32 s5, s25, s30
	s_add_i32 s5, s4, s5
	s_mul_i32 s4, s24, s30
	v_addc_co_u32_e32 v5, vcc, v3, v21, vcc
	s_lshl_b64 s[34:35], s[4:5], 3
	v_mov_b32_e32 v6, s35
	v_add_co_u32_e32 v3, vcc, s34, v4
	s_cmp_lg_u32 s28, 0
	v_addc_co_u32_e32 v4, vcc, v5, v6, vcc
	s_cselect_b64 s[36:37], -1, 0
	s_cmp_eq_u32 s28, 0
	s_cselect_b64 s[16:17], -1, 0
	s_mov_b64 s[4:5], -1
	s_and_b64 vcc, exec, s[36:37]
	s_cbranch_vccnz .LBB40_11
; %bb.10:
	s_lshl_b64 s[4:5], s[24:25], 6
	v_mov_b32_e32 v11, s5
	v_add_co_u32_e32 v5, vcc, s4, v3
	v_addc_co_u32_e32 v6, vcc, v4, v11, vcc
	v_add_co_u32_e32 v8, vcc, s4, v5
	v_addc_co_u32_e32 v9, vcc, v6, v11, vcc
	;; [unrolled: 2-line block ×3, first 2 shown]
	flat_load_dwordx2 v[12:13], v[3:4]
	flat_load_dwordx2 v[14:15], v[5:6]
	;; [unrolled: 1-line block ×4, first 2 shown]
	v_mul_u32_u24_e32 v5, 0x108, v7
	v_lshl_add_u32 v5, v2, 3, v5
	s_mov_b64 s[4:5], 0
	s_waitcnt vmcnt(0) lgkmcnt(0)
	ds_write_b64 v5, v[12:13]
	ds_write_b64 v5, v[14:15] offset:2112
	ds_write_b64 v5, v[16:17] offset:4224
	;; [unrolled: 1-line block ×3, first 2 shown]
.LBB40_11:
	s_andn2_b64 vcc, exec, s[4:5]
	v_lshlrev_b32_e32 v8, 3, v2
	s_cbranch_vccnz .LBB40_29
; %bb.12:
	v_lshlrev_b32_e32 v9, 3, v2
	v_sub_co_u32_e32 v5, vcc, v3, v9
	s_ashr_i32 s29, s28, 31
	v_subbrev_co_u32_e32 v6, vcc, 0, v4, vcc
	s_lshl_b64 s[8:9], s[28:29], 3
	v_mov_b32_e32 v10, s9
	v_add_co_u32_e32 v5, vcc, s8, v5
	v_addc_co_u32_e32 v6, vcc, v6, v10, vcc
	v_add_co_u32_e32 v5, vcc, -8, v5
	v_addc_co_u32_e32 v6, vcc, -1, v6, vcc
	v_cmp_gt_i32_e32 vcc, s28, v2
	v_cndmask_b32_e32 v6, v6, v4, vcc
	v_cndmask_b32_e32 v5, v5, v3, vcc
	v_cmp_le_i32_e64 s[4:5], s28, v7
	v_mul_u32_u24_e32 v10, 0x108, v7
	s_and_saveexec_b64 s[10:11], s[4:5]
	s_xor_b64 s[4:5], exec, s[10:11]
; %bb.13:
	v_mov_b32_e32 v11, 0
	v_add_u32_e32 v13, v8, v10
	v_mov_b32_e32 v12, v11
	ds_write_b64 v13, v[11:12]
; %bb.14:
	s_andn2_saveexec_b64 s[4:5], s[4:5]
	s_cbranch_execz .LBB40_16
; %bb.15:
	flat_load_dwordx2 v[11:12], v[5:6]
	v_add_u32_e32 v13, v8, v10
	s_waitcnt vmcnt(0) lgkmcnt(0)
	ds_write_b64 v13, v[11:12]
.LBB40_16:
	s_or_b64 exec, exec, s[4:5]
	v_add_u32_e32 v11, 8, v7
	v_cmp_le_i32_e64 s[4:5], s28, v11
	s_and_saveexec_b64 s[10:11], s[4:5]
	s_xor_b64 s[4:5], exec, s[10:11]
; %bb.17:
	v_mov_b32_e32 v11, 0
	v_add_u32_e32 v13, v10, v8
	v_mov_b32_e32 v12, v11
	ds_write_b64 v13, v[11:12] offset:2112
; %bb.18:
	s_andn2_saveexec_b64 s[10:11], s[4:5]
	s_cbranch_execz .LBB40_20
; %bb.19:
	s_lshl_b64 s[4:5], s[24:25], 6
	v_mov_b32_e32 v12, s5
	v_add_co_u32_e64 v11, s[4:5], s4, v5
	v_addc_co_u32_e64 v12, s[4:5], v6, v12, s[4:5]
	flat_load_dwordx2 v[11:12], v[11:12]
	v_add_u32_e32 v13, v10, v8
	s_waitcnt vmcnt(0) lgkmcnt(0)
	ds_write_b64 v13, v[11:12] offset:2112
.LBB40_20:
	s_or_b64 exec, exec, s[10:11]
	v_add_u32_e32 v11, 16, v7
	v_cmp_le_i32_e64 s[4:5], s28, v11
	s_and_saveexec_b64 s[10:11], s[4:5]
	s_xor_b64 s[4:5], exec, s[10:11]
; %bb.21:
	v_mov_b32_e32 v11, 0
	v_add_u32_e32 v13, v10, v8
	v_mov_b32_e32 v12, v11
	ds_write_b64 v13, v[11:12] offset:4224
; %bb.22:
	s_andn2_saveexec_b64 s[10:11], s[4:5]
	s_cbranch_execz .LBB40_24
; %bb.23:
	s_lshl_b64 s[4:5], s[24:25], 7
	v_mov_b32_e32 v12, s5
	v_add_co_u32_e64 v11, s[4:5], s4, v5
	v_addc_co_u32_e64 v12, s[4:5], v6, v12, s[4:5]
	flat_load_dwordx2 v[11:12], v[11:12]
	v_add_u32_e32 v13, v10, v8
	s_waitcnt vmcnt(0) lgkmcnt(0)
	ds_write_b64 v13, v[11:12] offset:4224
.LBB40_24:
	s_or_b64 exec, exec, s[10:11]
	v_add_u32_e32 v11, 24, v7
	v_cmp_le_i32_e64 s[4:5], s28, v11
	s_and_saveexec_b64 s[10:11], s[4:5]
	s_xor_b64 s[4:5], exec, s[10:11]
; %bb.25:
	v_add_u32_e32 v12, v10, v8
	v_mov_b32_e32 v10, 0
	v_mov_b32_e32 v11, v10
	ds_write_b64 v12, v[10:11] offset:6336
                                        ; implicit-def: $vgpr10
; %bb.26:
	s_andn2_saveexec_b64 s[4:5], s[4:5]
	s_cbranch_execz .LBB40_28
; %bb.27:
	v_mov_b32_e32 v11, 0xc0
	v_mad_u64_u32 v[11:12], s[10:11], s24, v11, v[5:6]
	s_mul_i32 s10, s25, 0xc0
	v_add_u32_e32 v10, v10, v8
	v_add_u32_e32 v12, s10, v12
	flat_load_dwordx2 v[11:12], v[11:12]
	s_waitcnt vmcnt(0) lgkmcnt(0)
	ds_write_b64 v10, v[11:12] offset:6336
.LBB40_28:
	s_or_b64 exec, exec, s[4:5]
	v_add_co_u32_e64 v5, s[4:5], v5, v9
	v_addc_co_u32_e64 v6, s[4:5], 0, v6, s[4:5]
	v_mov_b32_e32 v9, s9
	v_subrev_co_u32_e64 v5, s[4:5], s8, v5
	v_subb_co_u32_e64 v6, s[4:5], v6, v9, s[4:5]
	v_add_co_u32_e64 v5, s[4:5], 8, v5
	v_addc_co_u32_e64 v6, s[4:5], 0, v6, s[4:5]
	v_cndmask_b32_e32 v4, v6, v4, vcc
	v_cndmask_b32_e32 v3, v5, v3, vcc
.LBB40_29:
	v_lshlrev_b32_e32 v5, 2, v7
	v_mul_u32_u24_e32 v6, 0x108, v2
	v_cmp_ge_u32_e64 s[18:19], v5, v2
	s_mov_b64 s[4:5], 0
	s_waitcnt lgkmcnt(0)
	s_barrier
                                        ; implicit-def: $vgpr10
	s_and_saveexec_b64 s[8:9], s[18:19]
	s_xor_b64 s[8:9], exec, s[8:9]
	s_cbranch_execz .LBB40_33
; %bb.30:
	v_cmp_eq_u32_e32 vcc, v5, v2
                                        ; implicit-def: $vgpr10
	s_and_saveexec_b64 s[10:11], vcc
	s_xor_b64 s[10:11], exec, s[10:11]
; %bb.31:
	s_mov_b64 s[4:5], exec
	v_add_u32_e32 v10, v8, v6
; %bb.32:
	s_or_b64 exec, exec, s[10:11]
	s_and_b64 s[4:5], s[4:5], exec
.LBB40_33:
	s_or_saveexec_b64 s[8:9], s[8:9]
	v_lshl_or_b32 v9, v2, 8, v8
	v_mov_b32_e32 v11, 0
	s_xor_b64 exec, exec, s[8:9]
	s_cbranch_execz .LBB40_35
; %bb.34:
	s_movk_i32 s10, 0x420
	v_mad_u32_u24 v10, v7, s10, v8
	ds_read_b64 v[12:13], v10
	v_lshl_add_u32 v10, v5, 3, v9
	s_or_b64 s[4:5], s[4:5], exec
	s_waitcnt lgkmcnt(0)
	v_xor_b32_e32 v11, 0x80000000, v13
	ds_write_b32 v10, v12
.LBB40_35:
	s_or_b64 exec, exec, s[8:9]
	s_and_saveexec_b64 s[8:9], s[4:5]
; %bb.36:
	ds_write_b32 v10, v11 offset:4
; %bb.37:
	s_or_b64 exec, exec, s[8:9]
	v_or_b32_e32 v10, 1, v5
	v_cmp_ge_u32_e64 s[8:9], v10, v2
	s_mov_b64 s[4:5], 0
                                        ; implicit-def: $vgpr11
	s_and_saveexec_b64 s[10:11], s[8:9]
	s_xor_b64 s[10:11], exec, s[10:11]
	s_cbranch_execnz .LBB40_99
; %bb.38:
	s_or_saveexec_b64 s[10:11], s[10:11]
	v_mov_b32_e32 v12, 0
	s_xor_b64 exec, exec, s[10:11]
	s_cbranch_execnz .LBB40_102
.LBB40_39:
	s_or_b64 exec, exec, s[10:11]
	s_and_saveexec_b64 s[10:11], s[4:5]
.LBB40_40:
	ds_write_b32 v11, v12 offset:4
.LBB40_41:
	s_or_b64 exec, exec, s[10:11]
	v_or_b32_e32 v11, 2, v5
	v_cmp_ge_u32_e64 s[10:11], v11, v2
	s_mov_b64 s[4:5], 0
                                        ; implicit-def: $vgpr12
	s_and_saveexec_b64 s[12:13], s[10:11]
	s_xor_b64 s[12:13], exec, s[12:13]
	s_cbranch_execnz .LBB40_103
; %bb.42:
	s_or_saveexec_b64 s[12:13], s[12:13]
	v_mov_b32_e32 v13, 0
	s_xor_b64 exec, exec, s[12:13]
	s_cbranch_execnz .LBB40_106
.LBB40_43:
	s_or_b64 exec, exec, s[12:13]
	s_and_saveexec_b64 s[12:13], s[4:5]
.LBB40_44:
	ds_write_b32 v12, v13 offset:4
.LBB40_45:
	s_or_b64 exec, exec, s[12:13]
	v_or_b32_e32 v12, 3, v5
	v_cmp_ge_u32_e64 s[12:13], v12, v2
	s_mov_b64 s[4:5], 0
                                        ; implicit-def: $vgpr13
	s_and_saveexec_b64 s[14:15], s[12:13]
	s_xor_b64 s[14:15], exec, s[14:15]
	s_cbranch_execnz .LBB40_107
; %bb.46:
	s_or_saveexec_b64 s[14:15], s[14:15]
	v_mov_b32_e32 v14, 0
	s_xor_b64 exec, exec, s[14:15]
	s_cbranch_execnz .LBB40_110
.LBB40_47:
	s_or_b64 exec, exec, s[14:15]
	s_and_saveexec_b64 s[14:15], s[4:5]
.LBB40_48:
	ds_write_b32 v13, v14 offset:4
.LBB40_49:
	s_or_b64 exec, exec, s[14:15]
	s_movk_i32 s4, 0x420
	v_mad_u32_u24 v13, v7, s4, v8
	s_waitcnt lgkmcnt(0)
	s_barrier
	v_lshlrev_b32_e32 v9, 3, v5
	ds_read_b64 v[22:23], v13
	ds_read_b128 v[13:16], v9 offset:9088
	ds_read_b128 v[25:28], v9 offset:9104
	s_movk_i32 s4, 0x108
	v_mov_b32_e32 v36, 0
	v_mov_b32_e32 v37, 0
	s_waitcnt lgkmcnt(1)
	v_mul_f32_e32 v17, v14, v23
	v_fma_f32 v17, v13, v22, -v17
	v_mul_f32_e32 v13, v13, v23
	v_mad_u32_u24 v23, v10, s4, v8
	ds_read2_b64 v[29:32], v23 offset1:33
	v_fmac_f32_e32 v13, v14, v22
	v_add_f32_e32 v14, 0, v17
	v_add_f32_e32 v13, 0, v13
	v_cmp_gt_u32_e64 s[4:5], 32, v24
	s_waitcnt lgkmcnt(0)
	v_mul_f32_e32 v17, v16, v30
	v_fma_f32 v17, v15, v29, -v17
	v_mul_f32_e32 v15, v15, v30
	v_fmac_f32_e32 v15, v16, v29
	v_add_f32_e32 v16, v14, v17
	v_add_f32_e32 v15, v13, v15
	ds_read_b64 v[13:14], v23 offset:528
	v_mul_f32_e32 v17, v26, v32
	v_fma_f32 v17, v25, v31, -v17
	v_mul_f32_e32 v22, v25, v32
	v_fmac_f32_e32 v22, v26, v31
	v_add_f32_e32 v16, v16, v17
	s_waitcnt lgkmcnt(0)
	v_mul_f32_e32 v17, v28, v14
	v_mul_f32_e32 v14, v27, v14
	v_add_f32_e32 v15, v15, v22
	v_fmac_f32_e32 v14, v28, v13
	v_add_f32_e32 v14, v15, v14
	v_mul_u32_u24_e32 v15, 33, v2
	v_fma_f32 v17, v27, v13, -v17
	v_lshlrev_b32_e32 v25, 3, v15
	v_add_f32_e32 v13, v16, v17
	v_lshl_add_u32 v26, v7, 3, v25
	s_barrier
	ds_write_b64 v26, v[13:14]
	s_waitcnt lgkmcnt(0)
	s_barrier
	s_and_saveexec_b64 s[14:15], s[4:5]
	s_cbranch_execz .LBB40_51
; %bb.50:
	ds_read2_b64 v[13:16], v25 offset1:7
	ds_read2_b64 v[27:30], v25 offset0:1 offset1:2
	ds_read2_b64 v[36:39], v25 offset0:3 offset1:4
	s_waitcnt lgkmcnt(1)
	v_add_f32_e32 v13, v27, v13
	v_add_f32_e32 v14, v28, v14
	v_add_f32_e32 v13, v29, v13
	v_add_f32_e32 v14, v30, v14
	ds_read2_b64 v[27:30], v25 offset0:5 offset1:6
	s_waitcnt lgkmcnt(1)
	v_add_f32_e32 v13, v13, v36
	v_add_f32_e32 v14, v14, v37
	;; [unrolled: 1-line block ×4, first 2 shown]
	s_waitcnt lgkmcnt(0)
	v_add_f32_e32 v13, v13, v27
	v_add_f32_e32 v14, v14, v28
	;; [unrolled: 1-line block ×6, first 2 shown]
.LBB40_51:
	s_or_b64 exec, exec, s[14:15]
	s_lshl_b64 s[14:15], s[24:25], 8
	v_mov_b32_e32 v13, s15
	v_add_co_u32_e32 v3, vcc, s14, v3
	v_addc_co_u32_e32 v4, vcc, v4, v13, vcc
	v_add_co_u32_e32 v13, vcc, 0x100, v3
	v_addc_co_u32_e32 v14, vcc, 0, v4, vcc
	v_cndmask_b32_e64 v15, 0, 1, s[16:17]
	v_cmp_ne_u32_e64 s[14:15], 1, v15
	s_andn2_b64 vcc, exec, s[16:17]
	s_mov_b64 s[16:17], -1
	s_barrier
	s_cbranch_vccnz .LBB40_53
; %bb.52:
	s_lshl_b64 s[16:17], s[24:25], 6
	v_mov_b32_e32 v17, s17
	v_add_co_u32_e32 v15, vcc, s16, v3
	v_addc_co_u32_e32 v16, vcc, v4, v17, vcc
	v_add_co_u32_e32 v22, vcc, s16, v15
	v_addc_co_u32_e32 v23, vcc, v16, v17, vcc
	;; [unrolled: 2-line block ×3, first 2 shown]
	flat_load_dwordx2 v[29:30], v[3:4] offset:256
	flat_load_dwordx2 v[31:32], v[15:16] offset:256
	;; [unrolled: 1-line block ×4, first 2 shown]
	s_movk_i32 s16, 0x108
	v_mad_u32_u24 v15, v7, s16, v8
	s_mov_b64 s[16:17], 0
	s_waitcnt vmcnt(0) lgkmcnt(0)
	ds_write_b64 v15, v[29:30]
	ds_write_b64 v15, v[31:32] offset:2112
	ds_write_b64 v15, v[38:39] offset:4224
	;; [unrolled: 1-line block ×3, first 2 shown]
.LBB40_53:
	s_andn2_b64 vcc, exec, s[16:17]
	s_cbranch_vccnz .LBB40_71
; %bb.54:
	v_lshlrev_b32_e32 v15, 3, v2
	v_sub_co_u32_e32 v3, vcc, v3, v15
	s_ashr_i32 s29, s28, 31
	v_subbrev_co_u32_e32 v4, vcc, 0, v4, vcc
	s_lshl_b64 s[38:39], s[28:29], 3
	v_mov_b32_e32 v17, s39
	v_add_co_u32_e32 v3, vcc, s38, v3
	v_addc_co_u32_e32 v4, vcc, v4, v17, vcc
	v_or_b32_e32 v16, 32, v2
	v_add_co_u32_e32 v3, vcc, -8, v3
	v_addc_co_u32_e32 v4, vcc, -1, v4, vcc
	v_cmp_gt_i32_e64 s[16:17], s28, v16
	s_sub_i32 s29, s28, 32
	v_cndmask_b32_e64 v4, v4, v14, s[16:17]
	v_cndmask_b32_e64 v3, v3, v13, s[16:17]
	v_cmp_le_i32_e32 vcc, s29, v7
	v_mul_u32_u24_e32 v16, 0x108, v7
	s_and_saveexec_b64 s[40:41], vcc
	s_xor_b64 s[40:41], exec, s[40:41]
; %bb.55:
	v_mov_b32_e32 v22, 0
	v_add_u32_e32 v17, v8, v16
	v_mov_b32_e32 v23, v22
	ds_write_b64 v17, v[22:23]
; %bb.56:
	s_andn2_saveexec_b64 s[40:41], s[40:41]
	s_cbranch_execz .LBB40_58
; %bb.57:
	flat_load_dwordx2 v[22:23], v[3:4]
	v_add_u32_e32 v17, v8, v16
	s_waitcnt vmcnt(0) lgkmcnt(0)
	ds_write_b64 v17, v[22:23]
.LBB40_58:
	s_or_b64 exec, exec, s[40:41]
	v_add_u32_e32 v17, 8, v7
	v_cmp_le_i32_e32 vcc, s29, v17
	s_and_saveexec_b64 s[40:41], vcc
	s_xor_b64 s[40:41], exec, s[40:41]
; %bb.59:
	v_mov_b32_e32 v22, 0
	v_add_u32_e32 v17, v16, v8
	v_mov_b32_e32 v23, v22
	ds_write_b64 v17, v[22:23] offset:2112
; %bb.60:
	s_andn2_saveexec_b64 s[40:41], s[40:41]
	s_cbranch_execz .LBB40_62
; %bb.61:
	s_lshl_b64 s[42:43], s[24:25], 6
	v_mov_b32_e32 v17, s43
	v_add_co_u32_e32 v22, vcc, s42, v3
	v_addc_co_u32_e32 v23, vcc, v4, v17, vcc
	flat_load_dwordx2 v[22:23], v[22:23]
	v_add_u32_e32 v17, v16, v8
	s_waitcnt vmcnt(0) lgkmcnt(0)
	ds_write_b64 v17, v[22:23] offset:2112
.LBB40_62:
	s_or_b64 exec, exec, s[40:41]
	v_add_u32_e32 v17, 16, v7
	v_cmp_le_i32_e32 vcc, s29, v17
	s_and_saveexec_b64 s[40:41], vcc
	s_xor_b64 s[40:41], exec, s[40:41]
; %bb.63:
	v_mov_b32_e32 v22, 0
	v_add_u32_e32 v17, v16, v8
	v_mov_b32_e32 v23, v22
	ds_write_b64 v17, v[22:23] offset:4224
; %bb.64:
	s_andn2_saveexec_b64 s[40:41], s[40:41]
	s_cbranch_execz .LBB40_66
; %bb.65:
	s_lshl_b64 s[42:43], s[24:25], 7
	v_mov_b32_e32 v17, s43
	v_add_co_u32_e32 v22, vcc, s42, v3
	v_addc_co_u32_e32 v23, vcc, v4, v17, vcc
	flat_load_dwordx2 v[22:23], v[22:23]
	v_add_u32_e32 v17, v16, v8
	s_waitcnt vmcnt(0) lgkmcnt(0)
	ds_write_b64 v17, v[22:23] offset:4224
.LBB40_66:
	s_or_b64 exec, exec, s[40:41]
	v_add_u32_e32 v17, 24, v7
	v_cmp_le_i32_e32 vcc, s29, v17
	s_and_saveexec_b64 s[40:41], vcc
	s_xor_b64 s[40:41], exec, s[40:41]
; %bb.67:
	v_add_u32_e32 v22, v16, v8
	v_mov_b32_e32 v16, 0
	v_mov_b32_e32 v17, v16
	ds_write_b64 v22, v[16:17] offset:6336
                                        ; implicit-def: $vgpr16
; %bb.68:
	s_andn2_saveexec_b64 s[40:41], s[40:41]
	s_cbranch_execz .LBB40_70
; %bb.69:
	v_mov_b32_e32 v17, 0xc0
	v_mad_u64_u32 v[22:23], s[42:43], s24, v17, v[3:4]
	s_mul_i32 s29, s25, 0xc0
	v_add_u32_e32 v16, v16, v8
	v_add_u32_e32 v23, s29, v23
	flat_load_dwordx2 v[22:23], v[22:23]
	s_waitcnt vmcnt(0) lgkmcnt(0)
	ds_write_b64 v16, v[22:23] offset:6336
.LBB40_70:
	s_or_b64 exec, exec, s[40:41]
	v_add_co_u32_e32 v3, vcc, v3, v15
	v_addc_co_u32_e32 v4, vcc, 0, v4, vcc
	v_mov_b32_e32 v15, s39
	v_subrev_co_u32_e32 v3, vcc, s38, v3
	v_subb_co_u32_e32 v4, vcc, v4, v15, vcc
	v_add_co_u32_e32 v3, vcc, 0x108, v3
	v_addc_co_u32_e32 v4, vcc, 0, v4, vcc
	v_cndmask_b32_e64 v14, v4, v14, s[16:17]
	v_cndmask_b32_e64 v13, v3, v13, s[16:17]
.LBB40_71:
	v_mul_u32_u24_e32 v3, 0x420, v7
	v_add_u32_e32 v9, 0x2380, v9
	v_mul_u32_u24_e32 v4, 0x108, v10
	s_lshl_b64 s[16:17], s[24:25], 5
	s_mov_b64 s[38:39], 0
	s_waitcnt lgkmcnt(0)
	s_barrier
                                        ; implicit-def: $vgpr15
	s_and_saveexec_b64 s[40:41], s[18:19]
	s_xor_b64 s[18:19], exec, s[40:41]
	s_cbranch_execz .LBB40_75
; %bb.72:
	v_cmp_eq_u32_e32 vcc, v5, v2
                                        ; implicit-def: $vgpr15
	s_and_saveexec_b64 s[40:41], vcc
	s_xor_b64 s[40:41], exec, s[40:41]
; %bb.73:
	s_mov_b64 s[38:39], exec
	v_add_u32_e32 v15, v8, v6
; %bb.74:
	s_or_b64 exec, exec, s[40:41]
	s_and_b64 s[38:39], s[38:39], exec
.LBB40_75:
	s_or_saveexec_b64 s[18:19], s[18:19]
	v_mov_b32_e32 v16, 0
	v_add_u32_e32 v3, v8, v3
	s_xor_b64 exec, exec, s[18:19]
	s_cbranch_execz .LBB40_77
; %bb.76:
	ds_read_b64 v[22:23], v3
	v_lshl_add_u32 v15, v5, 3, v25
	s_or_b64 s[38:39], s[38:39], exec
	s_waitcnt lgkmcnt(0)
	v_xor_b32_e32 v16, 0x80000000, v23
	ds_write_b32 v15, v22
.LBB40_77:
	s_or_b64 exec, exec, s[18:19]
	s_and_saveexec_b64 s[18:19], s[38:39]
; %bb.78:
	ds_write_b32 v15, v16 offset:4
; %bb.79:
	s_or_b64 exec, exec, s[18:19]
	s_mov_b64 s[18:19], 0
                                        ; implicit-def: $vgpr15
	s_and_saveexec_b64 s[38:39], s[8:9]
	s_xor_b64 s[8:9], exec, s[38:39]
	s_cbranch_execz .LBB40_83
; %bb.80:
	v_cmp_eq_u32_e32 vcc, v10, v2
                                        ; implicit-def: $vgpr15
	s_and_saveexec_b64 s[38:39], vcc
; %bb.81:
	s_mov_b64 s[18:19], exec
	v_add_u32_e32 v15, v8, v6
; %bb.82:
	s_or_b64 exec, exec, s[38:39]
	s_and_b64 s[18:19], s[18:19], exec
.LBB40_83:
	s_or_saveexec_b64 s[8:9], s[8:9]
	v_mov_b32_e32 v10, 0
	v_add_u32_e32 v4, v8, v4
	s_xor_b64 exec, exec, s[8:9]
	s_cbranch_execz .LBB40_85
; %bb.84:
	ds_read_b64 v[16:17], v4
	v_lshl_add_u32 v22, v5, 3, v25
	v_add_u32_e32 v15, 8, v22
	s_or_b64 s[18:19], s[18:19], exec
	s_waitcnt lgkmcnt(0)
	v_xor_b32_e32 v10, 0x80000000, v17
	ds_write_b32 v22, v16 offset:8
.LBB40_85:
	s_or_b64 exec, exec, s[8:9]
	s_and_saveexec_b64 s[8:9], s[18:19]
; %bb.86:
	ds_write_b32 v15, v10 offset:4
; %bb.87:
	s_or_b64 exec, exec, s[8:9]
	s_mov_b64 s[8:9], 0
                                        ; implicit-def: $vgpr10
	s_and_saveexec_b64 s[18:19], s[10:11]
	s_xor_b64 s[10:11], exec, s[18:19]
	s_cbranch_execnz .LBB40_111
; %bb.88:
	s_or_saveexec_b64 s[10:11], s[10:11]
	v_mov_b32_e32 v11, 0
	s_xor_b64 exec, exec, s[10:11]
	s_cbranch_execnz .LBB40_114
.LBB40_89:
	s_or_b64 exec, exec, s[10:11]
	s_and_saveexec_b64 s[10:11], s[8:9]
.LBB40_90:
	ds_write_b32 v10, v11 offset:4
.LBB40_91:
	s_or_b64 exec, exec, s[10:11]
	s_mov_b64 s[8:9], 0
                                        ; implicit-def: $vgpr10
	s_and_saveexec_b64 s[10:11], s[12:13]
	s_xor_b64 s[10:11], exec, s[10:11]
	s_cbranch_execnz .LBB40_115
; %bb.92:
	s_or_saveexec_b64 s[10:11], s[10:11]
	v_mov_b32_e32 v6, 0
	s_xor_b64 exec, exec, s[10:11]
	s_cbranch_execnz .LBB40_118
.LBB40_93:
	s_or_b64 exec, exec, s[10:11]
	s_and_saveexec_b64 s[10:11], s[8:9]
.LBB40_94:
	ds_write_b32 v10, v6 offset:4
.LBB40_95:
	s_or_b64 exec, exec, s[10:11]
	s_waitcnt lgkmcnt(0)
	s_barrier
	ds_read_b64 v[10:11], v3
	ds_read_b128 v[27:30], v9 offset:256
	ds_read_b128 v[38:41], v9 offset:272
	ds_read_b64 v[15:16], v4 offset:528
	ds_read2_b64 v[42:45], v4 offset1:33
	v_cmp_eq_u32_e64 s[10:11], 1, v7
	s_waitcnt lgkmcnt(3)
	v_mul_f32_e32 v3, v28, v11
	v_mul_f32_e32 v4, v27, v11
	v_fma_f32 v3, v27, v10, -v3
	v_fmac_f32_e32 v4, v28, v10
	s_waitcnt lgkmcnt(0)
	v_mul_f32_e32 v6, v30, v43
	v_mul_f32_e32 v10, v29, v43
	v_add_f32_e32 v3, 0, v3
	v_add_f32_e32 v4, 0, v4
	v_fma_f32 v6, v29, v42, -v6
	v_fmac_f32_e32 v10, v30, v42
	v_add_f32_e32 v3, v3, v6
	v_add_f32_e32 v4, v4, v10
	v_mul_f32_e32 v6, v39, v45
	v_mul_f32_e32 v10, v38, v45
	v_fma_f32 v6, v38, v44, -v6
	v_fmac_f32_e32 v10, v39, v44
	v_add_f32_e32 v3, v3, v6
	v_add_f32_e32 v4, v4, v10
	v_mul_f32_e32 v6, v41, v16
	v_mul_f32_e32 v10, v40, v16
	v_fma_f32 v6, v40, v15, -v6
	v_fmac_f32_e32 v10, v41, v15
	v_add_f32_e32 v3, v3, v6
	v_add_f32_e32 v4, v4, v10
	s_barrier
	ds_write_b64 v26, v[3:4]
	s_waitcnt lgkmcnt(0)
	s_barrier
	s_and_saveexec_b64 s[8:9], s[10:11]
	s_cbranch_execz .LBB40_97
; %bb.96:
	ds_read2_b64 v[27:30], v25 offset1:7
	ds_read2_b64 v[36:39], v25 offset0:1 offset1:2
	ds_read2_b64 v[40:43], v25 offset0:3 offset1:4
	s_waitcnt lgkmcnt(1)
	v_add_f32_e32 v3, v36, v27
	v_add_f32_e32 v4, v37, v28
	v_add_f32_e32 v3, v38, v3
	v_add_f32_e32 v4, v39, v4
	ds_read2_b64 v[36:39], v25 offset0:5 offset1:6
	s_waitcnt lgkmcnt(1)
	v_add_f32_e32 v3, v3, v40
	v_add_f32_e32 v4, v4, v41
	;; [unrolled: 1-line block ×4, first 2 shown]
	s_waitcnt lgkmcnt(0)
	v_add_f32_e32 v3, v3, v36
	v_add_f32_e32 v4, v4, v37
	;; [unrolled: 1-line block ×6, first 2 shown]
.LBB40_97:
	s_or_b64 exec, exec, s[8:9]
	s_lshl_b64 s[8:9], s[16:17], 3
	v_mov_b32_e32 v3, s9
	v_subrev_co_u32_e64 v22, s[8:9], s8, v13
	s_and_b64 vcc, exec, s[14:15]
	v_subb_co_u32_e64 v23, s[8:9], v14, v3, s[8:9]
	s_barrier
	s_cbranch_vccnz .LBB40_119
; %bb.98:
	s_lshl_b64 s[8:9], s[24:25], 6
	v_mov_b32_e32 v6, s9
	v_add_co_u32_e32 v3, vcc, s8, v22
	v_addc_co_u32_e32 v4, vcc, v23, v6, vcc
	v_add_co_u32_e32 v10, vcc, s8, v3
	v_addc_co_u32_e32 v11, vcc, v4, v6, vcc
	;; [unrolled: 2-line block ×3, first 2 shown]
	flat_load_dwordx2 v[14:15], v[22:23]
	flat_load_dwordx2 v[16:17], v[3:4]
	;; [unrolled: 1-line block ×4, first 2 shown]
	s_movk_i32 s8, 0x108
	v_mov_b32_e32 v3, 0x840
	v_mov_b32_e32 v13, 0x1080
	;; [unrolled: 1-line block ×3, first 2 shown]
	v_mul_u32_u24_e32 v6, 0x108, v7
	v_add_u32_e32 v10, 8, v7
	v_add_u32_e32 v11, 16, v7
	;; [unrolled: 1-line block ×3, first 2 shown]
	v_mad_u32_u24 v32, v7, s8, v8
	v_mad_u32_u24 v4, v7, s8, v3
	;; [unrolled: 1-line block ×4, first 2 shown]
	v_add_u32_e32 v31, v8, v4
	v_add_u32_e32 v33, v8, v3
	;; [unrolled: 1-line block ×3, first 2 shown]
	s_waitcnt vmcnt(0) lgkmcnt(0)
	ds_write_b64 v32, v[14:15]
	ds_write_b64 v31, v[16:17]
	;; [unrolled: 1-line block ×4, first 2 shown]
	s_cbranch_execz .LBB40_120
	s_branch .LBB40_137
.LBB40_99:
	v_cmp_eq_u32_e32 vcc, v10, v2
                                        ; implicit-def: $vgpr11
	s_and_saveexec_b64 s[12:13], vcc
; %bb.100:
	s_mov_b64 s[4:5], exec
	v_add_u32_e32 v11, v8, v6
; %bb.101:
	s_or_b64 exec, exec, s[12:13]
	s_and_b64 s[4:5], s[4:5], exec
	s_or_saveexec_b64 s[10:11], s[10:11]
	v_mov_b32_e32 v12, 0
	s_xor_b64 exec, exec, s[10:11]
	s_cbranch_execz .LBB40_39
.LBB40_102:
	s_movk_i32 s12, 0x108
	v_mad_u32_u24 v11, v10, s12, v8
	ds_read_b64 v[13:14], v11
	v_lshl_add_u32 v15, v5, 3, v9
	v_add_u32_e32 v11, 8, v15
	s_or_b64 s[4:5], s[4:5], exec
	s_waitcnt lgkmcnt(0)
	v_xor_b32_e32 v12, 0x80000000, v14
	ds_write_b32 v15, v13 offset:8
	s_or_b64 exec, exec, s[10:11]
	s_and_saveexec_b64 s[10:11], s[4:5]
	s_cbranch_execnz .LBB40_40
	s_branch .LBB40_41
.LBB40_103:
	v_cmp_eq_u32_e32 vcc, v11, v2
                                        ; implicit-def: $vgpr12
	s_and_saveexec_b64 s[14:15], vcc
; %bb.104:
	s_mov_b64 s[4:5], exec
	v_add_u32_e32 v12, v8, v6
; %bb.105:
	s_or_b64 exec, exec, s[14:15]
	s_and_b64 s[4:5], s[4:5], exec
	s_or_saveexec_b64 s[12:13], s[12:13]
	v_mov_b32_e32 v13, 0
	s_xor_b64 exec, exec, s[12:13]
	s_cbranch_execz .LBB40_43
.LBB40_106:
	s_movk_i32 s14, 0x108
	v_mad_u32_u24 v12, v11, s14, v8
	ds_read_b64 v[14:15], v12
	v_lshl_add_u32 v16, v5, 3, v9
	v_add_u32_e32 v12, 16, v16
	s_or_b64 s[4:5], s[4:5], exec
	s_waitcnt lgkmcnt(0)
	v_xor_b32_e32 v13, 0x80000000, v15
	ds_write_b32 v16, v14 offset:16
	s_or_b64 exec, exec, s[12:13]
	s_and_saveexec_b64 s[12:13], s[4:5]
	s_cbranch_execnz .LBB40_44
	s_branch .LBB40_45
.LBB40_107:
	v_cmp_eq_u32_e32 vcc, v12, v2
                                        ; implicit-def: $vgpr13
	s_and_saveexec_b64 s[38:39], vcc
; %bb.108:
	s_mov_b64 s[4:5], exec
	v_add_u32_e32 v13, v8, v6
; %bb.109:
	s_or_b64 exec, exec, s[38:39]
	s_and_b64 s[4:5], s[4:5], exec
                                        ; implicit-def: $vgpr9
	s_or_saveexec_b64 s[14:15], s[14:15]
	v_mov_b32_e32 v14, 0
	s_xor_b64 exec, exec, s[14:15]
	s_cbranch_execz .LBB40_47
.LBB40_110:
	s_movk_i32 s29, 0x108
	v_mad_u32_u24 v13, v12, s29, v8
	ds_read_b64 v[15:16], v13
	v_lshl_add_u32 v9, v5, 3, v9
	v_add_u32_e32 v13, 24, v9
	s_or_b64 s[4:5], s[4:5], exec
	s_waitcnt lgkmcnt(0)
	v_xor_b32_e32 v14, 0x80000000, v16
	ds_write_b32 v9, v15 offset:24
	s_or_b64 exec, exec, s[14:15]
	s_and_saveexec_b64 s[14:15], s[4:5]
	s_cbranch_execnz .LBB40_48
	s_branch .LBB40_49
.LBB40_111:
	v_cmp_eq_u32_e32 vcc, v11, v2
                                        ; implicit-def: $vgpr10
	s_and_saveexec_b64 s[18:19], vcc
; %bb.112:
	s_mov_b64 s[8:9], exec
	v_add_u32_e32 v10, v8, v6
; %bb.113:
	s_or_b64 exec, exec, s[18:19]
	s_and_b64 s[8:9], s[8:9], exec
	s_or_saveexec_b64 s[10:11], s[10:11]
	v_mov_b32_e32 v11, 0
	s_xor_b64 exec, exec, s[10:11]
	s_cbranch_execz .LBB40_89
.LBB40_114:
	ds_read_b64 v[15:16], v4 offset:264
	v_lshl_add_u32 v17, v5, 3, v25
	v_add_u32_e32 v10, 16, v17
	s_or_b64 s[8:9], s[8:9], exec
	s_waitcnt lgkmcnt(0)
	v_xor_b32_e32 v11, 0x80000000, v16
	ds_write_b32 v17, v15 offset:16
	s_or_b64 exec, exec, s[10:11]
	s_and_saveexec_b64 s[10:11], s[8:9]
	s_cbranch_execnz .LBB40_90
	s_branch .LBB40_91
.LBB40_115:
	v_cmp_eq_u32_e32 vcc, v12, v2
                                        ; implicit-def: $vgpr10
	s_and_saveexec_b64 s[12:13], vcc
; %bb.116:
	s_mov_b64 s[8:9], exec
	v_add_u32_e32 v10, v8, v6
; %bb.117:
	s_or_b64 exec, exec, s[12:13]
	s_and_b64 s[8:9], s[8:9], exec
	s_or_saveexec_b64 s[10:11], s[10:11]
	v_mov_b32_e32 v6, 0
	s_xor_b64 exec, exec, s[10:11]
	s_cbranch_execz .LBB40_93
.LBB40_118:
	ds_read_b64 v[11:12], v4 offset:528
	v_lshl_add_u32 v15, v5, 3, v25
	v_add_u32_e32 v10, 24, v15
	s_or_b64 s[8:9], s[8:9], exec
	s_waitcnt lgkmcnt(0)
	v_xor_b32_e32 v6, 0x80000000, v12
	ds_write_b32 v15, v11 offset:24
	s_or_b64 exec, exec, s[10:11]
	s_and_saveexec_b64 s[10:11], s[8:9]
	s_cbranch_execnz .LBB40_94
	s_branch .LBB40_95
.LBB40_119:
                                        ; implicit-def: $vgpr6
                                        ; implicit-def: $vgpr10
                                        ; implicit-def: $vgpr4
                                        ; implicit-def: $vgpr11
                                        ; implicit-def: $vgpr3
                                        ; implicit-def: $vgpr12
                                        ; implicit-def: $vgpr13
.LBB40_120:
	v_or_b32_e32 v3, 32, v2
	v_lshlrev_b32_e32 v4, 3, v3
	v_sub_co_u32_e32 v4, vcc, v22, v4
	s_ashr_i32 s29, s28, 31
	v_subbrev_co_u32_e32 v6, vcc, 0, v23, vcc
	s_lshl_b64 s[12:13], s[28:29], 3
	v_mov_b32_e32 v10, s13
	v_add_co_u32_e32 v4, vcc, s12, v4
	v_addc_co_u32_e32 v6, vcc, v6, v10, vcc
	v_add_co_u32_e32 v10, vcc, -8, v4
	v_addc_co_u32_e32 v4, vcc, -1, v6, vcc
	v_cmp_gt_i32_e64 s[8:9], s28, v3
	v_cndmask_b32_e64 v4, v4, v23, s[8:9]
	v_cndmask_b32_e64 v3, v10, v22, s[8:9]
	v_cmp_le_i32_e32 vcc, s28, v7
	v_mul_u32_u24_e32 v6, 0x108, v7
	s_and_saveexec_b64 s[14:15], vcc
	s_xor_b64 s[14:15], exec, s[14:15]
; %bb.121:
	v_mov_b32_e32 v10, 0
	v_add_u32_e32 v12, v8, v6
	v_mov_b32_e32 v11, v10
	ds_write_b64 v12, v[10:11]
; %bb.122:
	s_andn2_saveexec_b64 s[14:15], s[14:15]
	s_cbranch_execz .LBB40_124
; %bb.123:
	flat_load_dwordx2 v[10:11], v[3:4]
	v_add_u32_e32 v12, v8, v6
	s_waitcnt vmcnt(0) lgkmcnt(0)
	ds_write_b64 v12, v[10:11]
.LBB40_124:
	s_or_b64 exec, exec, s[14:15]
	v_add_u32_e32 v10, 8, v7
	v_cmp_le_i32_e32 vcc, s28, v10
	s_and_saveexec_b64 s[14:15], vcc
	s_xor_b64 s[14:15], exec, s[14:15]
; %bb.125:
	v_mov_b32_e32 v11, 0
	v_add_u32_e32 v13, v6, v8
	v_mov_b32_e32 v12, v11
	ds_write_b64 v13, v[11:12] offset:2112
; %bb.126:
	s_andn2_saveexec_b64 s[14:15], s[14:15]
	s_cbranch_execz .LBB40_128
; %bb.127:
	s_lshl_b64 s[16:17], s[24:25], 6
	v_mov_b32_e32 v12, s17
	v_add_co_u32_e32 v11, vcc, s16, v3
	v_addc_co_u32_e32 v12, vcc, v4, v12, vcc
	flat_load_dwordx2 v[11:12], v[11:12]
	v_add_u32_e32 v13, v6, v8
	s_waitcnt vmcnt(0) lgkmcnt(0)
	ds_write_b64 v13, v[11:12] offset:2112
.LBB40_128:
	s_or_b64 exec, exec, s[14:15]
	v_add_u32_e32 v11, 16, v7
	v_cmp_le_i32_e32 vcc, s28, v11
	s_and_saveexec_b64 s[14:15], vcc
	s_xor_b64 s[14:15], exec, s[14:15]
; %bb.129:
	v_mov_b32_e32 v12, 0
	v_add_u32_e32 v14, v6, v8
	v_mov_b32_e32 v13, v12
	ds_write_b64 v14, v[12:13] offset:4224
; %bb.130:
	s_andn2_saveexec_b64 s[14:15], s[14:15]
	s_cbranch_execz .LBB40_132
; %bb.131:
	s_lshl_b64 s[16:17], s[24:25], 7
	v_mov_b32_e32 v13, s17
	v_add_co_u32_e32 v12, vcc, s16, v3
	v_addc_co_u32_e32 v13, vcc, v4, v13, vcc
	flat_load_dwordx2 v[12:13], v[12:13]
	v_add_u32_e32 v14, v6, v8
	s_waitcnt vmcnt(0) lgkmcnt(0)
	ds_write_b64 v14, v[12:13] offset:4224
.LBB40_132:
	s_or_b64 exec, exec, s[14:15]
	v_add_u32_e32 v12, 24, v7
	v_cmp_le_i32_e32 vcc, s28, v12
                                        ; implicit-def: $vgpr13
	s_and_saveexec_b64 s[14:15], vcc
	s_xor_b64 s[14:15], exec, s[14:15]
; %bb.133:
	v_add_u32_e32 v13, 0x18c0, v6
	v_mov_b32_e32 v14, 0
	v_add_u32_e32 v16, v8, v13
	v_mov_b32_e32 v15, v14
	ds_write_b64 v16, v[14:15]
; %bb.134:
	s_andn2_saveexec_b64 s[14:15], s[14:15]
	s_cbranch_execz .LBB40_136
; %bb.135:
	v_mov_b32_e32 v13, 0xc0
	v_mad_u64_u32 v[13:14], s[16:17], s24, v13, v[3:4]
	s_mul_i32 s16, s25, 0xc0
	v_add_u32_e32 v14, s16, v14
	flat_load_dwordx2 v[14:15], v[13:14]
	v_add_u32_e32 v13, 0x18c0, v6
	v_add_u32_e32 v16, v8, v13
	s_waitcnt vmcnt(0) lgkmcnt(0)
	ds_write_b64 v16, v[14:15]
.LBB40_136:
	s_or_b64 exec, exec, s[14:15]
	v_lshlrev_b32_e32 v2, 3, v2
	v_add_co_u32_e32 v2, vcc, v3, v2
	v_addc_co_u32_e32 v3, vcc, 0, v4, vcc
	v_mov_b32_e32 v4, s13
	v_subrev_co_u32_e32 v2, vcc, s12, v2
	v_subb_co_u32_e32 v3, vcc, v3, v4, vcc
	v_add_co_u32_e32 v2, vcc, 0x108, v2
	v_addc_co_u32_e32 v3, vcc, 0, v3, vcc
	v_cndmask_b32_e64 v23, v3, v23, s[8:9]
	v_cndmask_b32_e64 v22, v2, v22, s[8:9]
	v_add_u32_e32 v4, 0x840, v6
	v_add_u32_e32 v3, 0x1080, v6
.LBB40_137:
	v_add_u32_e32 v2, v8, v6
	v_lshlrev_b32_e32 v14, 3, v7
	s_waitcnt lgkmcnt(0)
	s_barrier
	ds_read_b64 v[6:7], v2
	ds_read_b64 v[14:15], v14 offset:9088
	v_add_u32_e32 v2, v8, v4
	v_lshlrev_b32_e32 v4, 3, v10
	ds_read_b64 v[27:28], v2
	ds_read_b64 v[29:30], v4 offset:9088
	v_add_u32_e32 v3, v8, v3
	v_lshlrev_b32_e32 v10, 3, v11
	;; [unrolled: 4-line block ×3, first 2 shown]
	ds_read2_b32 v[40:41], v3 offset1:1
	ds_read_b64 v[42:43], v8 offset:9088
	s_waitcnt lgkmcnt(6)
	v_mul_f32_e32 v2, v15, v7
	v_fma_f32 v2, v14, v6, -v2
	s_waitcnt lgkmcnt(4)
	v_mul_f32_e32 v4, v30, v28
	v_add_f32_e32 v2, 0, v2
	v_fma_f32 v4, v29, v27, -v4
	s_waitcnt lgkmcnt(2)
	v_mul_f32_e32 v3, v39, v32
	v_add_f32_e32 v2, v2, v4
	v_fma_f32 v3, v38, v31, -v3
	v_mul_f32_e32 v33, v14, v7
	v_add_f32_e32 v2, v2, v3
	s_waitcnt lgkmcnt(0)
	v_mul_f32_e32 v3, v43, v41
	v_fmac_f32_e32 v33, v15, v6
	v_mul_f32_e32 v28, v29, v28
	v_fma_f32 v3, v42, v40, -v3
	v_lshl_add_u32 v8, v5, 3, v25
	v_add_f32_e32 v33, 0, v33
	v_fmac_f32_e32 v28, v30, v27
	v_add_f32_e32 v44, v2, v3
	ds_read_b128 v[10:13], v9 offset:256
	ds_read_b128 v[2:5], v9 offset:272
	ds_read2_b64 v[14:17], v8 offset1:1
	ds_read2_b64 v[6:9], v8 offset0:2 offset1:3
	v_add_f32_e32 v27, v33, v28
	v_mul_f32_e32 v28, v38, v32
	v_fmac_f32_e32 v28, v39, v31
	v_add_f32_e32 v27, v27, v28
	v_mul_f32_e32 v28, v42, v41
	v_fmac_f32_e32 v28, v43, v40
	v_add_f32_e32 v45, v27, v28
	s_waitcnt lgkmcnt(0)
	s_barrier
	ds_write_b64 v26, v[44:45]
	s_waitcnt lgkmcnt(0)
	s_barrier
	s_and_saveexec_b64 s[8:9], s[10:11]
	s_cbranch_execz .LBB40_139
; %bb.138:
	ds_read2_b64 v[27:30], v25 offset1:1
	ds_read2_b64 v[38:41], v25 offset0:2 offset1:3
	ds_read2_b64 v[42:45], v25 offset0:4 offset1:5
	s_waitcnt lgkmcnt(2)
	v_add_f32_e32 v27, v36, v27
	v_add_f32_e32 v28, v37, v28
	;; [unrolled: 1-line block ×4, first 2 shown]
	s_waitcnt lgkmcnt(1)
	v_add_f32_e32 v27, v27, v38
	v_add_f32_e32 v28, v28, v39
	;; [unrolled: 1-line block ×4, first 2 shown]
	ds_read2_b64 v[27:30], v25 offset0:6 offset1:7
	s_waitcnt lgkmcnt(1)
	v_add_f32_e32 v31, v31, v42
	v_add_f32_e32 v32, v32, v43
	;; [unrolled: 1-line block ×4, first 2 shown]
	s_waitcnt lgkmcnt(0)
	v_add_f32_e32 v27, v31, v27
	v_add_f32_e32 v28, v32, v28
	;; [unrolled: 1-line block ×4, first 2 shown]
.LBB40_139:
	s_or_b64 exec, exec, s[8:9]
	v_mul_f32_e32 v27, v15, v11
	v_fmac_f32_e32 v27, v14, v10
	v_mul_f32_e32 v10, v15, v10
	v_fma_f32 v10, v14, v11, -v10
	v_mul_f32_e32 v14, v17, v13
	v_fmac_f32_e32 v14, v16, v12
	v_mul_f32_e32 v12, v17, v12
	v_add_f32_e32 v10, 0, v10
	v_fma_f32 v12, v16, v13, -v12
	v_add_f32_e32 v10, v10, v12
	v_mul_f32_e32 v12, v7, v3
	v_fmac_f32_e32 v12, v6, v2
	v_mul_f32_e32 v2, v7, v2
	v_fma_f32 v2, v6, v3, -v2
	v_add_f32_e32 v11, 0, v27
	v_add_f32_e32 v6, v10, v2
	v_mul_f32_e32 v2, v9, v5
	v_add_f32_e32 v11, v11, v14
	v_fmac_f32_e32 v2, v8, v4
	v_mul_f32_e32 v4, v9, v4
	v_add_f32_e32 v3, v11, v12
	v_fma_f32 v4, v8, v5, -v4
	v_add_f32_e32 v2, v3, v2
	v_add_f32_e32 v3, v6, v4
	s_barrier
	ds_write_b64 v26, v[2:3]
	s_waitcnt lgkmcnt(0)
	s_barrier
	s_and_saveexec_b64 s[8:9], s[4:5]
	s_cbranch_execz .LBB40_141
; %bb.140:
	ds_read2_b64 v[2:5], v25 offset1:1
	ds_read2_b64 v[6:9], v25 offset0:2 offset1:3
	ds_read2_b64 v[10:13], v25 offset0:4 offset1:5
	s_waitcnt lgkmcnt(2)
	v_add_f32_e32 v2, v36, v2
	v_add_f32_e32 v3, v37, v3
	;; [unrolled: 1-line block ×4, first 2 shown]
	s_waitcnt lgkmcnt(1)
	v_add_f32_e32 v2, v2, v6
	v_add_f32_e32 v3, v3, v7
	;; [unrolled: 1-line block ×4, first 2 shown]
	ds_read2_b64 v[2:5], v25 offset0:6 offset1:7
	s_waitcnt lgkmcnt(1)
	v_add_f32_e32 v6, v6, v10
	v_add_f32_e32 v7, v7, v11
	v_add_f32_e32 v6, v6, v12
	v_add_f32_e32 v7, v7, v13
	s_waitcnt lgkmcnt(0)
	v_add_f32_e32 v2, v6, v2
	v_add_f32_e32 v3, v7, v3
	;; [unrolled: 1-line block ×4, first 2 shown]
.LBB40_141:
	s_or_b64 exec, exec, s[8:9]
	s_mul_hi_u32 s4, s23, s22
	s_mul_i32 s33, s33, s22
	s_add_i32 s4, s4, s33
	s_mul_i32 s8, s23, s22
	s_mul_i32 s4, s4, s7
	s_mul_hi_u32 s5, s8, s7
	s_add_i32 s5, s5, s4
	s_mul_i32 s4, s8, s7
	s_lshl_b64 s[4:5], s[4:5], 3
	s_add_u32 s7, s26, s4
	s_mul_i32 s4, s23, s6
	s_addc_u32 s8, s27, s5
	s_ashr_i32 s5, s4, 31
	s_lshl_b64 s[4:5], s[4:5], 3
	s_add_u32 s7, s7, s4
	v_cmp_le_i32_e32 vcc, s28, v0
	s_addc_u32 s14, s8, s5
	s_and_b64 vcc, s[36:37], vcc
	s_cmp_lt_i32 s6, 1
	v_lshlrev_b32_e32 v74, 3, v0
	s_barrier
	s_cbranch_scc1 .LBB40_148
; %bb.142:
	s_mul_i32 s4, s20, s31
	s_mul_hi_u32 s5, s20, s30
	s_add_i32 s4, s5, s4
	s_mul_i32 s5, s21, s30
	s_add_i32 s5, s4, s5
	s_mul_i32 s4, s20, s30
	s_lshl_b64 s[4:5], s[4:5], 3
	v_mov_b32_e32 v2, s5
	v_subrev_co_u32_e64 v75, s[4:5], s4, v18
	v_subb_co_u32_e64 v76, s[4:5], v19, v2, s[4:5]
	v_mov_b32_e32 v2, s35
	v_subrev_co_u32_e64 v4, s[4:5], s34, v22
	v_lshlrev_b32_e32 v8, 2, v1
	v_subb_co_u32_e64 v7, s[4:5], v23, v2, s[4:5]
	v_mad_u64_u32 v[2:3], s[4:5], s24, v8, 0
	s_movk_i32 s8, 0xff00
	v_add_co_u32_e64 v9, s[4:5], s8, v4
	v_addc_co_u32_e64 v7, s[4:5], -1, v7, s[4:5]
	v_mad_u64_u32 v[3:4], s[4:5], s25, v8, v[3:4]
	v_sub_co_u32_e64 v4, s[4:5], v9, v20
	v_lshlrev_b64 v[2:3], 3, v[2:3]
	v_subb_co_u32_e64 v7, s[4:5], v7, v21, s[4:5]
	v_add_co_u32_e64 v2, s[4:5], v4, v2
	v_addc_co_u32_e64 v3, s[4:5], v7, v3, s[4:5]
	s_ashr_i32 s29, s28, 31
	s_lshl_b64 s[4:5], s[28:29], 3
	v_mov_b32_e32 v4, s5
	v_add_co_u32_e64 v7, s[4:5], s4, v2
	v_addc_co_u32_e64 v4, s[4:5], v3, v4, s[4:5]
	v_add_co_u32_e64 v7, s[4:5], -8, v7
	v_addc_co_u32_e64 v4, s[4:5], -1, v4, s[4:5]
	v_add_co_u32_e64 v2, s[4:5], v2, v74
	v_addc_co_u32_e64 v3, s[4:5], 0, v3, s[4:5]
	v_lshrrev_b32_e32 v5, 4, v24
	v_cndmask_b32_e32 v3, v3, v4, vcc
	v_mov_b32_e32 v4, 0x2180
	v_and_b32_e32 v6, 15, v0
	v_lshl_add_u32 v78, v1, 5, v4
	v_lshlrev_b32_e32 v4, 5, v5
	s_movk_i32 s8, 0x218
	v_mad_u32_u24 v81, v6, s8, v4
	v_mul_i32_i24_e32 v4, 0xffffffe8, v5
	v_and_b32_e32 v5, 48, v0
	v_lshlrev_b32_e32 v5, 3, v5
	v_mad_u32_u24 v82, v6, s8, v5
	v_or_b32_e32 v5, 0x78, v74
	v_mad_u32_u24 v83, v6, s8, v5
	s_mul_i32 s8, s25, 0x68
	s_mul_hi_u32 s9, s24, 0x68
	s_movk_i32 s4, 0x860
	s_lshl_b64 s[10:11], s[24:25], 3
	s_add_i32 s8, s9, s8
	v_mov_b32_e32 v39, 0
	v_cndmask_b32_e32 v2, v2, v7, vcc
	v_add_u32_e32 v77, 0x2180, v74
	v_add_u32_e32 v79, 0x2380, v74
	v_mad_u32_u24 v80, v1, s4, v74
	v_cmp_gt_u32_e64 s[4:5], 64, v24
	s_mul_i32 s15, s24, 0x68
	s_mov_b32 s16, 0
	v_mov_b32_e32 v84, s11
	v_mov_b32_e32 v85, s8
	v_add_u32_e32 v86, v81, v4
	s_branch .LBB40_144
.LBB40_143:                             ;   in Loop: Header=BB40_144 Depth=1
	s_or_b64 exec, exec, s[12:13]
	v_mul_f32_e32 v38, v41, v7
	v_fma_f32 v38, v40, v6, -v38
	v_add_f32_e32 v36, v36, v38
	v_mul_f32_e32 v38, v43, v9
	v_mul_f32_e32 v7, v40, v7
	v_fma_f32 v38, v42, v8, -v38
	v_mul_f32_e32 v9, v42, v9
	v_add_f32_e32 v36, v36, v38
	v_mul_f32_e32 v38, v45, v3
	v_fmac_f32_e32 v7, v41, v6
	v_fma_f32 v38, v44, v2, -v38
	v_mul_f32_e32 v3, v44, v3
	v_add_f32_e32 v6, v37, v7
	v_fmac_f32_e32 v9, v43, v8
	v_add_f32_e32 v36, v36, v38
	v_mul_f32_e32 v38, v47, v5
	v_mul_f32_e32 v5, v46, v5
	v_add_f32_e32 v6, v6, v9
	v_fmac_f32_e32 v3, v45, v2
	v_fma_f32 v38, v46, v4, -v38
	v_add_f32_e32 v2, v6, v3
	v_fmac_f32_e32 v5, v47, v4
	v_mul_f32_e32 v3, v49, v15
	v_add_f32_e32 v36, v36, v38
	v_add_f32_e32 v2, v2, v5
	v_fma_f32 v3, v48, v14, -v3
	v_mul_f32_e32 v5, v53, v17
	v_add_f32_e32 v3, v36, v3
	v_fma_f32 v5, v52, v16, -v5
	v_add_f32_e32 v3, v3, v5
	v_mul_f32_e32 v5, v51, v11
	v_mul_f32_e32 v4, v48, v15
	v_fma_f32 v5, v50, v10, -v5
	v_add_f32_e32 v3, v3, v5
	v_mul_f32_e32 v5, v55, v13
	v_fmac_f32_e32 v4, v49, v14
	v_fma_f32 v5, v54, v12, -v5
	v_add_f32_e32 v2, v2, v4
	v_mul_f32_e32 v4, v61, v23
	v_add_f32_e32 v3, v3, v5
	v_fma_f32 v4, v60, v22, -v4
	v_add_f32_e32 v3, v3, v4
	v_mul_f32_e32 v4, v57, v25
	v_mul_f32_e32 v6, v52, v17
	v_fma_f32 v4, v56, v24, -v4
	v_mul_f32_e32 v7, v50, v11
	v_fmac_f32_e32 v6, v53, v16
	v_add_f32_e32 v3, v3, v4
	v_mul_f32_e32 v4, v59, v19
	v_mul_f32_e32 v8, v54, v13
	v_add_f32_e32 v2, v2, v6
	v_fmac_f32_e32 v7, v51, v10
	v_fma_f32 v4, v58, v18, -v4
	v_add_f32_e32 v2, v2, v7
	v_fmac_f32_e32 v8, v55, v12
	v_mul_f32_e32 v5, v60, v23
	v_add_f32_e32 v3, v3, v4
	v_mul_f32_e32 v4, v63, v21
	v_add_f32_e32 v2, v2, v8
	v_mul_f32_e32 v6, v56, v25
	v_fma_f32 v4, v62, v20, -v4
	v_fmac_f32_e32 v5, v61, v22
	v_mul_f32_e32 v7, v58, v19
	v_add_f32_e32 v3, v3, v4
	v_add_f32_e32 v2, v2, v5
	v_fmac_f32_e32 v6, v57, v24
	v_mul_f32_e32 v4, v69, v31
	v_mul_f32_e32 v8, v62, v21
	v_add_f32_e32 v2, v2, v6
	v_fmac_f32_e32 v7, v59, v18
	v_fma_f32 v4, v68, v30, -v4
	v_add_f32_e32 v2, v2, v7
	v_fmac_f32_e32 v8, v63, v20
	v_mul_f32_e32 v5, v68, v31
	v_add_f32_e32 v3, v3, v4
	v_mul_f32_e32 v4, v67, v33
	v_add_f32_e32 v2, v2, v8
	v_fma_f32 v4, v66, v32, -v4
	v_mul_f32_e32 v6, v66, v33
	v_fmac_f32_e32 v5, v69, v30
	v_add_f32_e32 v3, v3, v4
	v_mul_f32_e32 v4, v71, v27
	v_mul_f32_e32 v7, v70, v27
	v_fmac_f32_e32 v6, v67, v32
	v_add_f32_e32 v2, v2, v5
	v_fma_f32 v4, v70, v26, -v4
	v_mul_f32_e32 v8, v72, v29
	v_fmac_f32_e32 v7, v71, v26
	v_add_f32_e32 v2, v2, v6
	v_add_f32_e32 v3, v3, v4
	v_mul_f32_e32 v4, v73, v29
	v_fmac_f32_e32 v8, v73, v28
	v_add_f32_e32 v2, v2, v7
	v_fma_f32 v4, v72, v28, -v4
	v_add_f32_e32 v37, v2, v8
	s_add_i32 s16, s16, 64
	s_add_i32 s6, s6, -1
	v_add_co_u32_e64 v2, s[8:9], s15, v64
	v_add_f32_e32 v36, v3, v4
	s_cmp_eq_u32 s6, 0
	v_addc_co_u32_e64 v3, s[8:9], v65, v85, s[8:9]
	s_waitcnt vmcnt(0)
	s_barrier
	s_cbranch_scc1 .LBB40_148
.LBB40_144:                             ; =>This Inner Loop Header: Depth=1
	s_and_saveexec_b64 s[12:13], s[2:3]
	s_cbranch_execz .LBB40_146
; %bb.145:                              ;   in Loop: Header=BB40_144 Depth=1
	s_mul_i32 s8, s21, s16
	s_mul_hi_u32 s9, s20, s16
	s_add_i32 s9, s9, s8
	s_mul_i32 s8, s20, s16
	s_lshl_b64 s[8:9], s[8:9], 3
	v_mov_b32_e32 v5, s9
	v_add_co_u32_e64 v4, s[8:9], s8, v75
	v_addc_co_u32_e64 v5, s[8:9], v76, v5, s[8:9]
	flat_load_dwordx2 v[4:5], v[4:5]
	s_waitcnt vmcnt(0) lgkmcnt(0)
	ds_write_b64 v77, v[4:5]
.LBB40_146:                             ;   in Loop: Header=BB40_144 Depth=1
	s_or_b64 exec, exec, s[12:13]
	s_waitcnt lgkmcnt(0)
	s_barrier
	flat_load_dwordx2 v[40:41], v[2:3]
	v_add_co_u32_e64 v2, s[8:9], s10, v2
	v_addc_co_u32_e64 v3, s[8:9], v3, v84, s[8:9]
	flat_load_dwordx2 v[42:43], v[2:3]
	v_add_co_u32_e64 v2, s[8:9], s10, v2
	v_addc_co_u32_e64 v3, s[8:9], v3, v84, s[8:9]
	v_add_co_u32_e64 v10, s[8:9], s10, v2
	v_addc_co_u32_e64 v11, s[8:9], v3, v84, s[8:9]
	flat_load_dwordx2 v[44:45], v[2:3]
	flat_load_dwordx2 v[46:47], v[10:11]
	ds_read_b64 v[12:13], v79
	ds_read_b128 v[6:9], v78
	ds_read_b128 v[2:5], v78 offset:16
	v_add_co_u32_e64 v10, s[8:9], s15, v10
	v_addc_co_u32_e64 v11, s[8:9], v11, v85, s[8:9]
	v_add_co_u32_e64 v14, s[8:9], s10, v10
	v_addc_co_u32_e64 v15, s[8:9], v11, v84, s[8:9]
	v_add_co_u32_e64 v16, s[8:9], s10, v14
	v_addc_co_u32_e64 v17, s[8:9], v15, v84, s[8:9]
	s_waitcnt vmcnt(0) lgkmcnt(0)
	v_mul_f32_e32 v18, v41, v13
	v_mul_f32_e32 v19, v41, v12
	v_fmac_f32_e32 v18, v40, v12
	v_fma_f32 v19, v40, v13, -v19
	v_mul_f32_e32 v20, v43, v13
	v_mul_f32_e32 v21, v43, v12
	v_fmac_f32_e32 v20, v42, v12
	v_fma_f32 v21, v42, v13, -v21
	ds_write2_b64 v80, v[18:19], v[20:21] offset1:67
	v_mul_f32_e32 v22, v45, v13
	v_mul_f32_e32 v23, v45, v12
	v_mul_f32_e32 v18, v47, v13
	v_mul_f32_e32 v19, v47, v12
	v_fmac_f32_e32 v22, v44, v12
	v_fma_f32 v23, v44, v13, -v23
	v_fmac_f32_e32 v18, v46, v12
	v_fma_f32 v19, v46, v13, -v19
	ds_write2_b64 v80, v[22:23], v[18:19] offset0:134 offset1:201
	s_waitcnt lgkmcnt(0)
	s_barrier
	ds_read2_b64 v[26:29], v81 offset1:1
	ds_read2_b64 v[30:33], v81 offset0:2 offset1:3
	s_waitcnt lgkmcnt(0)
	s_barrier
	flat_load_dwordx2 v[48:49], v[10:11]
	flat_load_dwordx2 v[52:53], v[14:15]
	;; [unrolled: 1-line block ×3, first 2 shown]
	v_add_co_u32_e64 v10, s[8:9], s10, v16
	v_addc_co_u32_e64 v11, s[8:9], v17, v84, s[8:9]
	flat_load_dwordx2 v[54:55], v[10:11]
	ds_read_b64 v[22:23], v79
	v_add_co_u32_e64 v18, s[8:9], s15, v10
	v_addc_co_u32_e64 v19, s[8:9], v11, v85, s[8:9]
	v_add_co_u32_e64 v20, s[8:9], s10, v18
	v_addc_co_u32_e64 v21, s[8:9], v19, v84, s[8:9]
	;; [unrolled: 2-line block ×3, first 2 shown]
	ds_read_b128 v[14:17], v78 offset:128
	ds_read_b128 v[10:13], v78 offset:144
	v_add_f32_e32 v26, 0, v26
	v_add_f32_e32 v27, 0, v27
	;; [unrolled: 1-line block ×6, first 2 shown]
	s_waitcnt vmcnt(0) lgkmcnt(0)
	v_mul_f32_e32 v56, v49, v23
	v_mul_f32_e32 v38, v49, v22
	;; [unrolled: 1-line block ×6, first 2 shown]
	v_fma_f32 v57, v48, v23, -v38
	v_mul_f32_e32 v63, v55, v22
	v_mul_f32_e32 v62, v55, v23
	v_fma_f32 v59, v52, v23, -v59
	v_fma_f32 v61, v50, v23, -v61
	v_fmac_f32_e32 v56, v48, v22
	v_fmac_f32_e32 v58, v52, v22
	v_fmac_f32_e32 v60, v50, v22
	v_fma_f32 v63, v54, v23, -v63
	v_fmac_f32_e32 v62, v54, v22
	ds_write2_b64 v80, v[56:57], v[58:59] offset1:67
	ds_write2_b64 v80, v[60:61], v[62:63] offset0:134 offset1:201
	s_waitcnt lgkmcnt(0)
	s_barrier
	ds_read2_b64 v[87:90], v81 offset1:1
	ds_read2_b64 v[91:94], v81 offset0:2 offset1:3
	s_waitcnt lgkmcnt(0)
	s_barrier
	flat_load_dwordx2 v[60:61], v[18:19]
	flat_load_dwordx2 v[56:57], v[20:21]
	flat_load_dwordx2 v[58:59], v[24:25]
	v_add_co_u32_e64 v18, s[8:9], s10, v24
	v_addc_co_u32_e64 v19, s[8:9], v25, v84, s[8:9]
	flat_load_dwordx2 v[62:63], v[18:19]
	ds_read_b64 v[66:67], v79
	v_add_co_u32_e64 v64, s[8:9], s15, v18
	v_addc_co_u32_e64 v65, s[8:9], v19, v85, s[8:9]
	v_add_co_u32_e64 v72, s[8:9], s10, v64
	v_addc_co_u32_e64 v73, s[8:9], v65, v84, s[8:9]
	;; [unrolled: 2-line block ×3, first 2 shown]
	ds_read_b128 v[22:25], v78 offset:256
	ds_read_b128 v[18:21], v78 offset:272
	s_waitcnt vmcnt(0) lgkmcnt(0)
	v_mul_f32_e32 v38, v61, v66
	v_mul_f32_e32 v68, v61, v67
	;; [unrolled: 1-line block ×6, first 2 shown]
	v_fma_f32 v69, v60, v67, -v38
	v_mul_f32_e32 v98, v63, v66
	v_mul_f32_e32 v97, v63, v67
	v_fma_f32 v71, v56, v67, -v71
	v_fma_f32 v96, v58, v67, -v96
	v_fma_f32 v98, v62, v67, -v98
	v_fmac_f32_e32 v68, v60, v66
	v_fmac_f32_e32 v70, v56, v66
	;; [unrolled: 1-line block ×4, first 2 shown]
	ds_write2_b64 v80, v[68:69], v[70:71] offset1:67
	ds_write2_b64 v80, v[95:96], v[97:98] offset0:134 offset1:201
	s_waitcnt lgkmcnt(0)
	s_barrier
	ds_read2_b64 v[95:98], v81 offset1:1
	ds_read2_b64 v[99:102], v81 offset0:2 offset1:3
	s_waitcnt lgkmcnt(0)
	s_barrier
	flat_load_dwordx2 v[68:69], v[64:65]
	flat_load_dwordx2 v[66:67], v[72:73]
	;; [unrolled: 1-line block ×3, first 2 shown]
	v_add_co_u32_e64 v64, s[8:9], s10, v103
	v_addc_co_u32_e64 v65, s[8:9], v104, v84, s[8:9]
	flat_load_dwordx2 v[72:73], v[64:65]
	v_add_f32_e32 v103, v26, v32
	v_add_f32_e32 v104, v27, v33
	;; [unrolled: 1-line block ×10, first 2 shown]
	ds_read_b64 v[87:88], v79
	ds_read_b128 v[30:33], v78 offset:384
	ds_read_b128 v[26:29], v78 offset:400
	v_add_f32_e32 v38, 0, v95
	v_add_f32_e32 v89, 0, v96
	;; [unrolled: 1-line block ×8, first 2 shown]
	s_waitcnt vmcnt(0) lgkmcnt(0)
	v_mul_f32_e32 v38, v69, v87
	v_mul_f32_e32 v89, v69, v88
	v_mul_f32_e32 v92, v67, v87
	v_mul_f32_e32 v91, v67, v88
	v_mul_f32_e32 v94, v71, v87
	v_mul_f32_e32 v93, v71, v88
	v_fma_f32 v90, v68, v88, -v38
	v_mul_f32_e32 v98, v73, v87
	v_mul_f32_e32 v97, v73, v88
	v_fma_f32 v92, v66, v88, -v92
	v_fmac_f32_e32 v89, v68, v87
	v_fmac_f32_e32 v91, v66, v87
	v_fma_f32 v94, v70, v88, -v94
	v_fmac_f32_e32 v93, v70, v87
	v_fma_f32 v98, v72, v88, -v98
	v_fmac_f32_e32 v97, v72, v87
	ds_write2_b64 v80, v[89:90], v[91:92] offset1:67
	ds_write2_b64 v80, v[93:94], v[97:98] offset0:134 offset1:201
	s_waitcnt lgkmcnt(0)
	s_barrier
	ds_read2_b64 v[87:90], v81 offset1:1
	ds_read2_b64 v[91:94], v81 offset0:2 offset1:3
	s_waitcnt lgkmcnt(0)
	s_barrier
	v_add_f32_e32 v38, 0, v87
	v_add_f32_e32 v87, 0, v88
	v_add_f32_e32 v38, v38, v89
	v_add_f32_e32 v87, v87, v90
	v_add_f32_e32 v38, v38, v91
	v_add_f32_e32 v88, v87, v92
	v_add_f32_e32 v87, v38, v93
	v_add_f32_e32 v88, v88, v94
	ds_write2_b64 v86, v[103:104], v[105:106] offset1:16
	ds_write2_b64 v86, v[95:96], v[87:88] offset0:32 offset1:48
	s_waitcnt lgkmcnt(0)
	s_barrier
	s_and_saveexec_b64 s[12:13], s[4:5]
	s_cbranch_execz .LBB40_143
; %bb.147:                              ;   in Loop: Header=BB40_144 Depth=1
	ds_read_b64 v[95:96], v82
	ds_read2_b64 v[87:90], v82 offset0:1 offset1:2
	ds_read2_b64 v[91:94], v82 offset0:3 offset1:4
	s_waitcnt lgkmcnt(1)
	v_add_f32_e32 v38, v87, v95
	v_add_f32_e32 v87, v88, v96
	v_add_f32_e32 v38, v89, v38
	v_add_f32_e32 v95, v90, v87
	ds_read2_b64 v[87:90], v82 offset0:5 offset1:6
	s_waitcnt lgkmcnt(1)
	v_add_f32_e32 v38, v38, v91
	v_add_f32_e32 v91, v95, v92
	v_add_f32_e32 v38, v38, v93
	v_add_f32_e32 v95, v91, v94
	;; [unrolled: 6-line block ×6, first 2 shown]
	ds_read_b64 v[91:92], v83
	s_waitcnt lgkmcnt(1)
	v_add_f32_e32 v38, v38, v87
	v_add_f32_e32 v87, v93, v88
	;; [unrolled: 1-line block ×4, first 2 shown]
	s_waitcnt lgkmcnt(0)
	v_add_f32_e32 v87, v38, v91
	v_add_u32_e32 v38, s16, v0
	v_lshlrev_b64 v[89:90], 3, v[38:39]
	v_mov_b32_e32 v38, s14
	v_add_co_u32_e64 v89, s[8:9], s7, v89
	v_add_f32_e32 v88, v88, v92
	v_addc_co_u32_e64 v90, s[8:9], v38, v90, s[8:9]
	global_store_dwordx2 v[89:90], v[87:88], off
	s_branch .LBB40_143
.LBB40_148:
	s_movk_i32 s2, 0x218
	v_mad_u32_u24 v0, v1, s2, v74
	s_nor_b64 s[0:1], s[0:1], vcc
	ds_write_b64 v0, v[36:37]
	s_waitcnt lgkmcnt(0)
	s_barrier
	s_and_saveexec_b64 s[2:3], s[0:1]
	s_cbranch_execz .LBB40_150
; %bb.149:
	ds_read2_b64 v[0:3], v74 offset1:67
	ds_read2_b64 v[4:7], v74 offset0:134 offset1:201
	s_waitcnt lgkmcnt(1)
	v_add_f32_e32 v0, v2, v0
	v_add_f32_e32 v1, v3, v1
	v_lshlrev_b64 v[2:3], 3, v[34:35]
	s_waitcnt lgkmcnt(0)
	v_add_f32_e32 v0, v4, v0
	v_add_f32_e32 v1, v5, v1
	v_mov_b32_e32 v4, s14
	v_add_co_u32_e32 v2, vcc, s7, v2
	v_add_f32_e32 v0, v0, v6
	v_add_f32_e32 v1, v1, v7
	v_addc_co_u32_e32 v3, vcc, v4, v3, vcc
	global_store_dwordx2 v[2:3], v[0:1], off
.LBB40_150:
	s_endpgm
	.section	.rodata,"a",@progbits
	.p2align	6, 0x0
	.amdhsa_kernel _ZL26rocblas_hemvn_kernel_lowerILb1ELi64ELi4ELi33ELi32ELi16ElPK19rocblas_complex_numIfEPKS3_PS1_EviT6_lT7_lT5_lS8_lS9_lS7_lT8_i
		.amdhsa_group_segment_fixed_size 9600
		.amdhsa_private_segment_fixed_size 0
		.amdhsa_kernarg_size 376
		.amdhsa_user_sgpr_count 6
		.amdhsa_user_sgpr_private_segment_buffer 1
		.amdhsa_user_sgpr_dispatch_ptr 0
		.amdhsa_user_sgpr_queue_ptr 0
		.amdhsa_user_sgpr_kernarg_segment_ptr 1
		.amdhsa_user_sgpr_dispatch_id 0
		.amdhsa_user_sgpr_flat_scratch_init 0
		.amdhsa_user_sgpr_private_segment_size 0
		.amdhsa_uses_dynamic_stack 0
		.amdhsa_system_sgpr_private_segment_wavefront_offset 0
		.amdhsa_system_sgpr_workgroup_id_x 1
		.amdhsa_system_sgpr_workgroup_id_y 0
		.amdhsa_system_sgpr_workgroup_id_z 1
		.amdhsa_system_sgpr_workgroup_info 0
		.amdhsa_system_vgpr_workitem_id 1
		.amdhsa_next_free_vgpr 107
		.amdhsa_next_free_sgpr 93
		.amdhsa_reserve_vcc 1
		.amdhsa_reserve_flat_scratch 0
		.amdhsa_float_round_mode_32 0
		.amdhsa_float_round_mode_16_64 0
		.amdhsa_float_denorm_mode_32 3
		.amdhsa_float_denorm_mode_16_64 3
		.amdhsa_dx10_clamp 1
		.amdhsa_ieee_mode 1
		.amdhsa_fp16_overflow 0
		.amdhsa_exception_fp_ieee_invalid_op 0
		.amdhsa_exception_fp_denorm_src 0
		.amdhsa_exception_fp_ieee_div_zero 0
		.amdhsa_exception_fp_ieee_overflow 0
		.amdhsa_exception_fp_ieee_underflow 0
		.amdhsa_exception_fp_ieee_inexact 0
		.amdhsa_exception_int_div_zero 0
	.end_amdhsa_kernel
	.section	.text._ZL26rocblas_hemvn_kernel_lowerILb1ELi64ELi4ELi33ELi32ELi16ElPK19rocblas_complex_numIfEPKS3_PS1_EviT6_lT7_lT5_lS8_lS9_lS7_lT8_i,"axG",@progbits,_ZL26rocblas_hemvn_kernel_lowerILb1ELi64ELi4ELi33ELi32ELi16ElPK19rocblas_complex_numIfEPKS3_PS1_EviT6_lT7_lT5_lS8_lS9_lS7_lT8_i,comdat
.Lfunc_end40:
	.size	_ZL26rocblas_hemvn_kernel_lowerILb1ELi64ELi4ELi33ELi32ELi16ElPK19rocblas_complex_numIfEPKS3_PS1_EviT6_lT7_lT5_lS8_lS9_lS7_lT8_i, .Lfunc_end40-_ZL26rocblas_hemvn_kernel_lowerILb1ELi64ELi4ELi33ELi32ELi16ElPK19rocblas_complex_numIfEPKS3_PS1_EviT6_lT7_lT5_lS8_lS9_lS7_lT8_i
                                        ; -- End function
	.set _ZL26rocblas_hemvn_kernel_lowerILb1ELi64ELi4ELi33ELi32ELi16ElPK19rocblas_complex_numIfEPKS3_PS1_EviT6_lT7_lT5_lS8_lS9_lS7_lT8_i.num_vgpr, 107
	.set _ZL26rocblas_hemvn_kernel_lowerILb1ELi64ELi4ELi33ELi32ELi16ElPK19rocblas_complex_numIfEPKS3_PS1_EviT6_lT7_lT5_lS8_lS9_lS7_lT8_i.num_agpr, 0
	.set _ZL26rocblas_hemvn_kernel_lowerILb1ELi64ELi4ELi33ELi32ELi16ElPK19rocblas_complex_numIfEPKS3_PS1_EviT6_lT7_lT5_lS8_lS9_lS7_lT8_i.numbered_sgpr, 44
	.set _ZL26rocblas_hemvn_kernel_lowerILb1ELi64ELi4ELi33ELi32ELi16ElPK19rocblas_complex_numIfEPKS3_PS1_EviT6_lT7_lT5_lS8_lS9_lS7_lT8_i.num_named_barrier, 0
	.set _ZL26rocblas_hemvn_kernel_lowerILb1ELi64ELi4ELi33ELi32ELi16ElPK19rocblas_complex_numIfEPKS3_PS1_EviT6_lT7_lT5_lS8_lS9_lS7_lT8_i.private_seg_size, 0
	.set _ZL26rocblas_hemvn_kernel_lowerILb1ELi64ELi4ELi33ELi32ELi16ElPK19rocblas_complex_numIfEPKS3_PS1_EviT6_lT7_lT5_lS8_lS9_lS7_lT8_i.uses_vcc, 1
	.set _ZL26rocblas_hemvn_kernel_lowerILb1ELi64ELi4ELi33ELi32ELi16ElPK19rocblas_complex_numIfEPKS3_PS1_EviT6_lT7_lT5_lS8_lS9_lS7_lT8_i.uses_flat_scratch, 0
	.set _ZL26rocblas_hemvn_kernel_lowerILb1ELi64ELi4ELi33ELi32ELi16ElPK19rocblas_complex_numIfEPKS3_PS1_EviT6_lT7_lT5_lS8_lS9_lS7_lT8_i.has_dyn_sized_stack, 0
	.set _ZL26rocblas_hemvn_kernel_lowerILb1ELi64ELi4ELi33ELi32ELi16ElPK19rocblas_complex_numIfEPKS3_PS1_EviT6_lT7_lT5_lS8_lS9_lS7_lT8_i.has_recursion, 0
	.set _ZL26rocblas_hemvn_kernel_lowerILb1ELi64ELi4ELi33ELi32ELi16ElPK19rocblas_complex_numIfEPKS3_PS1_EviT6_lT7_lT5_lS8_lS9_lS7_lT8_i.has_indirect_call, 0
	.section	.AMDGPU.csdata,"",@progbits
; Kernel info:
; codeLenInByte = 7936
; TotalNumSgprs: 48
; NumVgprs: 107
; ScratchSize: 0
; MemoryBound: 1
; FloatMode: 240
; IeeeMode: 1
; LDSByteSize: 9600 bytes/workgroup (compile time only)
; SGPRBlocks: 12
; VGPRBlocks: 26
; NumSGPRsForWavesPerEU: 97
; NumVGPRsForWavesPerEU: 107
; Occupancy: 2
; WaveLimiterHint : 1
; COMPUTE_PGM_RSRC2:SCRATCH_EN: 0
; COMPUTE_PGM_RSRC2:USER_SGPR: 6
; COMPUTE_PGM_RSRC2:TRAP_HANDLER: 0
; COMPUTE_PGM_RSRC2:TGID_X_EN: 1
; COMPUTE_PGM_RSRC2:TGID_Y_EN: 0
; COMPUTE_PGM_RSRC2:TGID_Z_EN: 1
; COMPUTE_PGM_RSRC2:TIDIG_COMP_CNT: 1
	.section	.text._ZL36rocblas_hemvn_kernel_lower_block_sumILi64ElPK19rocblas_complex_numIfEPKPS1_S1_EviT1_lS7_lT2_lT0_lPT3_i,"axG",@progbits,_ZL36rocblas_hemvn_kernel_lower_block_sumILi64ElPK19rocblas_complex_numIfEPKPS1_S1_EviT1_lS7_lT2_lT0_lPT3_i,comdat
	.globl	_ZL36rocblas_hemvn_kernel_lower_block_sumILi64ElPK19rocblas_complex_numIfEPKPS1_S1_EviT1_lS7_lT2_lT0_lPT3_i ; -- Begin function _ZL36rocblas_hemvn_kernel_lower_block_sumILi64ElPK19rocblas_complex_numIfEPKPS1_S1_EviT1_lS7_lT2_lT0_lPT3_i
	.p2align	8
	.type	_ZL36rocblas_hemvn_kernel_lower_block_sumILi64ElPK19rocblas_complex_numIfEPKPS1_S1_EviT1_lS7_lT2_lT0_lPT3_i,@function
_ZL36rocblas_hemvn_kernel_lower_block_sumILi64ElPK19rocblas_complex_numIfEPKPS1_S1_EviT1_lS7_lT2_lT0_lPT3_i: ; @_ZL36rocblas_hemvn_kernel_lower_block_sumILi64ElPK19rocblas_complex_numIfEPKPS1_S1_EviT1_lS7_lT2_lT0_lPT3_i
; %bb.0:
	s_load_dwordx8 s[16:23], s[4:5], 0x8
	s_mov_b32 s12, s7
	s_mov_b32 s13, 0
	s_waitcnt lgkmcnt(0)
	s_mul_i32 s0, s19, s7
	s_mul_hi_u32 s1, s18, s7
	s_add_i32 s1, s1, s0
	s_mul_i32 s0, s18, s7
	s_lshl_b64 s[0:1], s[0:1], 3
	s_add_u32 s0, s16, s0
	s_addc_u32 s1, s17, s1
	s_load_dwordx2 s[10:11], s[0:1], 0x0
	s_mul_i32 s0, s23, s7
	s_mul_hi_u32 s1, s22, s7
	s_add_i32 s1, s1, s0
	s_mul_i32 s0, s22, s7
	s_lshl_b64 s[0:1], s[0:1], 3
	s_add_u32 s0, s20, s0
	s_addc_u32 s1, s21, s1
	s_load_dwordx2 s[8:9], s[0:1], 0x0
	s_waitcnt lgkmcnt(0)
	s_or_b32 s0, s10, s11
	s_bitset0_b32 s0, 31
	s_cmp_eq_u32 s0, 0
	s_cselect_b64 s[16:17], -1, 0
	s_cmp_lg_u32 s0, 0
	s_mov_b64 s[0:1], -1
	s_cbranch_scc1 .LBB41_2
; %bb.1:
	v_cmp_neq_f32_e64 s[0:1], s8, 1.0
	v_cmp_neq_f32_e64 s[2:3], s9, 0
	s_or_b64 s[0:1], s[0:1], s[2:3]
.LBB41_2:
	s_andn2_b64 vcc, exec, s[0:1]
	s_cbranch_vccnz .LBB41_19
; %bb.3:
	s_load_dwordx2 s[18:19], s[4:5], 0x28
	s_load_dword s14, s[4:5], 0x0
	s_load_dwordx4 s[0:3], s[4:5], 0x30
	s_lshl_b64 s[20:21], s[12:13], 3
	v_lshl_or_b32 v4, s6, 6, v0
	s_waitcnt lgkmcnt(0)
	s_add_u32 s18, s18, s20
	s_addc_u32 s19, s19, s21
	s_load_dwordx2 s[20:21], s[18:19], 0x0
	s_lshl_b64 s[0:1], s[0:1], 3
	s_mov_b64 s[18:19], -1
	s_waitcnt lgkmcnt(0)
	s_add_u32 s7, s20, s0
	s_addc_u32 s13, s21, s1
	s_andn2_b64 vcc, exec, s[16:17]
	v_cmp_gt_i32_e64 s[0:1], s14, v4
	s_cbranch_vccnz .LBB41_9
; %bb.4:
	s_and_saveexec_b64 s[16:17], s[0:1]
	s_cbranch_execz .LBB41_8
; %bb.5:
	v_ashrrev_i32_e32 v0, 31, v4
	v_mul_lo_u32 v3, s3, v4
	v_mul_lo_u32 v5, s2, v0
	v_mad_u64_u32 v[1:2], s[0:1], s2, v4, 0
	v_cmp_neq_f32_e64 s[0:1], s8, 0
	v_cmp_neq_f32_e64 s[18:19], s9, 0
	v_add3_u32 v2, v2, v5, v3
	s_or_b64 s[0:1], s[0:1], s[18:19]
	v_lshlrev_b64 v[2:3], 3, v[1:2]
	v_mov_b32_e32 v0, 0
	s_andn2_b64 vcc, exec, s[0:1]
	v_mov_b32_e32 v1, 0
	s_cbranch_vccnz .LBB41_7
; %bb.6:
	v_mov_b32_e32 v1, s13
	v_add_co_u32_e32 v0, vcc, s7, v2
	v_addc_co_u32_e32 v1, vcc, v1, v3, vcc
	flat_load_dwordx2 v[5:6], v[0:1]
	s_waitcnt vmcnt(0) lgkmcnt(0)
	v_mul_f32_e32 v0, s9, v6
	v_mul_f32_e32 v1, s8, v6
	v_fma_f32 v0, v5, s8, -v0
	v_fmac_f32_e32 v1, s9, v5
.LBB41_7:
	v_mov_b32_e32 v5, s13
	v_add_co_u32_e32 v2, vcc, s7, v2
	v_addc_co_u32_e32 v3, vcc, v5, v3, vcc
	flat_store_dwordx2 v[2:3], v[0:1]
.LBB41_8:
	s_or_b64 exec, exec, s[16:17]
	s_mov_b64 s[18:19], 0
.LBB41_9:
	s_andn2_b64 vcc, exec, s[18:19]
	s_cbranch_vccnz .LBB41_19
; %bb.10:
	v_cmp_gt_i32_e32 vcc, s14, v4
	s_and_saveexec_b64 s[0:1], vcc
	s_cbranch_execz .LBB41_19
; %bb.11:
	s_load_dword s16, s[4:5], 0x58
	v_mov_b32_e32 v2, 0
	v_mov_b32_e32 v3, 0
	s_waitcnt lgkmcnt(0)
	s_cmp_ge_i32 s6, s16
	s_cbranch_scc1 .LBB41_14
; %bb.12:
	s_load_dwordx2 s[0:1], s[4:5], 0x48
	s_ashr_i32 s15, s14, 31
	s_mul_i32 s4, s14, s6
	v_add_u32_e32 v0, s4, v4
	s_mul_hi_u32 s4, s14, s12
	s_mul_i32 s5, s15, s12
	s_add_i32 s4, s4, s5
	s_mul_i32 s12, s14, s12
	s_mul_i32 s4, s4, s16
	s_mul_hi_u32 s5, s12, s16
	s_add_i32 s5, s5, s4
	s_mul_i32 s4, s12, s16
	v_ashrrev_i32_e32 v1, 31, v0
	s_lshl_b64 s[4:5], s[4:5], 3
	v_lshlrev_b64 v[0:1], 3, v[0:1]
	s_waitcnt lgkmcnt(0)
	s_add_u32 s0, s0, s4
	s_addc_u32 s1, s1, s5
	v_mov_b32_e32 v2, s1
	v_add_co_u32_e32 v0, vcc, s0, v0
	v_addc_co_u32_e32 v1, vcc, v2, v1, vcc
	v_add_co_u32_e32 v0, vcc, 4, v0
	s_lshl_b64 s[0:1], s[14:15], 3
	v_addc_co_u32_e32 v1, vcc, 0, v1, vcc
	v_mov_b32_e32 v2, 0
	v_mov_b32_e32 v5, s1
	;; [unrolled: 1-line block ×3, first 2 shown]
.LBB41_13:                              ; =>This Inner Loop Header: Depth=1
	global_load_dwordx2 v[6:7], v[0:1], off offset:-4
	s_add_i32 s6, s6, 1
	v_add_co_u32_e32 v0, vcc, s0, v0
	v_addc_co_u32_e32 v1, vcc, v1, v5, vcc
	s_cmp_ge_i32 s6, s16
	s_waitcnt vmcnt(0)
	v_add_f32_e32 v3, v3, v6
	v_add_f32_e32 v2, v2, v7
	s_cbranch_scc0 .LBB41_13
.LBB41_14:
	v_ashrrev_i32_e32 v1, 31, v4
	v_mul_lo_u32 v5, s3, v4
	v_mul_lo_u32 v6, s2, v1
	v_cmp_neq_f32_e64 s[0:1], s8, 0
	v_cmp_neq_f32_e64 s[4:5], s9, 0
	s_or_b64 s[0:1], s[0:1], s[4:5]
	v_mul_f32_e32 v0, s11, v2
	v_mul_f32_e32 v1, s10, v2
	s_andn2_b64 vcc, exec, s[0:1]
	v_fma_f32 v0, v3, s10, -v0
	v_fmac_f32_e32 v1, s11, v3
	s_cbranch_vccz .LBB41_16
; %bb.15:
	v_mad_u64_u32 v[2:3], s[0:1], s2, v4, 0
	v_add3_u32 v3, v3, v6, v5
	s_cbranch_execz .LBB41_17
	s_branch .LBB41_18
.LBB41_16:
                                        ; implicit-def: $vgpr2_vgpr3
.LBB41_17:
	v_mad_u64_u32 v[2:3], s[0:1], s2, v4, 0
	v_mov_b32_e32 v7, s13
	v_add3_u32 v3, v3, v6, v5
	v_lshlrev_b64 v[4:5], 3, v[2:3]
	v_add_co_u32_e32 v4, vcc, s7, v4
	v_addc_co_u32_e32 v5, vcc, v7, v5, vcc
	flat_load_dwordx2 v[4:5], v[4:5]
	s_waitcnt vmcnt(0) lgkmcnt(0)
	v_mul_f32_e32 v6, s9, v5
	v_mul_f32_e32 v5, s8, v5
	v_fma_f32 v6, v4, s8, -v6
	v_fmac_f32_e32 v5, s9, v4
	v_add_f32_e32 v0, v0, v6
	v_add_f32_e32 v1, v1, v5
.LBB41_18:
	v_lshlrev_b64 v[2:3], 3, v[2:3]
	v_mov_b32_e32 v4, s13
	v_add_co_u32_e32 v2, vcc, s7, v2
	v_addc_co_u32_e32 v3, vcc, v4, v3, vcc
	flat_store_dwordx2 v[2:3], v[0:1]
.LBB41_19:
	s_endpgm
	.section	.rodata,"a",@progbits
	.p2align	6, 0x0
	.amdhsa_kernel _ZL36rocblas_hemvn_kernel_lower_block_sumILi64ElPK19rocblas_complex_numIfEPKPS1_S1_EviT1_lS7_lT2_lT0_lPT3_i
		.amdhsa_group_segment_fixed_size 0
		.amdhsa_private_segment_fixed_size 0
		.amdhsa_kernarg_size 344
		.amdhsa_user_sgpr_count 6
		.amdhsa_user_sgpr_private_segment_buffer 1
		.amdhsa_user_sgpr_dispatch_ptr 0
		.amdhsa_user_sgpr_queue_ptr 0
		.amdhsa_user_sgpr_kernarg_segment_ptr 1
		.amdhsa_user_sgpr_dispatch_id 0
		.amdhsa_user_sgpr_flat_scratch_init 0
		.amdhsa_user_sgpr_private_segment_size 0
		.amdhsa_uses_dynamic_stack 0
		.amdhsa_system_sgpr_private_segment_wavefront_offset 0
		.amdhsa_system_sgpr_workgroup_id_x 1
		.amdhsa_system_sgpr_workgroup_id_y 0
		.amdhsa_system_sgpr_workgroup_id_z 1
		.amdhsa_system_sgpr_workgroup_info 0
		.amdhsa_system_vgpr_workitem_id 0
		.amdhsa_next_free_vgpr 8
		.amdhsa_next_free_sgpr 24
		.amdhsa_reserve_vcc 1
		.amdhsa_reserve_flat_scratch 0
		.amdhsa_float_round_mode_32 0
		.amdhsa_float_round_mode_16_64 0
		.amdhsa_float_denorm_mode_32 3
		.amdhsa_float_denorm_mode_16_64 3
		.amdhsa_dx10_clamp 1
		.amdhsa_ieee_mode 1
		.amdhsa_fp16_overflow 0
		.amdhsa_exception_fp_ieee_invalid_op 0
		.amdhsa_exception_fp_denorm_src 0
		.amdhsa_exception_fp_ieee_div_zero 0
		.amdhsa_exception_fp_ieee_overflow 0
		.amdhsa_exception_fp_ieee_underflow 0
		.amdhsa_exception_fp_ieee_inexact 0
		.amdhsa_exception_int_div_zero 0
	.end_amdhsa_kernel
	.section	.text._ZL36rocblas_hemvn_kernel_lower_block_sumILi64ElPK19rocblas_complex_numIfEPKPS1_S1_EviT1_lS7_lT2_lT0_lPT3_i,"axG",@progbits,_ZL36rocblas_hemvn_kernel_lower_block_sumILi64ElPK19rocblas_complex_numIfEPKPS1_S1_EviT1_lS7_lT2_lT0_lPT3_i,comdat
.Lfunc_end41:
	.size	_ZL36rocblas_hemvn_kernel_lower_block_sumILi64ElPK19rocblas_complex_numIfEPKPS1_S1_EviT1_lS7_lT2_lT0_lPT3_i, .Lfunc_end41-_ZL36rocblas_hemvn_kernel_lower_block_sumILi64ElPK19rocblas_complex_numIfEPKPS1_S1_EviT1_lS7_lT2_lT0_lPT3_i
                                        ; -- End function
	.set _ZL36rocblas_hemvn_kernel_lower_block_sumILi64ElPK19rocblas_complex_numIfEPKPS1_S1_EviT1_lS7_lT2_lT0_lPT3_i.num_vgpr, 8
	.set _ZL36rocblas_hemvn_kernel_lower_block_sumILi64ElPK19rocblas_complex_numIfEPKPS1_S1_EviT1_lS7_lT2_lT0_lPT3_i.num_agpr, 0
	.set _ZL36rocblas_hemvn_kernel_lower_block_sumILi64ElPK19rocblas_complex_numIfEPKPS1_S1_EviT1_lS7_lT2_lT0_lPT3_i.numbered_sgpr, 24
	.set _ZL36rocblas_hemvn_kernel_lower_block_sumILi64ElPK19rocblas_complex_numIfEPKPS1_S1_EviT1_lS7_lT2_lT0_lPT3_i.num_named_barrier, 0
	.set _ZL36rocblas_hemvn_kernel_lower_block_sumILi64ElPK19rocblas_complex_numIfEPKPS1_S1_EviT1_lS7_lT2_lT0_lPT3_i.private_seg_size, 0
	.set _ZL36rocblas_hemvn_kernel_lower_block_sumILi64ElPK19rocblas_complex_numIfEPKPS1_S1_EviT1_lS7_lT2_lT0_lPT3_i.uses_vcc, 1
	.set _ZL36rocblas_hemvn_kernel_lower_block_sumILi64ElPK19rocblas_complex_numIfEPKPS1_S1_EviT1_lS7_lT2_lT0_lPT3_i.uses_flat_scratch, 0
	.set _ZL36rocblas_hemvn_kernel_lower_block_sumILi64ElPK19rocblas_complex_numIfEPKPS1_S1_EviT1_lS7_lT2_lT0_lPT3_i.has_dyn_sized_stack, 0
	.set _ZL36rocblas_hemvn_kernel_lower_block_sumILi64ElPK19rocblas_complex_numIfEPKPS1_S1_EviT1_lS7_lT2_lT0_lPT3_i.has_recursion, 0
	.set _ZL36rocblas_hemvn_kernel_lower_block_sumILi64ElPK19rocblas_complex_numIfEPKPS1_S1_EviT1_lS7_lT2_lT0_lPT3_i.has_indirect_call, 0
	.section	.AMDGPU.csdata,"",@progbits
; Kernel info:
; codeLenInByte = 808
; TotalNumSgprs: 28
; NumVgprs: 8
; ScratchSize: 0
; MemoryBound: 0
; FloatMode: 240
; IeeeMode: 1
; LDSByteSize: 0 bytes/workgroup (compile time only)
; SGPRBlocks: 3
; VGPRBlocks: 1
; NumSGPRsForWavesPerEU: 28
; NumVGPRsForWavesPerEU: 8
; Occupancy: 10
; WaveLimiterHint : 1
; COMPUTE_PGM_RSRC2:SCRATCH_EN: 0
; COMPUTE_PGM_RSRC2:USER_SGPR: 6
; COMPUTE_PGM_RSRC2:TRAP_HANDLER: 0
; COMPUTE_PGM_RSRC2:TGID_X_EN: 1
; COMPUTE_PGM_RSRC2:TGID_Y_EN: 0
; COMPUTE_PGM_RSRC2:TGID_Z_EN: 1
; COMPUTE_PGM_RSRC2:TIDIG_COMP_CNT: 0
	.section	.text._ZL26rocblas_hemvn_kernel_lowerILb1ELi64ELi4ELi33ELi32ELi16EiPK19rocblas_complex_numIfEPKS3_PS1_EviT6_lT7_lT5_lS8_lS9_lS7_lT8_i,"axG",@progbits,_ZL26rocblas_hemvn_kernel_lowerILb1ELi64ELi4ELi33ELi32ELi16EiPK19rocblas_complex_numIfEPKS3_PS1_EviT6_lT7_lT5_lS8_lS9_lS7_lT8_i,comdat
	.globl	_ZL26rocblas_hemvn_kernel_lowerILb1ELi64ELi4ELi33ELi32ELi16EiPK19rocblas_complex_numIfEPKS3_PS1_EviT6_lT7_lT5_lS8_lS9_lS7_lT8_i ; -- Begin function _ZL26rocblas_hemvn_kernel_lowerILb1ELi64ELi4ELi33ELi32ELi16EiPK19rocblas_complex_numIfEPKS3_PS1_EviT6_lT7_lT5_lS8_lS9_lS7_lT8_i
	.p2align	8
	.type	_ZL26rocblas_hemvn_kernel_lowerILb1ELi64ELi4ELi33ELi32ELi16EiPK19rocblas_complex_numIfEPKS3_PS1_EviT6_lT7_lT5_lS8_lS9_lS7_lT8_i,@function
_ZL26rocblas_hemvn_kernel_lowerILb1ELi64ELi4ELi33ELi32ELi16EiPK19rocblas_complex_numIfEPKS3_PS1_EviT6_lT7_lT5_lS8_lS9_lS7_lT8_i: ; @_ZL26rocblas_hemvn_kernel_lowerILb1ELi64ELi4ELi33ELi32ELi16EiPK19rocblas_complex_numIfEPKS3_PS1_EviT6_lT7_lT5_lS8_lS9_lS7_lT8_i
; %bb.0:
	s_load_dwordx2 s[0:1], s[4:5], 0x84
	s_add_u32 s16, s4, 0x78
	s_addc_u32 s17, s5, 0
	s_waitcnt lgkmcnt(0)
	s_lshr_b32 s2, s0, 16
	s_and_b32 s0, s0, 0xffff
	s_and_b32 s1, s1, 0xffff
	s_mul_i32 s0, s2, s0
	s_mul_i32 s0, s0, s1
	s_cmpk_lg_i32 s0, 0x100
	s_cbranch_scc1 .LBB42_150
; %bb.1:
	s_load_dwordx8 s[8:15], s[4:5], 0x8
	s_mov_b32 s20, s7
	v_mov_b32_e32 v2, v1
	s_mov_b32 s21, 0
	s_waitcnt lgkmcnt(0)
	s_mul_i32 s0, s11, s7
	s_mul_hi_u32 s1, s10, s7
	s_add_i32 s1, s1, s0
	s_mul_i32 s0, s10, s7
	s_lshl_b64 s[0:1], s[0:1], 3
	s_add_u32 s8, s8, s0
	s_addc_u32 s9, s9, s1
	s_load_dwordx2 s[10:11], s[8:9], 0x0
	s_load_dwordx2 s[22:23], s[4:5], 0x68
	s_load_dwordx4 s[0:3], s[4:5], 0x58
	s_mov_b64 s[8:9], -1
	s_waitcnt lgkmcnt(0)
	s_or_b32 s7, s10, s11
	s_bitset0_b32 s7, 31
	s_cmp_lg_u32 s7, 0
	s_cbranch_scc1 .LBB42_3
; %bb.2:
	s_mul_i32 s3, s3, s20
	s_mul_hi_u32 s7, s2, s20
	s_add_i32 s3, s7, s3
	s_mul_i32 s2, s2, s20
	s_lshl_b64 s[2:3], s[2:3], 3
	s_add_u32 s0, s0, s2
	s_addc_u32 s1, s1, s3
	s_load_dwordx2 s[2:3], s[0:1], 0x0
	s_mov_b64 s[8:9], 0
	s_waitcnt lgkmcnt(0)
	v_cmp_eq_f32_e64 s[0:1], s2, 1.0
	v_cmp_eq_f32_e64 s[2:3], s3, 0
	s_and_b64 s[0:1], s[0:1], s[2:3]
	s_andn2_b64 vcc, exec, s[0:1]
.LBB42_3:
	s_andn2_b64 vcc, exec, s[8:9]
	s_cbranch_vccnz .LBB42_150
; %bb.4:
	s_load_dwordx4 s[0:3], s[4:5], 0x38
	s_load_dword s7, s[4:5], 0x48
	s_lshl_b64 s[8:9], s[20:21], 3
	s_add_u32 s10, s12, s8
	s_addc_u32 s11, s13, s9
	s_waitcnt lgkmcnt(0)
	s_add_u32 s0, s0, s8
	s_addc_u32 s1, s1, s9
	s_load_dwordx2 s[12:13], s[0:1], 0x0
	s_load_dword s21, s[4:5], 0x0
	s_load_dword s33, s[16:17], 0x0
	s_load_dwordx2 s[8:9], s[10:11], 0x0
	s_lshl_b64 s[0:1], s[2:3], 3
	s_waitcnt lgkmcnt(0)
	s_add_u32 s0, s12, s0
	s_addc_u32 s1, s13, s1
	s_lshl_b32 s26, s6, 6
	v_add_u32_e32 v35, s26, v0
	v_mul_lo_u32 v3, s7, v35
	s_ashr_i32 s42, s21, 31
	s_lshr_b32 s3, s42, 26
	s_add_i32 s3, s21, s3
	v_ashrrev_i32_e32 v4, 31, v3
	s_andn2_b32 s3, s3, 63
	v_lshlrev_b64 v[3:4], 3, v[3:4]
	s_add_i32 s2, s33, -1
	s_sub_i32 s3, s21, s3
	s_cmp_eq_u32 s6, s2
	v_mov_b32_e32 v1, s1
	v_add_co_u32_e32 v19, vcc, s0, v3
	s_cselect_b32 s24, s3, 0
	v_addc_co_u32_e32 v20, vcc, v1, v4, vcc
	v_cmp_ne_u32_e64 s[0:1], 0, v2
	v_cmp_eq_u32_e64 s[2:3], 0, v2
	s_and_saveexec_b64 s[10:11], s[2:3]
	s_cbranch_execz .LBB42_9
; %bb.5:
	s_cmp_lg_u32 s24, 0
	s_cselect_b64 s[12:13], -1, 0
	v_cmp_le_i32_e32 vcc, s24, v0
	v_mov_b32_e32 v1, 0x2380
	s_and_b64 s[12:13], s[12:13], vcc
	v_lshl_add_u32 v1, v0, 3, v1
	s_and_saveexec_b64 s[16:17], s[12:13]
	s_xor_b64 s[12:13], exec, s[16:17]
; %bb.6:
	v_mov_b32_e32 v3, 0
	v_mov_b32_e32 v4, v3
	ds_write_b64 v1, v[3:4]
                                        ; implicit-def: $vgpr1
; %bb.7:
	s_andn2_saveexec_b64 s[12:13], s[12:13]
	s_cbranch_execz .LBB42_9
; %bb.8:
	flat_load_dwordx2 v[3:4], v[19:20]
	s_waitcnt vmcnt(0) lgkmcnt(0)
	ds_write_b64 v1, v[3:4]
.LBB42_9:
	s_or_b64 exec, exec, s[10:11]
	s_load_dword s28, s[4:5], 0x28
	v_lshl_add_u32 v25, v2, 6, v0
	v_and_b32_e32 v1, 31, v0
	v_lshrrev_b32_e32 v7, 5, v25
	s_lshl_b64 s[10:11], s[14:15], 3
	s_waitcnt lgkmcnt(0)
	v_mad_u64_u32 v[3:4], s[4:5], s28, v7, v[1:2]
	s_add_u32 s8, s8, s10
	s_addc_u32 s9, s9, s11
	s_ashr_i32 s27, s26, 31
	v_ashrrev_i32_e32 v4, 31, v3
	s_lshl_b64 s[4:5], s[26:27], 3
	v_lshlrev_b64 v[21:22], 3, v[3:4]
	s_add_u32 s4, s8, s4
	s_addc_u32 s5, s9, s5
	v_add_co_u32_e32 v4, vcc, s4, v21
	s_mul_i32 s4, s28, s26
	v_mov_b32_e32 v3, s5
	s_ashr_i32 s5, s4, 31
	v_addc_co_u32_e32 v5, vcc, v3, v22, vcc
	s_lshl_b64 s[30:31], s[4:5], 3
	v_mov_b32_e32 v6, s31
	v_add_co_u32_e32 v3, vcc, s30, v4
	s_cmp_lg_u32 s24, 0
	v_addc_co_u32_e32 v4, vcc, v5, v6, vcc
	s_cselect_b64 s[34:35], -1, 0
	s_cmp_eq_u32 s24, 0
	s_cselect_b64 s[16:17], -1, 0
	s_mov_b64 s[4:5], -1
	s_and_b64 vcc, exec, s[34:35]
	s_cbranch_vccnz .LBB42_11
; %bb.10:
	s_lshl_b32 s4, s28, 3
	s_ashr_i32 s5, s4, 31
	s_lshl_b64 s[4:5], s[4:5], 3
	v_mov_b32_e32 v6, s5
	v_add_co_u32_e32 v5, vcc, s4, v3
	s_ashr_i32 s29, s28, 31
	v_addc_co_u32_e32 v6, vcc, v4, v6, vcc
	s_lshl_b64 s[4:5], s[28:29], 6
	v_mov_b32_e32 v11, s5
	v_add_co_u32_e32 v8, vcc, s4, v5
	v_addc_co_u32_e32 v9, vcc, v6, v11, vcc
	v_add_co_u32_e32 v10, vcc, s4, v8
	v_addc_co_u32_e32 v11, vcc, v9, v11, vcc
	flat_load_dwordx2 v[12:13], v[3:4]
	flat_load_dwordx2 v[14:15], v[5:6]
	;; [unrolled: 1-line block ×4, first 2 shown]
	v_mul_u32_u24_e32 v5, 0x108, v7
	v_lshl_add_u32 v5, v1, 3, v5
	s_mov_b64 s[4:5], 0
	s_waitcnt vmcnt(0) lgkmcnt(0)
	ds_write_b64 v5, v[12:13]
	ds_write_b64 v5, v[14:15] offset:2112
	ds_write_b64 v5, v[16:17] offset:4224
	;; [unrolled: 1-line block ×3, first 2 shown]
.LBB42_11:
	s_andn2_b64 vcc, exec, s[4:5]
	v_lshlrev_b32_e32 v8, 3, v1
	s_cbranch_vccnz .LBB42_29
; %bb.12:
	v_sub_co_u32_e32 v5, vcc, v3, v8
	s_ashr_i32 s25, s24, 31
	v_subbrev_co_u32_e32 v6, vcc, 0, v4, vcc
	s_lshl_b64 s[8:9], s[24:25], 3
	v_mov_b32_e32 v9, s9
	v_add_co_u32_e32 v5, vcc, s8, v5
	v_addc_co_u32_e32 v6, vcc, v6, v9, vcc
	v_add_co_u32_e32 v5, vcc, -8, v5
	v_addc_co_u32_e32 v6, vcc, -1, v6, vcc
	v_cmp_gt_i32_e32 vcc, s24, v1
	v_cndmask_b32_e32 v6, v6, v4, vcc
	v_cndmask_b32_e32 v5, v5, v3, vcc
	v_cmp_le_i32_e64 s[4:5], s24, v7
	v_mul_u32_u24_e32 v9, 0x108, v7
	s_and_saveexec_b64 s[10:11], s[4:5]
	s_xor_b64 s[4:5], exec, s[10:11]
; %bb.13:
	v_mov_b32_e32 v10, 0
	v_add_u32_e32 v12, v8, v9
	v_mov_b32_e32 v11, v10
	ds_write_b64 v12, v[10:11]
; %bb.14:
	s_andn2_saveexec_b64 s[4:5], s[4:5]
	s_cbranch_execz .LBB42_16
; %bb.15:
	flat_load_dwordx2 v[10:11], v[5:6]
	v_add_u32_e32 v12, v8, v9
	s_waitcnt vmcnt(0) lgkmcnt(0)
	ds_write_b64 v12, v[10:11]
.LBB42_16:
	s_or_b64 exec, exec, s[4:5]
	v_add_u32_e32 v10, 8, v7
	v_cmp_le_i32_e64 s[4:5], s24, v10
	s_and_saveexec_b64 s[10:11], s[4:5]
	s_xor_b64 s[4:5], exec, s[10:11]
; %bb.17:
	v_mov_b32_e32 v10, 0
	v_add_u32_e32 v12, v9, v8
	v_mov_b32_e32 v11, v10
	ds_write_b64 v12, v[10:11] offset:2112
; %bb.18:
	s_andn2_saveexec_b64 s[10:11], s[4:5]
	s_cbranch_execz .LBB42_20
; %bb.19:
	s_lshl_b32 s4, s28, 3
	s_ashr_i32 s5, s4, 31
	s_lshl_b64 s[4:5], s[4:5], 3
	v_mov_b32_e32 v11, s5
	v_add_co_u32_e64 v10, s[4:5], s4, v5
	v_addc_co_u32_e64 v11, s[4:5], v6, v11, s[4:5]
	flat_load_dwordx2 v[10:11], v[10:11]
	v_add_u32_e32 v12, v9, v8
	s_waitcnt vmcnt(0) lgkmcnt(0)
	ds_write_b64 v12, v[10:11] offset:2112
.LBB42_20:
	s_or_b64 exec, exec, s[10:11]
	v_add_u32_e32 v10, 16, v7
	v_cmp_le_i32_e64 s[4:5], s24, v10
	s_and_saveexec_b64 s[10:11], s[4:5]
	s_xor_b64 s[4:5], exec, s[10:11]
; %bb.21:
	v_mov_b32_e32 v10, 0
	v_add_u32_e32 v12, v9, v8
	v_mov_b32_e32 v11, v10
	ds_write_b64 v12, v[10:11] offset:4224
; %bb.22:
	s_andn2_saveexec_b64 s[10:11], s[4:5]
	s_cbranch_execz .LBB42_24
; %bb.23:
	s_lshl_b32 s4, s28, 4
	s_ashr_i32 s5, s4, 31
	s_lshl_b64 s[4:5], s[4:5], 3
	v_mov_b32_e32 v11, s5
	v_add_co_u32_e64 v10, s[4:5], s4, v5
	v_addc_co_u32_e64 v11, s[4:5], v6, v11, s[4:5]
	flat_load_dwordx2 v[10:11], v[10:11]
	v_add_u32_e32 v12, v9, v8
	s_waitcnt vmcnt(0) lgkmcnt(0)
	ds_write_b64 v12, v[10:11] offset:4224
.LBB42_24:
	s_or_b64 exec, exec, s[10:11]
	v_add_u32_e32 v10, 24, v7
	v_cmp_le_i32_e64 s[4:5], s24, v10
	s_and_saveexec_b64 s[10:11], s[4:5]
	s_xor_b64 s[4:5], exec, s[10:11]
; %bb.25:
	v_add_u32_e32 v11, v9, v8
	v_mov_b32_e32 v9, 0
	v_mov_b32_e32 v10, v9
	ds_write_b64 v11, v[9:10] offset:6336
                                        ; implicit-def: $vgpr9
; %bb.26:
	s_andn2_saveexec_b64 s[10:11], s[4:5]
	s_cbranch_execz .LBB42_28
; %bb.27:
	s_mul_i32 s4, s28, 24
	s_ashr_i32 s5, s4, 31
	s_lshl_b64 s[4:5], s[4:5], 3
	v_mov_b32_e32 v11, s5
	v_add_co_u32_e64 v10, s[4:5], s4, v5
	v_addc_co_u32_e64 v11, s[4:5], v6, v11, s[4:5]
	flat_load_dwordx2 v[10:11], v[10:11]
	v_add_u32_e32 v9, v9, v8
	s_waitcnt vmcnt(0) lgkmcnt(0)
	ds_write_b64 v9, v[10:11] offset:6336
.LBB42_28:
	s_or_b64 exec, exec, s[10:11]
	v_add_co_u32_e64 v5, s[4:5], v5, v8
	v_addc_co_u32_e64 v6, s[4:5], 0, v6, s[4:5]
	v_mov_b32_e32 v9, s9
	v_subrev_co_u32_e64 v5, s[4:5], s8, v5
	v_subb_co_u32_e64 v6, s[4:5], v6, v9, s[4:5]
	v_add_co_u32_e64 v5, s[4:5], 8, v5
	v_addc_co_u32_e64 v6, s[4:5], 0, v6, s[4:5]
	v_cndmask_b32_e32 v4, v6, v4, vcc
	v_cndmask_b32_e32 v3, v5, v3, vcc
.LBB42_29:
	v_lshlrev_b32_e32 v5, 2, v7
	v_mul_u32_u24_e32 v6, 0x108, v1
	v_cmp_ge_u32_e64 s[18:19], v5, v1
	s_mov_b64 s[4:5], 0
	s_waitcnt lgkmcnt(0)
	s_barrier
                                        ; implicit-def: $vgpr10
	s_and_saveexec_b64 s[8:9], s[18:19]
	s_xor_b64 s[8:9], exec, s[8:9]
	s_cbranch_execz .LBB42_33
; %bb.30:
	v_cmp_eq_u32_e32 vcc, v5, v1
                                        ; implicit-def: $vgpr10
	s_and_saveexec_b64 s[10:11], vcc
	s_xor_b64 s[10:11], exec, s[10:11]
; %bb.31:
	s_mov_b64 s[4:5], exec
	v_add_u32_e32 v10, v8, v6
; %bb.32:
	s_or_b64 exec, exec, s[10:11]
	s_and_b64 s[4:5], s[4:5], exec
.LBB42_33:
	s_or_saveexec_b64 s[8:9], s[8:9]
	v_lshl_or_b32 v9, v1, 8, v8
	v_mov_b32_e32 v11, 0
	s_xor_b64 exec, exec, s[8:9]
	s_cbranch_execz .LBB42_35
; %bb.34:
	s_movk_i32 s10, 0x420
	v_mad_u32_u24 v10, v7, s10, v8
	ds_read_b64 v[12:13], v10
	v_lshl_add_u32 v10, v5, 3, v9
	s_or_b64 s[4:5], s[4:5], exec
	s_waitcnt lgkmcnt(0)
	v_xor_b32_e32 v11, 0x80000000, v13
	ds_write_b32 v10, v12
.LBB42_35:
	s_or_b64 exec, exec, s[8:9]
	s_and_saveexec_b64 s[8:9], s[4:5]
; %bb.36:
	ds_write_b32 v10, v11 offset:4
; %bb.37:
	s_or_b64 exec, exec, s[8:9]
	v_or_b32_e32 v10, 1, v5
	v_cmp_ge_u32_e64 s[8:9], v10, v1
	s_mov_b64 s[4:5], 0
                                        ; implicit-def: $vgpr11
	s_and_saveexec_b64 s[10:11], s[8:9]
	s_xor_b64 s[10:11], exec, s[10:11]
	s_cbranch_execnz .LBB42_99
; %bb.38:
	s_or_saveexec_b64 s[10:11], s[10:11]
	v_mov_b32_e32 v12, 0
	s_xor_b64 exec, exec, s[10:11]
	s_cbranch_execnz .LBB42_102
.LBB42_39:
	s_or_b64 exec, exec, s[10:11]
	s_and_saveexec_b64 s[10:11], s[4:5]
.LBB42_40:
	ds_write_b32 v11, v12 offset:4
.LBB42_41:
	s_or_b64 exec, exec, s[10:11]
	v_or_b32_e32 v11, 2, v5
	v_cmp_ge_u32_e64 s[10:11], v11, v1
	s_mov_b64 s[4:5], 0
                                        ; implicit-def: $vgpr12
	s_and_saveexec_b64 s[12:13], s[10:11]
	s_xor_b64 s[12:13], exec, s[12:13]
	s_cbranch_execnz .LBB42_103
; %bb.42:
	s_or_saveexec_b64 s[12:13], s[12:13]
	v_mov_b32_e32 v13, 0
	s_xor_b64 exec, exec, s[12:13]
	s_cbranch_execnz .LBB42_106
.LBB42_43:
	s_or_b64 exec, exec, s[12:13]
	s_and_saveexec_b64 s[12:13], s[4:5]
.LBB42_44:
	ds_write_b32 v12, v13 offset:4
.LBB42_45:
	s_or_b64 exec, exec, s[12:13]
	v_or_b32_e32 v12, 3, v5
	v_cmp_ge_u32_e64 s[12:13], v12, v1
	s_mov_b64 s[4:5], 0
                                        ; implicit-def: $vgpr13
	s_and_saveexec_b64 s[14:15], s[12:13]
	s_xor_b64 s[14:15], exec, s[14:15]
	s_cbranch_execnz .LBB42_107
; %bb.46:
	s_or_saveexec_b64 s[14:15], s[14:15]
	v_mov_b32_e32 v14, 0
	s_xor_b64 exec, exec, s[14:15]
	s_cbranch_execnz .LBB42_110
.LBB42_47:
	s_or_b64 exec, exec, s[14:15]
	s_and_saveexec_b64 s[14:15], s[4:5]
.LBB42_48:
	ds_write_b32 v13, v14 offset:4
.LBB42_49:
	s_or_b64 exec, exec, s[14:15]
	s_movk_i32 s4, 0x420
	v_mad_u32_u24 v13, v7, s4, v8
	s_waitcnt lgkmcnt(0)
	s_barrier
	v_lshlrev_b32_e32 v9, 3, v5
	ds_read_b64 v[17:18], v13
	ds_read_b128 v[13:16], v9 offset:9088
	ds_read_b128 v[26:29], v9 offset:9104
	s_movk_i32 s4, 0x108
	v_mov_b32_e32 v36, 0
	v_mov_b32_e32 v37, 0
	s_waitcnt lgkmcnt(1)
	v_mul_f32_e32 v23, v14, v18
	v_fma_f32 v23, v13, v17, -v23
	v_mul_f32_e32 v13, v13, v18
	v_mad_u32_u24 v18, v10, s4, v8
	ds_read2_b64 v[30:33], v18 offset1:33
	v_fmac_f32_e32 v13, v14, v17
	v_add_f32_e32 v14, 0, v23
	v_add_f32_e32 v13, 0, v13
	v_cmp_gt_u32_e64 s[4:5], 32, v25
	s_waitcnt lgkmcnt(0)
	v_mul_f32_e32 v17, v16, v31
	v_fma_f32 v17, v15, v30, -v17
	v_mul_f32_e32 v15, v15, v31
	v_fmac_f32_e32 v15, v16, v30
	v_add_f32_e32 v16, v14, v17
	v_add_f32_e32 v15, v13, v15
	ds_read_b64 v[13:14], v18 offset:528
	v_mul_f32_e32 v17, v27, v33
	v_fma_f32 v17, v26, v32, -v17
	v_mul_f32_e32 v18, v26, v33
	v_fmac_f32_e32 v18, v27, v32
	v_add_f32_e32 v16, v16, v17
	s_waitcnt lgkmcnt(0)
	v_mul_f32_e32 v17, v29, v14
	v_mul_f32_e32 v14, v28, v14
	v_add_f32_e32 v15, v15, v18
	v_fmac_f32_e32 v14, v29, v13
	v_add_f32_e32 v14, v15, v14
	v_mul_u32_u24_e32 v15, 33, v1
	v_fma_f32 v17, v28, v13, -v17
	v_lshlrev_b32_e32 v26, 3, v15
	v_add_f32_e32 v13, v16, v17
	v_lshl_add_u32 v27, v7, 3, v26
	s_barrier
	ds_write_b64 v27, v[13:14]
	s_waitcnt lgkmcnt(0)
	s_barrier
	s_and_saveexec_b64 s[14:15], s[4:5]
	s_cbranch_execz .LBB42_51
; %bb.50:
	ds_read2_b64 v[13:16], v26 offset1:7
	ds_read2_b64 v[28:31], v26 offset0:1 offset1:2
	ds_read2_b64 v[36:39], v26 offset0:3 offset1:4
	s_waitcnt lgkmcnt(1)
	v_add_f32_e32 v13, v28, v13
	v_add_f32_e32 v14, v29, v14
	;; [unrolled: 1-line block ×4, first 2 shown]
	ds_read2_b64 v[28:31], v26 offset0:5 offset1:6
	s_waitcnt lgkmcnt(1)
	v_add_f32_e32 v13, v13, v36
	v_add_f32_e32 v14, v14, v37
	;; [unrolled: 1-line block ×4, first 2 shown]
	s_waitcnt lgkmcnt(0)
	v_add_f32_e32 v13, v13, v28
	v_add_f32_e32 v14, v14, v29
	;; [unrolled: 1-line block ×6, first 2 shown]
.LBB42_51:
	s_or_b64 exec, exec, s[14:15]
	s_lshl_b32 s14, s28, 5
	s_ashr_i32 s15, s14, 31
	s_lshl_b64 s[36:37], s[14:15], 3
	v_mov_b32_e32 v13, s37
	v_add_co_u32_e32 v3, vcc, s36, v3
	v_addc_co_u32_e32 v4, vcc, v4, v13, vcc
	v_add_co_u32_e32 v13, vcc, 0x100, v3
	v_addc_co_u32_e32 v14, vcc, 0, v4, vcc
	v_cndmask_b32_e64 v15, 0, 1, s[16:17]
	v_cmp_ne_u32_e64 s[14:15], 1, v15
	s_andn2_b64 vcc, exec, s[16:17]
	s_mov_b64 s[16:17], -1
	s_barrier
	s_cbranch_vccnz .LBB42_53
; %bb.52:
	s_lshl_b32 s16, s28, 3
	s_ashr_i32 s17, s16, 31
	s_lshl_b64 s[16:17], s[16:17], 3
	v_mov_b32_e32 v16, s17
	v_add_co_u32_e32 v15, vcc, s16, v3
	s_ashr_i32 s29, s28, 31
	v_addc_co_u32_e32 v16, vcc, v4, v16, vcc
	s_lshl_b64 s[16:17], s[28:29], 6
	v_mov_b32_e32 v24, s17
	v_add_co_u32_e32 v17, vcc, s16, v15
	v_addc_co_u32_e32 v18, vcc, v16, v24, vcc
	v_add_co_u32_e32 v23, vcc, s16, v17
	v_addc_co_u32_e32 v24, vcc, v18, v24, vcc
	flat_load_dwordx2 v[28:29], v[3:4] offset:256
	flat_load_dwordx2 v[30:31], v[15:16] offset:256
	;; [unrolled: 1-line block ×4, first 2 shown]
	s_movk_i32 s16, 0x108
	v_mad_u32_u24 v15, v7, s16, v8
	s_mov_b64 s[16:17], 0
	s_waitcnt vmcnt(0) lgkmcnt(0)
	ds_write_b64 v15, v[28:29]
	ds_write_b64 v15, v[30:31] offset:2112
	ds_write_b64 v15, v[32:33] offset:4224
	ds_write_b64 v15, v[38:39] offset:6336
.LBB42_53:
	s_andn2_b64 vcc, exec, s[16:17]
	s_cbranch_vccnz .LBB42_71
; %bb.54:
	v_sub_co_u32_e32 v3, vcc, v3, v8
	s_ashr_i32 s25, s24, 31
	v_subbrev_co_u32_e32 v4, vcc, 0, v4, vcc
	s_lshl_b64 s[38:39], s[24:25], 3
	v_mov_b32_e32 v16, s39
	v_add_co_u32_e32 v3, vcc, s38, v3
	v_addc_co_u32_e32 v4, vcc, v4, v16, vcc
	v_or_b32_e32 v15, 32, v1
	v_add_co_u32_e32 v3, vcc, -8, v3
	v_addc_co_u32_e32 v4, vcc, -1, v4, vcc
	v_cmp_gt_i32_e64 s[16:17], s24, v15
	s_sub_i32 s25, s24, 32
	v_cndmask_b32_e64 v4, v4, v14, s[16:17]
	v_cndmask_b32_e64 v3, v3, v13, s[16:17]
	v_cmp_le_i32_e32 vcc, s25, v7
	v_mul_u32_u24_e32 v15, 0x108, v7
	s_and_saveexec_b64 s[40:41], vcc
	s_xor_b64 s[40:41], exec, s[40:41]
; %bb.55:
	v_mov_b32_e32 v16, 0
	v_add_u32_e32 v18, v8, v15
	v_mov_b32_e32 v17, v16
	ds_write_b64 v18, v[16:17]
; %bb.56:
	s_andn2_saveexec_b64 s[40:41], s[40:41]
	s_cbranch_execz .LBB42_58
; %bb.57:
	flat_load_dwordx2 v[16:17], v[3:4]
	v_add_u32_e32 v18, v8, v15
	s_waitcnt vmcnt(0) lgkmcnt(0)
	ds_write_b64 v18, v[16:17]
.LBB42_58:
	s_or_b64 exec, exec, s[40:41]
	v_add_u32_e32 v16, 8, v7
	v_cmp_le_i32_e32 vcc, s25, v16
	s_and_saveexec_b64 s[40:41], vcc
	s_xor_b64 s[40:41], exec, s[40:41]
; %bb.59:
	v_mov_b32_e32 v16, 0
	v_add_u32_e32 v18, v15, v8
	v_mov_b32_e32 v17, v16
	ds_write_b64 v18, v[16:17] offset:2112
; %bb.60:
	s_andn2_saveexec_b64 s[40:41], s[40:41]
	s_cbranch_execz .LBB42_62
; %bb.61:
	s_lshl_b32 s44, s28, 3
	s_ashr_i32 s45, s44, 31
	s_lshl_b64 s[44:45], s[44:45], 3
	v_mov_b32_e32 v17, s45
	v_add_co_u32_e32 v16, vcc, s44, v3
	v_addc_co_u32_e32 v17, vcc, v4, v17, vcc
	flat_load_dwordx2 v[16:17], v[16:17]
	v_add_u32_e32 v18, v15, v8
	s_waitcnt vmcnt(0) lgkmcnt(0)
	ds_write_b64 v18, v[16:17] offset:2112
.LBB42_62:
	s_or_b64 exec, exec, s[40:41]
	v_add_u32_e32 v16, 16, v7
	v_cmp_le_i32_e32 vcc, s25, v16
	s_and_saveexec_b64 s[40:41], vcc
	s_xor_b64 s[40:41], exec, s[40:41]
; %bb.63:
	v_mov_b32_e32 v16, 0
	v_add_u32_e32 v18, v15, v8
	v_mov_b32_e32 v17, v16
	ds_write_b64 v18, v[16:17] offset:4224
; %bb.64:
	s_andn2_saveexec_b64 s[40:41], s[40:41]
	s_cbranch_execz .LBB42_66
; %bb.65:
	s_lshl_b32 s44, s28, 4
	s_ashr_i32 s45, s44, 31
	s_lshl_b64 s[44:45], s[44:45], 3
	v_mov_b32_e32 v17, s45
	v_add_co_u32_e32 v16, vcc, s44, v3
	v_addc_co_u32_e32 v17, vcc, v4, v17, vcc
	flat_load_dwordx2 v[16:17], v[16:17]
	v_add_u32_e32 v18, v15, v8
	s_waitcnt vmcnt(0) lgkmcnt(0)
	ds_write_b64 v18, v[16:17] offset:4224
.LBB42_66:
	s_or_b64 exec, exec, s[40:41]
	v_add_u32_e32 v16, 24, v7
	v_cmp_le_i32_e32 vcc, s25, v16
	s_and_saveexec_b64 s[40:41], vcc
	s_xor_b64 s[40:41], exec, s[40:41]
; %bb.67:
	v_add_u32_e32 v17, v15, v8
	v_mov_b32_e32 v15, 0
	v_mov_b32_e32 v16, v15
	ds_write_b64 v17, v[15:16] offset:6336
                                        ; implicit-def: $vgpr15
; %bb.68:
	s_andn2_saveexec_b64 s[40:41], s[40:41]
	s_cbranch_execz .LBB42_70
; %bb.69:
	s_mul_i32 s44, s28, 24
	s_ashr_i32 s45, s44, 31
	s_lshl_b64 s[44:45], s[44:45], 3
	v_mov_b32_e32 v17, s45
	v_add_co_u32_e32 v16, vcc, s44, v3
	v_addc_co_u32_e32 v17, vcc, v4, v17, vcc
	flat_load_dwordx2 v[16:17], v[16:17]
	v_add_u32_e32 v15, v15, v8
	s_waitcnt vmcnt(0) lgkmcnt(0)
	ds_write_b64 v15, v[16:17] offset:6336
.LBB42_70:
	s_or_b64 exec, exec, s[40:41]
	v_add_co_u32_e32 v3, vcc, v3, v8
	v_addc_co_u32_e32 v4, vcc, 0, v4, vcc
	v_mov_b32_e32 v15, s39
	v_subrev_co_u32_e32 v3, vcc, s38, v3
	v_subb_co_u32_e32 v4, vcc, v4, v15, vcc
	v_add_co_u32_e32 v3, vcc, 0x108, v3
	v_addc_co_u32_e32 v4, vcc, 0, v4, vcc
	v_cndmask_b32_e64 v14, v4, v14, s[16:17]
	v_cndmask_b32_e64 v13, v3, v13, s[16:17]
.LBB42_71:
	v_mul_u32_u24_e32 v3, 0x420, v7
	v_add_u32_e32 v9, 0x2380, v9
	v_mul_u32_u24_e32 v4, 0x108, v10
	s_mov_b64 s[16:17], 0
	s_waitcnt lgkmcnt(0)
	s_barrier
                                        ; implicit-def: $vgpr15
	s_and_saveexec_b64 s[38:39], s[18:19]
	s_xor_b64 s[18:19], exec, s[38:39]
	s_cbranch_execz .LBB42_75
; %bb.72:
	v_cmp_eq_u32_e32 vcc, v5, v1
                                        ; implicit-def: $vgpr15
	s_and_saveexec_b64 s[38:39], vcc
	s_xor_b64 s[38:39], exec, s[38:39]
; %bb.73:
	s_mov_b64 s[16:17], exec
	v_add_u32_e32 v15, v8, v6
; %bb.74:
	s_or_b64 exec, exec, s[38:39]
	s_and_b64 s[16:17], s[16:17], exec
.LBB42_75:
	s_or_saveexec_b64 s[18:19], s[18:19]
	v_mov_b32_e32 v16, 0
	v_add_u32_e32 v3, v8, v3
	s_xor_b64 exec, exec, s[18:19]
	s_cbranch_execz .LBB42_77
; %bb.76:
	ds_read_b64 v[17:18], v3
	v_lshl_add_u32 v15, v5, 3, v26
	s_or_b64 s[16:17], s[16:17], exec
	s_waitcnt lgkmcnt(0)
	v_xor_b32_e32 v16, 0x80000000, v18
	ds_write_b32 v15, v17
.LBB42_77:
	s_or_b64 exec, exec, s[18:19]
	s_and_saveexec_b64 s[18:19], s[16:17]
; %bb.78:
	ds_write_b32 v15, v16 offset:4
; %bb.79:
	s_or_b64 exec, exec, s[18:19]
	s_mov_b64 s[16:17], 0
                                        ; implicit-def: $vgpr15
	s_and_saveexec_b64 s[18:19], s[8:9]
	s_xor_b64 s[8:9], exec, s[18:19]
	s_cbranch_execz .LBB42_83
; %bb.80:
	v_cmp_eq_u32_e32 vcc, v10, v1
                                        ; implicit-def: $vgpr15
	s_and_saveexec_b64 s[18:19], vcc
; %bb.81:
	s_mov_b64 s[16:17], exec
	v_add_u32_e32 v15, v8, v6
; %bb.82:
	s_or_b64 exec, exec, s[18:19]
	s_and_b64 s[16:17], s[16:17], exec
.LBB42_83:
	s_or_saveexec_b64 s[8:9], s[8:9]
	v_mov_b32_e32 v10, 0
	v_add_u32_e32 v4, v8, v4
	s_xor_b64 exec, exec, s[8:9]
	s_cbranch_execz .LBB42_85
; %bb.84:
	ds_read_b64 v[16:17], v4
	v_lshl_add_u32 v18, v5, 3, v26
	v_add_u32_e32 v15, 8, v18
	s_or_b64 s[16:17], s[16:17], exec
	s_waitcnt lgkmcnt(0)
	v_xor_b32_e32 v10, 0x80000000, v17
	ds_write_b32 v18, v16 offset:8
.LBB42_85:
	s_or_b64 exec, exec, s[8:9]
	s_and_saveexec_b64 s[8:9], s[16:17]
; %bb.86:
	ds_write_b32 v15, v10 offset:4
; %bb.87:
	s_or_b64 exec, exec, s[8:9]
	s_mov_b64 s[8:9], 0
                                        ; implicit-def: $vgpr10
	s_and_saveexec_b64 s[16:17], s[10:11]
	s_xor_b64 s[10:11], exec, s[16:17]
	s_cbranch_execnz .LBB42_111
; %bb.88:
	s_or_saveexec_b64 s[10:11], s[10:11]
	v_mov_b32_e32 v11, 0
	s_xor_b64 exec, exec, s[10:11]
	s_cbranch_execnz .LBB42_114
.LBB42_89:
	s_or_b64 exec, exec, s[10:11]
	s_and_saveexec_b64 s[10:11], s[8:9]
.LBB42_90:
	ds_write_b32 v10, v11 offset:4
.LBB42_91:
	s_or_b64 exec, exec, s[10:11]
	s_mov_b64 s[8:9], 0
                                        ; implicit-def: $vgpr10
	s_and_saveexec_b64 s[10:11], s[12:13]
	s_xor_b64 s[10:11], exec, s[10:11]
	s_cbranch_execnz .LBB42_115
; %bb.92:
	s_or_saveexec_b64 s[10:11], s[10:11]
	v_mov_b32_e32 v6, 0
	s_xor_b64 exec, exec, s[10:11]
	s_cbranch_execnz .LBB42_118
.LBB42_93:
	s_or_b64 exec, exec, s[10:11]
	s_and_saveexec_b64 s[10:11], s[8:9]
.LBB42_94:
	ds_write_b32 v10, v6 offset:4
.LBB42_95:
	s_or_b64 exec, exec, s[10:11]
	s_waitcnt lgkmcnt(0)
	s_barrier
	ds_read_b64 v[10:11], v3
	ds_read_b128 v[15:18], v9 offset:256
	ds_read_b128 v[28:31], v9 offset:272
	ds_read_b64 v[23:24], v4 offset:528
	ds_read2_b64 v[38:41], v4 offset1:33
	v_cmp_eq_u32_e64 s[10:11], 1, v7
	s_waitcnt lgkmcnt(3)
	v_mul_f32_e32 v3, v16, v11
	v_mul_f32_e32 v4, v15, v11
	v_fma_f32 v3, v15, v10, -v3
	v_fmac_f32_e32 v4, v16, v10
	s_waitcnt lgkmcnt(0)
	v_mul_f32_e32 v6, v18, v39
	v_mul_f32_e32 v10, v17, v39
	v_add_f32_e32 v3, 0, v3
	v_add_f32_e32 v4, 0, v4
	v_fma_f32 v6, v17, v38, -v6
	v_fmac_f32_e32 v10, v18, v38
	v_add_f32_e32 v3, v3, v6
	v_add_f32_e32 v4, v4, v10
	v_mul_f32_e32 v6, v29, v41
	v_mul_f32_e32 v10, v28, v41
	v_fma_f32 v6, v28, v40, -v6
	v_fmac_f32_e32 v10, v29, v40
	v_add_f32_e32 v3, v3, v6
	v_add_f32_e32 v4, v4, v10
	v_mul_f32_e32 v6, v31, v24
	v_mul_f32_e32 v10, v30, v24
	v_fma_f32 v6, v30, v23, -v6
	v_fmac_f32_e32 v10, v31, v23
	v_add_f32_e32 v3, v3, v6
	v_add_f32_e32 v4, v4, v10
	s_barrier
	ds_write_b64 v27, v[3:4]
	s_waitcnt lgkmcnt(0)
	s_barrier
	s_and_saveexec_b64 s[8:9], s[10:11]
	s_cbranch_execz .LBB42_97
; %bb.96:
	ds_read2_b64 v[15:18], v26 offset1:7
	ds_read2_b64 v[28:31], v26 offset0:1 offset1:2
	ds_read2_b64 v[36:39], v26 offset0:3 offset1:4
	s_waitcnt lgkmcnt(1)
	v_add_f32_e32 v3, v28, v15
	v_add_f32_e32 v4, v29, v16
	;; [unrolled: 1-line block ×4, first 2 shown]
	ds_read2_b64 v[28:31], v26 offset0:5 offset1:6
	s_waitcnt lgkmcnt(1)
	v_add_f32_e32 v3, v3, v36
	v_add_f32_e32 v4, v4, v37
	;; [unrolled: 1-line block ×4, first 2 shown]
	s_waitcnt lgkmcnt(0)
	v_add_f32_e32 v3, v3, v28
	v_add_f32_e32 v4, v4, v29
	;; [unrolled: 1-line block ×6, first 2 shown]
.LBB42_97:
	s_or_b64 exec, exec, s[8:9]
	v_mov_b32_e32 v3, s37
	v_subrev_co_u32_e64 v23, s[8:9], s36, v13
	s_and_b64 vcc, exec, s[14:15]
	v_subb_co_u32_e64 v24, s[8:9], v14, v3, s[8:9]
	s_barrier
	s_cbranch_vccnz .LBB42_119
; %bb.98:
	s_lshl_b32 s8, s28, 3
	s_ashr_i32 s9, s8, 31
	s_lshl_b64 s[8:9], s[8:9], 3
	v_mov_b32_e32 v4, s9
	v_add_co_u32_e32 v3, vcc, s8, v23
	s_ashr_i32 s29, s28, 31
	v_addc_co_u32_e32 v4, vcc, v24, v4, vcc
	s_lshl_b64 s[8:9], s[28:29], 6
	v_mov_b32_e32 v6, s9
	v_add_co_u32_e32 v10, vcc, s8, v3
	v_addc_co_u32_e32 v11, vcc, v4, v6, vcc
	v_add_co_u32_e32 v12, vcc, s8, v10
	v_addc_co_u32_e32 v13, vcc, v11, v6, vcc
	flat_load_dwordx2 v[14:15], v[23:24]
	flat_load_dwordx2 v[16:17], v[3:4]
	;; [unrolled: 1-line block ×4, first 2 shown]
	s_movk_i32 s8, 0x108
	v_mov_b32_e32 v3, 0x840
	v_mov_b32_e32 v13, 0x1080
	;; [unrolled: 1-line block ×3, first 2 shown]
	v_mul_u32_u24_e32 v6, 0x108, v7
	v_add_u32_e32 v10, 8, v7
	v_add_u32_e32 v11, 16, v7
	;; [unrolled: 1-line block ×3, first 2 shown]
	v_mad_u32_u24 v32, v7, s8, v8
	v_mad_u32_u24 v4, v7, s8, v3
	;; [unrolled: 1-line block ×4, first 2 shown]
	v_add_u32_e32 v18, v8, v4
	v_add_u32_e32 v33, v8, v3
	v_add_u32_e32 v34, v8, v13
	s_waitcnt vmcnt(0) lgkmcnt(0)
	ds_write_b64 v32, v[14:15]
	ds_write_b64 v18, v[16:17]
	;; [unrolled: 1-line block ×4, first 2 shown]
	s_cbranch_execz .LBB42_120
	s_branch .LBB42_137
.LBB42_99:
	v_cmp_eq_u32_e32 vcc, v10, v1
                                        ; implicit-def: $vgpr11
	s_and_saveexec_b64 s[12:13], vcc
; %bb.100:
	s_mov_b64 s[4:5], exec
	v_add_u32_e32 v11, v8, v6
; %bb.101:
	s_or_b64 exec, exec, s[12:13]
	s_and_b64 s[4:5], s[4:5], exec
	s_or_saveexec_b64 s[10:11], s[10:11]
	v_mov_b32_e32 v12, 0
	s_xor_b64 exec, exec, s[10:11]
	s_cbranch_execz .LBB42_39
.LBB42_102:
	s_movk_i32 s12, 0x108
	v_mad_u32_u24 v11, v10, s12, v8
	ds_read_b64 v[13:14], v11
	v_lshl_add_u32 v15, v5, 3, v9
	v_add_u32_e32 v11, 8, v15
	s_or_b64 s[4:5], s[4:5], exec
	s_waitcnt lgkmcnt(0)
	v_xor_b32_e32 v12, 0x80000000, v14
	ds_write_b32 v15, v13 offset:8
	s_or_b64 exec, exec, s[10:11]
	s_and_saveexec_b64 s[10:11], s[4:5]
	s_cbranch_execnz .LBB42_40
	s_branch .LBB42_41
.LBB42_103:
	v_cmp_eq_u32_e32 vcc, v11, v1
                                        ; implicit-def: $vgpr12
	s_and_saveexec_b64 s[14:15], vcc
; %bb.104:
	s_mov_b64 s[4:5], exec
	v_add_u32_e32 v12, v8, v6
; %bb.105:
	s_or_b64 exec, exec, s[14:15]
	s_and_b64 s[4:5], s[4:5], exec
	s_or_saveexec_b64 s[12:13], s[12:13]
	v_mov_b32_e32 v13, 0
	s_xor_b64 exec, exec, s[12:13]
	s_cbranch_execz .LBB42_43
.LBB42_106:
	s_movk_i32 s14, 0x108
	v_mad_u32_u24 v12, v11, s14, v8
	ds_read_b64 v[14:15], v12
	v_lshl_add_u32 v16, v5, 3, v9
	v_add_u32_e32 v12, 16, v16
	s_or_b64 s[4:5], s[4:5], exec
	s_waitcnt lgkmcnt(0)
	v_xor_b32_e32 v13, 0x80000000, v15
	ds_write_b32 v16, v14 offset:16
	s_or_b64 exec, exec, s[12:13]
	s_and_saveexec_b64 s[12:13], s[4:5]
	s_cbranch_execnz .LBB42_44
	s_branch .LBB42_45
.LBB42_107:
	v_cmp_eq_u32_e32 vcc, v12, v1
                                        ; implicit-def: $vgpr13
	s_and_saveexec_b64 s[36:37], vcc
; %bb.108:
	s_mov_b64 s[4:5], exec
	v_add_u32_e32 v13, v8, v6
; %bb.109:
	s_or_b64 exec, exec, s[36:37]
	s_and_b64 s[4:5], s[4:5], exec
                                        ; implicit-def: $vgpr9
	s_or_saveexec_b64 s[14:15], s[14:15]
	v_mov_b32_e32 v14, 0
	s_xor_b64 exec, exec, s[14:15]
	s_cbranch_execz .LBB42_47
.LBB42_110:
	s_movk_i32 s25, 0x108
	v_mad_u32_u24 v13, v12, s25, v8
	ds_read_b64 v[15:16], v13
	v_lshl_add_u32 v9, v5, 3, v9
	v_add_u32_e32 v13, 24, v9
	s_or_b64 s[4:5], s[4:5], exec
	s_waitcnt lgkmcnt(0)
	v_xor_b32_e32 v14, 0x80000000, v16
	ds_write_b32 v9, v15 offset:24
	s_or_b64 exec, exec, s[14:15]
	s_and_saveexec_b64 s[14:15], s[4:5]
	s_cbranch_execnz .LBB42_48
	s_branch .LBB42_49
.LBB42_111:
	v_cmp_eq_u32_e32 vcc, v11, v1
                                        ; implicit-def: $vgpr10
	s_and_saveexec_b64 s[16:17], vcc
; %bb.112:
	s_mov_b64 s[8:9], exec
	v_add_u32_e32 v10, v8, v6
; %bb.113:
	s_or_b64 exec, exec, s[16:17]
	s_and_b64 s[8:9], s[8:9], exec
	s_or_saveexec_b64 s[10:11], s[10:11]
	v_mov_b32_e32 v11, 0
	s_xor_b64 exec, exec, s[10:11]
	s_cbranch_execz .LBB42_89
.LBB42_114:
	ds_read_b64 v[15:16], v4 offset:264
	v_lshl_add_u32 v17, v5, 3, v26
	v_add_u32_e32 v10, 16, v17
	s_or_b64 s[8:9], s[8:9], exec
	s_waitcnt lgkmcnt(0)
	v_xor_b32_e32 v11, 0x80000000, v16
	ds_write_b32 v17, v15 offset:16
	s_or_b64 exec, exec, s[10:11]
	s_and_saveexec_b64 s[10:11], s[8:9]
	s_cbranch_execnz .LBB42_90
	s_branch .LBB42_91
.LBB42_115:
	v_cmp_eq_u32_e32 vcc, v12, v1
                                        ; implicit-def: $vgpr10
	s_and_saveexec_b64 s[12:13], vcc
; %bb.116:
	s_mov_b64 s[8:9], exec
	v_add_u32_e32 v10, v8, v6
; %bb.117:
	s_or_b64 exec, exec, s[12:13]
	s_and_b64 s[8:9], s[8:9], exec
	s_or_saveexec_b64 s[10:11], s[10:11]
	v_mov_b32_e32 v6, 0
	s_xor_b64 exec, exec, s[10:11]
	s_cbranch_execz .LBB42_93
.LBB42_118:
	ds_read_b64 v[11:12], v4 offset:528
	v_lshl_add_u32 v15, v5, 3, v26
	v_add_u32_e32 v10, 24, v15
	s_or_b64 s[8:9], s[8:9], exec
	s_waitcnt lgkmcnt(0)
	v_xor_b32_e32 v6, 0x80000000, v12
	ds_write_b32 v15, v11 offset:24
	s_or_b64 exec, exec, s[10:11]
	s_and_saveexec_b64 s[10:11], s[8:9]
	s_cbranch_execnz .LBB42_94
	s_branch .LBB42_95
.LBB42_119:
                                        ; implicit-def: $vgpr6
                                        ; implicit-def: $vgpr10
                                        ; implicit-def: $vgpr4
                                        ; implicit-def: $vgpr11
                                        ; implicit-def: $vgpr3
                                        ; implicit-def: $vgpr12
                                        ; implicit-def: $vgpr13
.LBB42_120:
	v_or_b32_e32 v1, 32, v1
	v_lshlrev_b32_e32 v3, 3, v1
	v_sub_co_u32_e32 v3, vcc, v23, v3
	s_ashr_i32 s25, s24, 31
	v_subbrev_co_u32_e32 v4, vcc, 0, v24, vcc
	s_lshl_b64 s[12:13], s[24:25], 3
	v_mov_b32_e32 v6, s13
	v_add_co_u32_e32 v3, vcc, s12, v3
	v_addc_co_u32_e32 v4, vcc, v4, v6, vcc
	v_add_co_u32_e32 v3, vcc, -8, v3
	v_addc_co_u32_e32 v4, vcc, -1, v4, vcc
	v_cmp_gt_i32_e64 s[8:9], s24, v1
	v_cndmask_b32_e64 v4, v4, v24, s[8:9]
	v_cndmask_b32_e64 v3, v3, v23, s[8:9]
	v_cmp_le_i32_e32 vcc, s24, v7
	v_mul_u32_u24_e32 v6, 0x108, v7
	s_and_saveexec_b64 s[14:15], vcc
	s_xor_b64 s[14:15], exec, s[14:15]
; %bb.121:
	v_mov_b32_e32 v10, 0
	v_add_u32_e32 v1, v8, v6
	v_mov_b32_e32 v11, v10
	ds_write_b64 v1, v[10:11]
; %bb.122:
	s_andn2_saveexec_b64 s[14:15], s[14:15]
	s_cbranch_execz .LBB42_124
; %bb.123:
	flat_load_dwordx2 v[10:11], v[3:4]
	v_add_u32_e32 v1, v8, v6
	s_waitcnt vmcnt(0) lgkmcnt(0)
	ds_write_b64 v1, v[10:11]
.LBB42_124:
	s_or_b64 exec, exec, s[14:15]
	v_add_u32_e32 v10, 8, v7
	v_cmp_le_i32_e32 vcc, s24, v10
	s_and_saveexec_b64 s[14:15], vcc
	s_xor_b64 s[14:15], exec, s[14:15]
; %bb.125:
	v_mov_b32_e32 v11, 0
	v_add_u32_e32 v1, v6, v8
	v_mov_b32_e32 v12, v11
	ds_write_b64 v1, v[11:12] offset:2112
; %bb.126:
	s_andn2_saveexec_b64 s[14:15], s[14:15]
	s_cbranch_execz .LBB42_128
; %bb.127:
	s_lshl_b32 s16, s28, 3
	s_ashr_i32 s17, s16, 31
	s_lshl_b64 s[16:17], s[16:17], 3
	v_mov_b32_e32 v1, s17
	v_add_co_u32_e32 v11, vcc, s16, v3
	v_addc_co_u32_e32 v12, vcc, v4, v1, vcc
	flat_load_dwordx2 v[11:12], v[11:12]
	v_add_u32_e32 v1, v6, v8
	s_waitcnt vmcnt(0) lgkmcnt(0)
	ds_write_b64 v1, v[11:12] offset:2112
.LBB42_128:
	s_or_b64 exec, exec, s[14:15]
	v_add_u32_e32 v11, 16, v7
	v_cmp_le_i32_e32 vcc, s24, v11
	s_and_saveexec_b64 s[14:15], vcc
	s_xor_b64 s[14:15], exec, s[14:15]
; %bb.129:
	v_mov_b32_e32 v12, 0
	v_add_u32_e32 v1, v6, v8
	v_mov_b32_e32 v13, v12
	ds_write_b64 v1, v[12:13] offset:4224
; %bb.130:
	s_andn2_saveexec_b64 s[14:15], s[14:15]
	s_cbranch_execz .LBB42_132
; %bb.131:
	s_lshl_b32 s16, s28, 4
	s_ashr_i32 s17, s16, 31
	s_lshl_b64 s[16:17], s[16:17], 3
	v_mov_b32_e32 v1, s17
	v_add_co_u32_e32 v12, vcc, s16, v3
	v_addc_co_u32_e32 v13, vcc, v4, v1, vcc
	flat_load_dwordx2 v[12:13], v[12:13]
	v_add_u32_e32 v1, v6, v8
	s_waitcnt vmcnt(0) lgkmcnt(0)
	ds_write_b64 v1, v[12:13] offset:4224
.LBB42_132:
	s_or_b64 exec, exec, s[14:15]
	v_add_u32_e32 v12, 24, v7
	v_cmp_le_i32_e32 vcc, s24, v12
                                        ; implicit-def: $vgpr13
	s_and_saveexec_b64 s[14:15], vcc
	s_xor_b64 s[14:15], exec, s[14:15]
; %bb.133:
	v_add_u32_e32 v13, 0x18c0, v6
	v_mov_b32_e32 v14, 0
	v_add_u32_e32 v1, v8, v13
	v_mov_b32_e32 v15, v14
	ds_write_b64 v1, v[14:15]
; %bb.134:
	s_andn2_saveexec_b64 s[14:15], s[14:15]
	s_cbranch_execz .LBB42_136
; %bb.135:
	s_mul_i32 s16, s28, 24
	s_ashr_i32 s17, s16, 31
	s_lshl_b64 s[16:17], s[16:17], 3
	v_mov_b32_e32 v1, s17
	v_add_co_u32_e32 v13, vcc, s16, v3
	v_addc_co_u32_e32 v14, vcc, v4, v1, vcc
	flat_load_dwordx2 v[14:15], v[13:14]
	v_add_u32_e32 v13, 0x18c0, v6
	v_add_u32_e32 v1, v8, v13
	s_waitcnt vmcnt(0) lgkmcnt(0)
	ds_write_b64 v1, v[14:15]
.LBB42_136:
	s_or_b64 exec, exec, s[14:15]
	v_add_co_u32_e32 v1, vcc, v3, v8
	v_addc_co_u32_e32 v3, vcc, 0, v4, vcc
	v_mov_b32_e32 v4, s13
	v_subrev_co_u32_e32 v1, vcc, s12, v1
	v_subb_co_u32_e32 v3, vcc, v3, v4, vcc
	v_add_co_u32_e32 v1, vcc, 0x108, v1
	v_addc_co_u32_e32 v3, vcc, 0, v3, vcc
	v_cndmask_b32_e64 v24, v3, v24, s[8:9]
	v_cndmask_b32_e64 v23, v1, v23, s[8:9]
	v_add_u32_e32 v4, 0x840, v6
	v_add_u32_e32 v3, 0x1080, v6
.LBB42_137:
	v_add_u32_e32 v1, v8, v6
	s_waitcnt lgkmcnt(0)
	s_barrier
	v_lshlrev_b32_e32 v6, 3, v7
	ds_read_b64 v[15:16], v1
	ds_read_b64 v[17:18], v6 offset:9088
	v_add_u32_e32 v1, v8, v4
	v_lshlrev_b32_e32 v4, 3, v10
	ds_read_b64 v[28:29], v1
	ds_read_b64 v[30:31], v4 offset:9088
	v_add_u32_e32 v3, v8, v3
	;; [unrolled: 4-line block ×3, first 2 shown]
	v_lshlrev_b32_e32 v6, 3, v12
	ds_read2_b32 v[40:41], v3 offset1:1
	ds_read_b64 v[42:43], v6 offset:9088
	s_waitcnt lgkmcnt(6)
	v_mul_f32_e32 v1, v18, v16
	v_fma_f32 v1, v17, v15, -v1
	s_waitcnt lgkmcnt(4)
	v_mul_f32_e32 v4, v31, v29
	v_add_f32_e32 v1, 0, v1
	v_fma_f32 v4, v30, v28, -v4
	s_waitcnt lgkmcnt(2)
	v_mul_f32_e32 v3, v39, v33
	v_add_f32_e32 v1, v1, v4
	v_fma_f32 v3, v38, v32, -v3
	v_add_f32_e32 v1, v1, v3
	s_waitcnt lgkmcnt(0)
	v_mul_f32_e32 v3, v43, v41
	v_fma_f32 v3, v42, v40, -v3
	v_mul_f32_e32 v34, v17, v16
	v_add_f32_e32 v44, v1, v3
	v_lshl_add_u32 v1, v5, 3, v26
	v_fmac_f32_e32 v34, v18, v15
	v_mul_f32_e32 v29, v30, v29
	ds_read_b128 v[11:14], v9 offset:256
	ds_read_b128 v[3:6], v9 offset:272
	ds_read2_b64 v[15:18], v1 offset1:1
	ds_read2_b64 v[7:10], v1 offset0:2 offset1:3
	v_add_f32_e32 v1, 0, v34
	v_fmac_f32_e32 v29, v31, v28
	v_mul_f32_e32 v28, v38, v33
	v_add_f32_e32 v1, v1, v29
	v_fmac_f32_e32 v28, v39, v32
	v_add_f32_e32 v1, v1, v28
	v_mul_f32_e32 v28, v42, v41
	v_fmac_f32_e32 v28, v43, v40
	v_add_f32_e32 v45, v1, v28
	s_waitcnt lgkmcnt(0)
	s_barrier
	ds_write_b64 v27, v[44:45]
	s_waitcnt lgkmcnt(0)
	s_barrier
	s_and_saveexec_b64 s[8:9], s[10:11]
	s_cbranch_execz .LBB42_139
; %bb.138:
	ds_read2_b64 v[28:31], v26 offset1:1
	ds_read2_b64 v[38:41], v26 offset0:2 offset1:3
	ds_read2_b64 v[42:45], v26 offset0:4 offset1:5
	s_waitcnt lgkmcnt(2)
	v_add_f32_e32 v1, v36, v28
	v_add_f32_e32 v28, v37, v29
	;; [unrolled: 1-line block ×3, first 2 shown]
	s_waitcnt lgkmcnt(1)
	v_add_f32_e32 v28, v28, v39
	v_add_f32_e32 v1, v1, v30
	;; [unrolled: 1-line block ×3, first 2 shown]
	ds_read2_b64 v[28:31], v26 offset0:6 offset1:7
	v_add_f32_e32 v1, v1, v38
	v_add_f32_e32 v1, v1, v40
	s_waitcnt lgkmcnt(1)
	v_add_f32_e32 v1, v1, v42
	v_add_f32_e32 v32, v32, v43
	;; [unrolled: 1-line block ×4, first 2 shown]
	s_waitcnt lgkmcnt(0)
	v_add_f32_e32 v1, v1, v28
	v_add_f32_e32 v28, v32, v29
	v_add_f32_e32 v36, v1, v30
	v_add_f32_e32 v37, v28, v31
.LBB42_139:
	s_or_b64 exec, exec, s[8:9]
	v_mul_f32_e32 v1, v16, v12
	v_fmac_f32_e32 v1, v15, v11
	v_mul_f32_e32 v11, v16, v11
	v_fma_f32 v11, v15, v12, -v11
	v_mul_f32_e32 v12, v18, v14
	v_add_f32_e32 v1, 0, v1
	v_fmac_f32_e32 v12, v17, v13
	v_mul_f32_e32 v13, v18, v13
	v_add_f32_e32 v1, v1, v12
	v_mul_f32_e32 v12, v8, v4
	v_add_f32_e32 v11, 0, v11
	v_fma_f32 v13, v17, v14, -v13
	v_fmac_f32_e32 v12, v7, v3
	v_mul_f32_e32 v3, v8, v3
	v_add_f32_e32 v11, v11, v13
	v_fma_f32 v3, v7, v4, -v3
	v_add_f32_e32 v4, v11, v3
	v_mul_f32_e32 v3, v10, v6
	v_fmac_f32_e32 v3, v9, v5
	v_mul_f32_e32 v5, v10, v5
	v_add_f32_e32 v1, v1, v12
	v_fma_f32 v5, v9, v6, -v5
	v_add_f32_e32 v3, v1, v3
	v_add_f32_e32 v4, v4, v5
	s_barrier
	ds_write_b64 v27, v[3:4]
	s_waitcnt lgkmcnt(0)
	s_barrier
	s_and_saveexec_b64 s[8:9], s[4:5]
	s_cbranch_execz .LBB42_141
; %bb.140:
	ds_read2_b64 v[3:6], v26 offset1:1
	ds_read2_b64 v[7:10], v26 offset0:2 offset1:3
	ds_read2_b64 v[11:14], v26 offset0:4 offset1:5
	s_waitcnt lgkmcnt(2)
	v_add_f32_e32 v1, v36, v3
	v_add_f32_e32 v3, v37, v4
	;; [unrolled: 1-line block ×4, first 2 shown]
	s_waitcnt lgkmcnt(1)
	v_add_f32_e32 v3, v3, v8
	v_add_f32_e32 v1, v1, v7
	;; [unrolled: 1-line block ×3, first 2 shown]
	ds_read2_b64 v[3:6], v26 offset0:6 offset1:7
	v_add_f32_e32 v1, v1, v9
	s_waitcnt lgkmcnt(1)
	v_add_f32_e32 v1, v1, v11
	v_add_f32_e32 v7, v7, v12
	;; [unrolled: 1-line block ×4, first 2 shown]
	s_waitcnt lgkmcnt(0)
	v_add_f32_e32 v1, v1, v3
	v_add_f32_e32 v3, v7, v4
	;; [unrolled: 1-line block ×4, first 2 shown]
.LBB42_141:
	s_or_b64 exec, exec, s[8:9]
	s_mul_hi_u32 s4, s21, s20
	s_mul_i32 s42, s42, s20
	s_add_i32 s4, s4, s42
	s_mul_i32 s8, s21, s20
	s_mul_i32 s4, s4, s33
	s_mul_hi_u32 s5, s8, s33
	s_add_i32 s5, s5, s4
	s_mul_i32 s4, s8, s33
	s_lshl_b64 s[4:5], s[4:5], 3
	s_add_u32 s8, s22, s4
	s_mul_i32 s4, s21, s6
	s_addc_u32 s9, s23, s5
	s_ashr_i32 s5, s4, 31
	s_lshl_b64 s[4:5], s[4:5], 3
	s_add_u32 s16, s8, s4
	v_cmp_le_i32_e32 vcc, s24, v0
	s_addc_u32 s17, s9, s5
	s_and_b64 s[4:5], s[34:35], vcc
	s_cmp_lt_i32 s6, 1
	v_lshlrev_b32_e32 v72, 3, v0
	s_barrier
	s_cbranch_scc1 .LBB42_148
; %bb.142:
	s_mul_i32 s8, s7, s26
	s_ashr_i32 s9, s8, 31
	s_lshl_b64 s[8:9], s[8:9], 3
	v_mov_b32_e32 v1, s9
	v_subrev_co_u32_e32 v73, vcc, s8, v19
	v_subb_co_u32_e32 v74, vcc, v20, v1, vcc
	v_mov_b32_e32 v1, s31
	v_subrev_co_u32_e32 v3, vcc, s30, v23
	v_mul_lo_u32 v4, v2, s28
	v_subb_co_u32_e32 v1, vcc, v24, v1, vcc
	v_add_co_u32_e32 v3, vcc, 0xffffff00, v3
	v_addc_co_u32_e32 v1, vcc, -1, v1, vcc
	v_sub_co_u32_e32 v7, vcc, v3, v21
	v_lshl_add_u32 v3, v4, 2, v0
	v_ashrrev_i32_e32 v4, 31, v3
	v_lshlrev_b64 v[3:4], 3, v[3:4]
	v_subb_co_u32_e32 v1, vcc, v1, v22, vcc
	v_add_co_u32_e32 v3, vcc, v7, v3
	v_addc_co_u32_e32 v4, vcc, v1, v4, vcc
	v_sub_co_u32_e32 v7, vcc, v3, v72
	s_ashr_i32 s25, s24, 31
	v_subbrev_co_u32_e32 v8, vcc, 0, v4, vcc
	s_lshl_b64 s[8:9], s[24:25], 3
	v_mov_b32_e32 v9, s9
	v_add_co_u32_e32 v7, vcc, s8, v7
	v_addc_co_u32_e32 v8, vcc, v8, v9, vcc
	v_add_co_u32_e32 v7, vcc, -8, v7
	v_lshrrev_b32_e32 v5, 4, v25
	v_cndmask_b32_e64 v3, v3, v7, s[4:5]
	v_mov_b32_e32 v7, 0x2180
	s_movk_i32 s8, 0x860
	v_and_b32_e32 v6, 15, v0
	v_lshl_add_u32 v76, v2, 5, v7
	v_mad_u32_u24 v78, v2, s8, v72
	v_lshlrev_b32_e32 v7, 5, v5
	s_movk_i32 s8, 0x218
	v_mad_u32_u24 v79, v6, s8, v7
	v_and_b32_e32 v7, 48, v0
	v_lshlrev_b32_e32 v7, 3, v7
	v_mad_u32_u24 v80, v6, s8, v7
	v_or_b32_e32 v7, 0x78, v72
	s_ashr_i32 s29, s28, 31
	v_addc_co_u32_e32 v8, vcc, -1, v8, vcc
	v_mul_i32_i24_e32 v5, 0xffffffe8, v5
	v_mad_u32_u24 v81, v6, s8, v7
	s_lshl_b64 s[10:11], s[28:29], 3
	s_mul_hi_i32 s8, s28, 0x68
	v_mov_b32_e32 v1, 0
	v_cndmask_b32_e64 v4, v4, v8, s[4:5]
	s_lshl_b32 s7, s7, 6
	v_add_u32_e32 v75, 0x2180, v72
	v_add_u32_e32 v77, 0x2380, v72
	v_cmp_gt_u32_e32 vcc, 64, v25
	s_mul_i32 s18, s28, 0x68
	s_mov_b32 s12, 0
	v_mov_b32_e32 v82, s11
	v_mov_b32_e32 v83, s8
	v_add_u32_e32 v84, v79, v5
	s_branch .LBB42_144
.LBB42_143:                             ;   in Loop: Header=BB42_144 Depth=1
	s_or_b64 exec, exec, s[14:15]
	v_mul_f32_e32 v85, v39, v8
	v_fma_f32 v85, v38, v7, -v85
	v_mul_f32_e32 v8, v38, v8
	v_mul_f32_e32 v38, v41, v10
	v_add_f32_e32 v36, v36, v85
	v_fma_f32 v38, v40, v9, -v38
	v_mul_f32_e32 v10, v40, v10
	v_add_f32_e32 v36, v36, v38
	v_mul_f32_e32 v38, v43, v4
	v_fmac_f32_e32 v8, v39, v7
	v_fma_f32 v38, v42, v3, -v38
	v_mul_f32_e32 v4, v42, v4
	v_add_f32_e32 v7, v37, v8
	v_fmac_f32_e32 v10, v41, v9
	v_add_f32_e32 v36, v36, v38
	v_mul_f32_e32 v38, v45, v6
	v_mul_f32_e32 v6, v44, v6
	v_add_f32_e32 v7, v7, v10
	v_fmac_f32_e32 v4, v43, v3
	v_fma_f32 v38, v44, v5, -v38
	v_add_f32_e32 v3, v7, v4
	v_fmac_f32_e32 v6, v45, v5
	v_mul_f32_e32 v4, v47, v16
	v_add_f32_e32 v36, v36, v38
	v_add_f32_e32 v3, v3, v6
	v_fma_f32 v4, v46, v15, -v4
	v_mul_f32_e32 v6, v51, v18
	v_add_f32_e32 v4, v36, v4
	v_fma_f32 v6, v50, v17, -v6
	v_add_f32_e32 v4, v4, v6
	v_mul_f32_e32 v6, v49, v12
	v_mul_f32_e32 v5, v46, v16
	v_fma_f32 v6, v48, v11, -v6
	v_add_f32_e32 v4, v4, v6
	v_mul_f32_e32 v6, v53, v14
	v_fmac_f32_e32 v5, v47, v15
	v_fma_f32 v6, v52, v13, -v6
	v_add_f32_e32 v3, v3, v5
	v_mul_f32_e32 v5, v59, v24
	v_add_f32_e32 v4, v4, v6
	v_fma_f32 v5, v58, v23, -v5
	v_add_f32_e32 v4, v4, v5
	v_mul_f32_e32 v5, v55, v26
	v_mul_f32_e32 v7, v50, v18
	v_fma_f32 v5, v54, v25, -v5
	v_mul_f32_e32 v8, v48, v12
	v_fmac_f32_e32 v7, v51, v17
	v_add_f32_e32 v4, v4, v5
	v_mul_f32_e32 v5, v57, v20
	v_mul_f32_e32 v9, v52, v14
	v_add_f32_e32 v3, v3, v7
	v_fmac_f32_e32 v8, v49, v11
	v_fma_f32 v5, v56, v19, -v5
	v_add_f32_e32 v3, v3, v8
	v_fmac_f32_e32 v9, v53, v13
	v_mul_f32_e32 v6, v58, v24
	v_add_f32_e32 v4, v4, v5
	v_mul_f32_e32 v5, v61, v22
	v_add_f32_e32 v3, v3, v9
	v_mul_f32_e32 v7, v54, v26
	v_fma_f32 v5, v60, v21, -v5
	v_fmac_f32_e32 v6, v59, v23
	v_mul_f32_e32 v8, v56, v20
	v_add_f32_e32 v4, v4, v5
	v_add_f32_e32 v3, v3, v6
	v_fmac_f32_e32 v7, v55, v25
	v_mul_f32_e32 v5, v67, v32
	v_mul_f32_e32 v9, v60, v22
	v_add_f32_e32 v3, v3, v7
	v_fmac_f32_e32 v8, v57, v19
	v_fma_f32 v5, v66, v31, -v5
	v_add_f32_e32 v3, v3, v8
	v_fmac_f32_e32 v9, v61, v21
	v_mul_f32_e32 v6, v66, v32
	v_add_f32_e32 v4, v4, v5
	v_mul_f32_e32 v5, v65, v34
	v_add_f32_e32 v3, v3, v9
	v_fma_f32 v5, v64, v33, -v5
	v_mul_f32_e32 v7, v64, v34
	v_fmac_f32_e32 v6, v67, v31
	v_add_f32_e32 v4, v4, v5
	v_mul_f32_e32 v5, v69, v28
	v_mul_f32_e32 v8, v68, v28
	v_fmac_f32_e32 v7, v65, v33
	v_add_f32_e32 v3, v3, v6
	v_fma_f32 v5, v68, v27, -v5
	v_mul_f32_e32 v9, v70, v30
	v_fmac_f32_e32 v8, v69, v27
	v_add_f32_e32 v3, v3, v7
	v_add_f32_e32 v4, v4, v5
	v_mul_f32_e32 v5, v71, v30
	v_fmac_f32_e32 v9, v71, v29
	v_add_f32_e32 v3, v3, v8
	v_fma_f32 v5, v70, v29, -v5
	v_add_f32_e32 v37, v3, v9
	s_add_i32 s6, s6, -1
	s_add_i32 s12, s12, s7
	v_add_co_u32_e64 v3, s[8:9], s18, v62
	v_add_f32_e32 v36, v4, v5
	v_add_u32_e32 v0, 64, v0
	s_cmp_eq_u32 s6, 0
	v_addc_co_u32_e64 v4, s[8:9], v63, v83, s[8:9]
	s_waitcnt vmcnt(0)
	s_barrier
	s_cbranch_scc1 .LBB42_148
.LBB42_144:                             ; =>This Inner Loop Header: Depth=1
	s_and_saveexec_b64 s[14:15], s[2:3]
	s_cbranch_execz .LBB42_146
; %bb.145:                              ;   in Loop: Header=BB42_144 Depth=1
	s_ashr_i32 s13, s12, 31
	s_lshl_b64 s[8:9], s[12:13], 3
	v_mov_b32_e32 v6, s9
	v_add_co_u32_e64 v5, s[8:9], s8, v73
	v_addc_co_u32_e64 v6, s[8:9], v74, v6, s[8:9]
	flat_load_dwordx2 v[5:6], v[5:6]
	s_waitcnt vmcnt(0) lgkmcnt(0)
	ds_write_b64 v75, v[5:6]
.LBB42_146:                             ;   in Loop: Header=BB42_144 Depth=1
	s_or_b64 exec, exec, s[14:15]
	s_waitcnt lgkmcnt(0)
	s_barrier
	flat_load_dwordx2 v[38:39], v[3:4]
	v_add_co_u32_e64 v3, s[8:9], s10, v3
	v_addc_co_u32_e64 v4, s[8:9], v4, v82, s[8:9]
	flat_load_dwordx2 v[40:41], v[3:4]
	v_add_co_u32_e64 v3, s[8:9], s10, v3
	v_addc_co_u32_e64 v4, s[8:9], v4, v82, s[8:9]
	v_add_co_u32_e64 v11, s[8:9], s10, v3
	v_addc_co_u32_e64 v12, s[8:9], v4, v82, s[8:9]
	flat_load_dwordx2 v[42:43], v[3:4]
	flat_load_dwordx2 v[44:45], v[11:12]
	ds_read_b64 v[13:14], v77
	ds_read_b128 v[7:10], v76
	ds_read_b128 v[3:6], v76 offset:16
	v_add_co_u32_e64 v11, s[8:9], s18, v11
	v_addc_co_u32_e64 v12, s[8:9], v12, v83, s[8:9]
	v_add_co_u32_e64 v15, s[8:9], s10, v11
	v_addc_co_u32_e64 v16, s[8:9], v12, v82, s[8:9]
	;; [unrolled: 2-line block ×3, first 2 shown]
	s_waitcnt vmcnt(0) lgkmcnt(0)
	v_mul_f32_e32 v19, v39, v14
	v_mul_f32_e32 v20, v39, v13
	v_fmac_f32_e32 v19, v38, v13
	v_fma_f32 v20, v38, v14, -v20
	v_mul_f32_e32 v21, v41, v14
	v_mul_f32_e32 v22, v41, v13
	v_fmac_f32_e32 v21, v40, v13
	v_fma_f32 v22, v40, v14, -v22
	ds_write2_b64 v78, v[19:20], v[21:22] offset1:67
	v_mul_f32_e32 v23, v43, v14
	v_mul_f32_e32 v24, v43, v13
	;; [unrolled: 1-line block ×4, first 2 shown]
	v_fmac_f32_e32 v23, v42, v13
	v_fma_f32 v24, v42, v14, -v24
	v_fmac_f32_e32 v19, v44, v13
	v_fma_f32 v20, v44, v14, -v20
	ds_write2_b64 v78, v[23:24], v[19:20] offset0:134 offset1:201
	s_waitcnt lgkmcnt(0)
	s_barrier
	ds_read2_b64 v[27:30], v79 offset1:1
	ds_read2_b64 v[31:34], v79 offset0:2 offset1:3
	s_waitcnt lgkmcnt(0)
	s_barrier
	flat_load_dwordx2 v[46:47], v[11:12]
	flat_load_dwordx2 v[50:51], v[15:16]
	;; [unrolled: 1-line block ×3, first 2 shown]
	v_add_co_u32_e64 v11, s[8:9], s10, v17
	v_addc_co_u32_e64 v12, s[8:9], v18, v82, s[8:9]
	flat_load_dwordx2 v[52:53], v[11:12]
	ds_read_b64 v[23:24], v77
	v_add_co_u32_e64 v19, s[8:9], s18, v11
	v_addc_co_u32_e64 v20, s[8:9], v12, v83, s[8:9]
	v_add_co_u32_e64 v21, s[8:9], s10, v19
	v_addc_co_u32_e64 v22, s[8:9], v20, v82, s[8:9]
	;; [unrolled: 2-line block ×3, first 2 shown]
	ds_read_b128 v[15:18], v76 offset:128
	ds_read_b128 v[11:14], v76 offset:144
	v_add_f32_e32 v27, 0, v27
	v_add_f32_e32 v28, 0, v28
	;; [unrolled: 1-line block ×6, first 2 shown]
	s_waitcnt vmcnt(0) lgkmcnt(0)
	v_mul_f32_e32 v54, v47, v24
	v_mul_f32_e32 v55, v47, v23
	;; [unrolled: 1-line block ×6, first 2 shown]
	v_fma_f32 v55, v46, v24, -v55
	v_mul_f32_e32 v61, v53, v23
	v_mul_f32_e32 v60, v53, v24
	v_fma_f32 v57, v50, v24, -v57
	v_fma_f32 v59, v48, v24, -v59
	v_fmac_f32_e32 v54, v46, v23
	v_fmac_f32_e32 v56, v50, v23
	;; [unrolled: 1-line block ×3, first 2 shown]
	v_fma_f32 v61, v52, v24, -v61
	v_fmac_f32_e32 v60, v52, v23
	ds_write2_b64 v78, v[54:55], v[56:57] offset1:67
	ds_write2_b64 v78, v[58:59], v[60:61] offset0:134 offset1:201
	s_waitcnt lgkmcnt(0)
	s_barrier
	ds_read2_b64 v[85:88], v79 offset1:1
	ds_read2_b64 v[89:92], v79 offset0:2 offset1:3
	s_waitcnt lgkmcnt(0)
	s_barrier
	flat_load_dwordx2 v[58:59], v[19:20]
	flat_load_dwordx2 v[54:55], v[21:22]
	;; [unrolled: 1-line block ×3, first 2 shown]
	v_add_co_u32_e64 v19, s[8:9], s10, v25
	v_addc_co_u32_e64 v20, s[8:9], v26, v82, s[8:9]
	flat_load_dwordx2 v[60:61], v[19:20]
	ds_read_b64 v[64:65], v77
	v_add_co_u32_e64 v62, s[8:9], s18, v19
	v_addc_co_u32_e64 v63, s[8:9], v20, v83, s[8:9]
	v_add_co_u32_e64 v70, s[8:9], s10, v62
	v_addc_co_u32_e64 v71, s[8:9], v63, v82, s[8:9]
	;; [unrolled: 2-line block ×3, first 2 shown]
	ds_read_b128 v[23:26], v76 offset:256
	ds_read_b128 v[19:22], v76 offset:272
	s_waitcnt vmcnt(0) lgkmcnt(0)
	v_mul_f32_e32 v67, v59, v64
	v_mul_f32_e32 v66, v59, v65
	;; [unrolled: 1-line block ×6, first 2 shown]
	v_fma_f32 v67, v58, v65, -v67
	v_mul_f32_e32 v96, v61, v64
	v_mul_f32_e32 v95, v61, v65
	v_fma_f32 v69, v54, v65, -v69
	v_fma_f32 v94, v56, v65, -v94
	;; [unrolled: 1-line block ×3, first 2 shown]
	v_fmac_f32_e32 v66, v58, v64
	v_fmac_f32_e32 v68, v54, v64
	;; [unrolled: 1-line block ×4, first 2 shown]
	ds_write2_b64 v78, v[66:67], v[68:69] offset1:67
	ds_write2_b64 v78, v[93:94], v[95:96] offset0:134 offset1:201
	s_waitcnt lgkmcnt(0)
	s_barrier
	ds_read2_b64 v[93:96], v79 offset1:1
	ds_read2_b64 v[97:100], v79 offset0:2 offset1:3
	s_waitcnt lgkmcnt(0)
	s_barrier
	flat_load_dwordx2 v[66:67], v[62:63]
	flat_load_dwordx2 v[64:65], v[70:71]
	;; [unrolled: 1-line block ×3, first 2 shown]
	v_add_co_u32_e64 v62, s[8:9], s10, v101
	v_addc_co_u32_e64 v63, s[8:9], v102, v82, s[8:9]
	flat_load_dwordx2 v[70:71], v[62:63]
	v_add_f32_e32 v101, v27, v33
	v_add_f32_e32 v102, v28, v34
	;; [unrolled: 1-line block ×10, first 2 shown]
	ds_read_b64 v[85:86], v77
	ds_read_b128 v[31:34], v76 offset:384
	ds_read_b128 v[27:30], v76 offset:400
	v_add_f32_e32 v87, 0, v93
	v_add_f32_e32 v88, 0, v94
	;; [unrolled: 1-line block ×8, first 2 shown]
	s_waitcnt vmcnt(0) lgkmcnt(0)
	v_mul_f32_e32 v88, v67, v85
	v_mul_f32_e32 v87, v67, v86
	;; [unrolled: 1-line block ×6, first 2 shown]
	v_fma_f32 v88, v66, v86, -v88
	v_mul_f32_e32 v96, v71, v85
	v_mul_f32_e32 v95, v71, v86
	v_fma_f32 v90, v64, v86, -v90
	v_fmac_f32_e32 v87, v66, v85
	v_fmac_f32_e32 v89, v64, v85
	v_fma_f32 v92, v68, v86, -v92
	v_fmac_f32_e32 v91, v68, v85
	v_fma_f32 v96, v70, v86, -v96
	v_fmac_f32_e32 v95, v70, v85
	ds_write2_b64 v78, v[87:88], v[89:90] offset1:67
	ds_write2_b64 v78, v[91:92], v[95:96] offset0:134 offset1:201
	s_waitcnt lgkmcnt(0)
	s_barrier
	ds_read2_b64 v[85:88], v79 offset1:1
	ds_read2_b64 v[89:92], v79 offset0:2 offset1:3
	s_waitcnt lgkmcnt(0)
	s_barrier
	v_add_f32_e32 v85, 0, v85
	v_add_f32_e32 v86, 0, v86
	;; [unrolled: 1-line block ×8, first 2 shown]
	ds_write2_b64 v84, v[101:102], v[103:104] offset1:16
	ds_write2_b64 v84, v[93:94], v[85:86] offset0:32 offset1:48
	s_waitcnt lgkmcnt(0)
	s_barrier
	s_and_saveexec_b64 s[14:15], vcc
	s_cbranch_execz .LBB42_143
; %bb.147:                              ;   in Loop: Header=BB42_144 Depth=1
	ds_read_b64 v[93:94], v80
	ds_read2_b64 v[85:88], v80 offset0:1 offset1:2
	ds_read2_b64 v[89:92], v80 offset0:3 offset1:4
	s_waitcnt lgkmcnt(1)
	v_add_f32_e32 v85, v85, v93
	v_add_f32_e32 v86, v86, v94
	;; [unrolled: 1-line block ×4, first 2 shown]
	ds_read2_b64 v[85:88], v80 offset0:5 offset1:6
	s_waitcnt lgkmcnt(1)
	v_add_f32_e32 v89, v93, v89
	v_add_f32_e32 v90, v94, v90
	;; [unrolled: 1-line block ×4, first 2 shown]
	s_waitcnt lgkmcnt(0)
	v_add_f32_e32 v85, v89, v85
	ds_read2_b64 v[89:92], v80 offset0:7 offset1:8
	v_add_f32_e32 v86, v93, v86
	v_add_f32_e32 v93, v85, v87
	;; [unrolled: 1-line block ×3, first 2 shown]
	ds_read2_b64 v[85:88], v80 offset0:9 offset1:10
	s_waitcnt lgkmcnt(1)
	v_add_f32_e32 v89, v93, v89
	v_add_f32_e32 v90, v94, v90
	;; [unrolled: 1-line block ×4, first 2 shown]
	s_waitcnt lgkmcnt(0)
	v_add_f32_e32 v85, v89, v85
	ds_read2_b64 v[89:92], v80 offset0:11 offset1:12
	v_add_f32_e32 v86, v93, v86
	v_add_f32_e32 v93, v85, v87
	;; [unrolled: 1-line block ×3, first 2 shown]
	ds_read2_b64 v[85:88], v80 offset0:13 offset1:14
	s_waitcnt lgkmcnt(1)
	v_add_f32_e32 v89, v93, v89
	v_add_f32_e32 v90, v94, v90
	;; [unrolled: 1-line block ×4, first 2 shown]
	ds_read_b64 v[89:90], v81
	s_waitcnt lgkmcnt(1)
	v_add_f32_e32 v85, v91, v85
	v_add_f32_e32 v86, v92, v86
	;; [unrolled: 1-line block ×4, first 2 shown]
	v_lshlrev_b64 v[87:88], 3, v[0:1]
	s_waitcnt lgkmcnt(0)
	v_add_f32_e32 v85, v85, v89
	v_mov_b32_e32 v89, s17
	v_add_co_u32_e64 v87, s[8:9], s16, v87
	v_add_f32_e32 v86, v86, v90
	v_addc_co_u32_e64 v88, s[8:9], v89, v88, s[8:9]
	global_store_dwordx2 v[87:88], v[85:86], off
	s_branch .LBB42_143
.LBB42_148:
	s_movk_i32 s2, 0x218
	v_mad_u32_u24 v0, v2, s2, v72
	s_nor_b64 s[0:1], s[0:1], s[4:5]
	ds_write_b64 v0, v[36:37]
	s_waitcnt lgkmcnt(0)
	s_barrier
	s_and_saveexec_b64 s[2:3], s[0:1]
	s_cbranch_execz .LBB42_150
; %bb.149:
	ds_read2_b64 v[0:3], v72 offset1:67
	ds_read2_b64 v[4:7], v72 offset0:134 offset1:201
	v_ashrrev_i32_e32 v36, 31, v35
	s_waitcnt lgkmcnt(1)
	v_add_f32_e32 v0, v2, v0
	v_add_f32_e32 v1, v3, v1
	v_lshlrev_b64 v[2:3], 3, v[35:36]
	s_waitcnt lgkmcnt(0)
	v_add_f32_e32 v0, v4, v0
	v_add_f32_e32 v1, v5, v1
	v_mov_b32_e32 v4, s17
	v_add_co_u32_e32 v2, vcc, s16, v2
	v_add_f32_e32 v0, v0, v6
	v_add_f32_e32 v1, v1, v7
	v_addc_co_u32_e32 v3, vcc, v4, v3, vcc
	global_store_dwordx2 v[2:3], v[0:1], off
.LBB42_150:
	s_endpgm
	.section	.rodata,"a",@progbits
	.p2align	6, 0x0
	.amdhsa_kernel _ZL26rocblas_hemvn_kernel_lowerILb1ELi64ELi4ELi33ELi32ELi16EiPK19rocblas_complex_numIfEPKS3_PS1_EviT6_lT7_lT5_lS8_lS9_lS7_lT8_i
		.amdhsa_group_segment_fixed_size 9600
		.amdhsa_private_segment_fixed_size 0
		.amdhsa_kernarg_size 376
		.amdhsa_user_sgpr_count 6
		.amdhsa_user_sgpr_private_segment_buffer 1
		.amdhsa_user_sgpr_dispatch_ptr 0
		.amdhsa_user_sgpr_queue_ptr 0
		.amdhsa_user_sgpr_kernarg_segment_ptr 1
		.amdhsa_user_sgpr_dispatch_id 0
		.amdhsa_user_sgpr_flat_scratch_init 0
		.amdhsa_user_sgpr_private_segment_size 0
		.amdhsa_uses_dynamic_stack 0
		.amdhsa_system_sgpr_private_segment_wavefront_offset 0
		.amdhsa_system_sgpr_workgroup_id_x 1
		.amdhsa_system_sgpr_workgroup_id_y 0
		.amdhsa_system_sgpr_workgroup_id_z 1
		.amdhsa_system_sgpr_workgroup_info 0
		.amdhsa_system_vgpr_workitem_id 1
		.amdhsa_next_free_vgpr 105
		.amdhsa_next_free_sgpr 93
		.amdhsa_reserve_vcc 1
		.amdhsa_reserve_flat_scratch 0
		.amdhsa_float_round_mode_32 0
		.amdhsa_float_round_mode_16_64 0
		.amdhsa_float_denorm_mode_32 3
		.amdhsa_float_denorm_mode_16_64 3
		.amdhsa_dx10_clamp 1
		.amdhsa_ieee_mode 1
		.amdhsa_fp16_overflow 0
		.amdhsa_exception_fp_ieee_invalid_op 0
		.amdhsa_exception_fp_denorm_src 0
		.amdhsa_exception_fp_ieee_div_zero 0
		.amdhsa_exception_fp_ieee_overflow 0
		.amdhsa_exception_fp_ieee_underflow 0
		.amdhsa_exception_fp_ieee_inexact 0
		.amdhsa_exception_int_div_zero 0
	.end_amdhsa_kernel
	.section	.text._ZL26rocblas_hemvn_kernel_lowerILb1ELi64ELi4ELi33ELi32ELi16EiPK19rocblas_complex_numIfEPKS3_PS1_EviT6_lT7_lT5_lS8_lS9_lS7_lT8_i,"axG",@progbits,_ZL26rocblas_hemvn_kernel_lowerILb1ELi64ELi4ELi33ELi32ELi16EiPK19rocblas_complex_numIfEPKS3_PS1_EviT6_lT7_lT5_lS8_lS9_lS7_lT8_i,comdat
.Lfunc_end42:
	.size	_ZL26rocblas_hemvn_kernel_lowerILb1ELi64ELi4ELi33ELi32ELi16EiPK19rocblas_complex_numIfEPKS3_PS1_EviT6_lT7_lT5_lS8_lS9_lS7_lT8_i, .Lfunc_end42-_ZL26rocblas_hemvn_kernel_lowerILb1ELi64ELi4ELi33ELi32ELi16EiPK19rocblas_complex_numIfEPKS3_PS1_EviT6_lT7_lT5_lS8_lS9_lS7_lT8_i
                                        ; -- End function
	.set _ZL26rocblas_hemvn_kernel_lowerILb1ELi64ELi4ELi33ELi32ELi16EiPK19rocblas_complex_numIfEPKS3_PS1_EviT6_lT7_lT5_lS8_lS9_lS7_lT8_i.num_vgpr, 105
	.set _ZL26rocblas_hemvn_kernel_lowerILb1ELi64ELi4ELi33ELi32ELi16EiPK19rocblas_complex_numIfEPKS3_PS1_EviT6_lT7_lT5_lS8_lS9_lS7_lT8_i.num_agpr, 0
	.set _ZL26rocblas_hemvn_kernel_lowerILb1ELi64ELi4ELi33ELi32ELi16EiPK19rocblas_complex_numIfEPKS3_PS1_EviT6_lT7_lT5_lS8_lS9_lS7_lT8_i.numbered_sgpr, 46
	.set _ZL26rocblas_hemvn_kernel_lowerILb1ELi64ELi4ELi33ELi32ELi16EiPK19rocblas_complex_numIfEPKS3_PS1_EviT6_lT7_lT5_lS8_lS9_lS7_lT8_i.num_named_barrier, 0
	.set _ZL26rocblas_hemvn_kernel_lowerILb1ELi64ELi4ELi33ELi32ELi16EiPK19rocblas_complex_numIfEPKS3_PS1_EviT6_lT7_lT5_lS8_lS9_lS7_lT8_i.private_seg_size, 0
	.set _ZL26rocblas_hemvn_kernel_lowerILb1ELi64ELi4ELi33ELi32ELi16EiPK19rocblas_complex_numIfEPKS3_PS1_EviT6_lT7_lT5_lS8_lS9_lS7_lT8_i.uses_vcc, 1
	.set _ZL26rocblas_hemvn_kernel_lowerILb1ELi64ELi4ELi33ELi32ELi16EiPK19rocblas_complex_numIfEPKS3_PS1_EviT6_lT7_lT5_lS8_lS9_lS7_lT8_i.uses_flat_scratch, 0
	.set _ZL26rocblas_hemvn_kernel_lowerILb1ELi64ELi4ELi33ELi32ELi16EiPK19rocblas_complex_numIfEPKS3_PS1_EviT6_lT7_lT5_lS8_lS9_lS7_lT8_i.has_dyn_sized_stack, 0
	.set _ZL26rocblas_hemvn_kernel_lowerILb1ELi64ELi4ELi33ELi32ELi16EiPK19rocblas_complex_numIfEPKS3_PS1_EviT6_lT7_lT5_lS8_lS9_lS7_lT8_i.has_recursion, 0
	.set _ZL26rocblas_hemvn_kernel_lowerILb1ELi64ELi4ELi33ELi32ELi16EiPK19rocblas_complex_numIfEPKS3_PS1_EviT6_lT7_lT5_lS8_lS9_lS7_lT8_i.has_indirect_call, 0
	.section	.AMDGPU.csdata,"",@progbits
; Kernel info:
; codeLenInByte = 7896
; TotalNumSgprs: 50
; NumVgprs: 105
; ScratchSize: 0
; MemoryBound: 1
; FloatMode: 240
; IeeeMode: 1
; LDSByteSize: 9600 bytes/workgroup (compile time only)
; SGPRBlocks: 12
; VGPRBlocks: 26
; NumSGPRsForWavesPerEU: 97
; NumVGPRsForWavesPerEU: 105
; Occupancy: 2
; WaveLimiterHint : 1
; COMPUTE_PGM_RSRC2:SCRATCH_EN: 0
; COMPUTE_PGM_RSRC2:USER_SGPR: 6
; COMPUTE_PGM_RSRC2:TRAP_HANDLER: 0
; COMPUTE_PGM_RSRC2:TGID_X_EN: 1
; COMPUTE_PGM_RSRC2:TGID_Y_EN: 0
; COMPUTE_PGM_RSRC2:TGID_Z_EN: 1
; COMPUTE_PGM_RSRC2:TIDIG_COMP_CNT: 1
	.section	.text._ZL36rocblas_hemvn_kernel_lower_block_sumILi64EiPK19rocblas_complex_numIfEPKPS1_S1_EviT1_lS7_lT2_lT0_lPT3_i,"axG",@progbits,_ZL36rocblas_hemvn_kernel_lower_block_sumILi64EiPK19rocblas_complex_numIfEPKPS1_S1_EviT1_lS7_lT2_lT0_lPT3_i,comdat
	.globl	_ZL36rocblas_hemvn_kernel_lower_block_sumILi64EiPK19rocblas_complex_numIfEPKPS1_S1_EviT1_lS7_lT2_lT0_lPT3_i ; -- Begin function _ZL36rocblas_hemvn_kernel_lower_block_sumILi64EiPK19rocblas_complex_numIfEPKPS1_S1_EviT1_lS7_lT2_lT0_lPT3_i
	.p2align	8
	.type	_ZL36rocblas_hemvn_kernel_lower_block_sumILi64EiPK19rocblas_complex_numIfEPKPS1_S1_EviT1_lS7_lT2_lT0_lPT3_i,@function
_ZL36rocblas_hemvn_kernel_lower_block_sumILi64EiPK19rocblas_complex_numIfEPKPS1_S1_EviT1_lS7_lT2_lT0_lPT3_i: ; @_ZL36rocblas_hemvn_kernel_lower_block_sumILi64EiPK19rocblas_complex_numIfEPKPS1_S1_EviT1_lS7_lT2_lT0_lPT3_i
; %bb.0:
	s_load_dwordx8 s[12:19], s[4:5], 0x8
	s_mov_b32 s10, s7
	s_mov_b32 s11, 0
	s_waitcnt lgkmcnt(0)
	s_mul_i32 s0, s15, s7
	s_mul_hi_u32 s1, s14, s7
	s_add_i32 s1, s1, s0
	s_mul_i32 s0, s14, s7
	s_lshl_b64 s[0:1], s[0:1], 3
	s_add_u32 s0, s12, s0
	s_addc_u32 s1, s13, s1
	s_load_dwordx2 s[8:9], s[0:1], 0x0
	s_mul_i32 s0, s19, s7
	s_mul_hi_u32 s1, s18, s7
	s_add_i32 s1, s1, s0
	s_mul_i32 s0, s18, s7
	s_lshl_b64 s[0:1], s[0:1], 3
	s_add_u32 s0, s16, s0
	s_addc_u32 s1, s17, s1
	s_load_dwordx2 s[2:3], s[0:1], 0x0
	s_waitcnt lgkmcnt(0)
	s_or_b32 s0, s8, s9
	s_and_b32 s7, s0, 0x7fffffff
	s_cmp_eq_u32 s7, 0
	s_cselect_b64 s[0:1], -1, 0
	s_cmp_lg_u32 s7, 0
	s_mov_b64 s[12:13], -1
	s_cbranch_scc1 .LBB43_2
; %bb.1:
	v_cmp_neq_f32_e64 s[12:13], s2, 1.0
	v_cmp_neq_f32_e64 s[14:15], s3, 0
	s_or_b64 s[12:13], s[12:13], s[14:15]
.LBB43_2:
	s_andn2_b64 vcc, exec, s[12:13]
	s_cbranch_vccnz .LBB43_19
; %bb.3:
	s_load_dwordx4 s[20:23], s[4:5], 0x28
	s_load_dword s16, s[4:5], 0x38
	s_load_dword s12, s[4:5], 0x0
	s_lshl_b64 s[14:15], s[10:11], 3
	v_lshl_or_b32 v4, s6, 6, v0
	s_waitcnt lgkmcnt(0)
	s_add_u32 s14, s20, s14
	s_addc_u32 s15, s21, s15
	s_load_dwordx2 s[18:19], s[14:15], 0x0
	s_lshl_b64 s[20:21], s[22:23], 3
	s_mov_b64 s[14:15], -1
	s_waitcnt lgkmcnt(0)
	s_add_u32 s7, s18, s20
	s_addc_u32 s11, s19, s21
	s_andn2_b64 vcc, exec, s[0:1]
	v_cmp_gt_i32_e64 s[0:1], s12, v4
	s_cbranch_vccnz .LBB43_9
; %bb.4:
	s_and_saveexec_b64 s[14:15], s[0:1]
	s_cbranch_execz .LBB43_8
; %bb.5:
	v_mul_lo_u32 v1, s16, v4
	v_cmp_neq_f32_e64 s[0:1], s2, 0
	v_cmp_neq_f32_e64 s[18:19], s3, 0
	s_or_b64 s[0:1], s[0:1], s[18:19]
	v_ashrrev_i32_e32 v2, 31, v1
	v_lshlrev_b64 v[2:3], 3, v[1:2]
	v_mov_b32_e32 v0, 0
	s_andn2_b64 vcc, exec, s[0:1]
	v_mov_b32_e32 v1, 0
	s_cbranch_vccnz .LBB43_7
; %bb.6:
	v_mov_b32_e32 v1, s11
	v_add_co_u32_e32 v0, vcc, s7, v2
	v_addc_co_u32_e32 v1, vcc, v1, v3, vcc
	flat_load_dwordx2 v[5:6], v[0:1]
	s_waitcnt vmcnt(0) lgkmcnt(0)
	v_mul_f32_e32 v0, s3, v6
	v_mul_f32_e32 v1, s2, v6
	v_fma_f32 v0, v5, s2, -v0
	v_fmac_f32_e32 v1, s3, v5
.LBB43_7:
	v_mov_b32_e32 v5, s11
	v_add_co_u32_e32 v2, vcc, s7, v2
	v_addc_co_u32_e32 v3, vcc, v5, v3, vcc
	flat_store_dwordx2 v[2:3], v[0:1]
.LBB43_8:
	s_or_b64 exec, exec, s[14:15]
	s_mov_b64 s[14:15], 0
.LBB43_9:
	s_andn2_b64 vcc, exec, s[14:15]
	s_cbranch_vccnz .LBB43_19
; %bb.10:
	v_cmp_gt_i32_e32 vcc, s12, v4
	s_and_saveexec_b64 s[0:1], vcc
	s_cbranch_execz .LBB43_19
; %bb.11:
	s_load_dword s14, s[4:5], 0x58
	v_mov_b32_e32 v3, 0
	v_mov_b32_e32 v5, 0
	s_waitcnt lgkmcnt(0)
	s_cmp_ge_i32 s6, s14
	s_cbranch_scc1 .LBB43_14
; %bb.12:
	s_load_dwordx2 s[0:1], s[4:5], 0x48
	s_ashr_i32 s13, s12, 31
	s_mul_i32 s4, s12, s6
	v_add_u32_e32 v0, s4, v4
	s_mul_hi_u32 s4, s12, s10
	s_mul_i32 s5, s13, s10
	s_add_i32 s4, s4, s5
	s_mul_i32 s10, s12, s10
	s_mul_i32 s4, s4, s14
	s_mul_hi_u32 s5, s10, s14
	s_add_i32 s5, s5, s4
	s_mul_i32 s4, s10, s14
	v_ashrrev_i32_e32 v1, 31, v0
	s_lshl_b64 s[4:5], s[4:5], 3
	v_lshlrev_b64 v[0:1], 3, v[0:1]
	s_waitcnt lgkmcnt(0)
	s_add_u32 s0, s0, s4
	s_addc_u32 s1, s1, s5
	v_mov_b32_e32 v2, s1
	v_add_co_u32_e32 v0, vcc, s0, v0
	v_addc_co_u32_e32 v1, vcc, v2, v1, vcc
	v_add_co_u32_e32 v0, vcc, 4, v0
	s_lshl_b64 s[0:1], s[12:13], 3
	v_addc_co_u32_e32 v1, vcc, 0, v1, vcc
	v_mov_b32_e32 v3, 0
	v_mov_b32_e32 v2, s1
	;; [unrolled: 1-line block ×3, first 2 shown]
.LBB43_13:                              ; =>This Inner Loop Header: Depth=1
	global_load_dwordx2 v[6:7], v[0:1], off offset:-4
	s_add_i32 s6, s6, 1
	v_add_co_u32_e32 v0, vcc, s0, v0
	v_addc_co_u32_e32 v1, vcc, v1, v2, vcc
	s_cmp_ge_i32 s6, s14
	s_waitcnt vmcnt(0)
	v_add_f32_e32 v5, v5, v6
	v_add_f32_e32 v3, v3, v7
	s_cbranch_scc0 .LBB43_13
.LBB43_14:
	v_mul_lo_u32 v2, s16, v4
	v_cmp_neq_f32_e64 s[0:1], s2, 0
	v_cmp_neq_f32_e64 s[4:5], s3, 0
	s_or_b64 s[0:1], s[0:1], s[4:5]
	v_mul_f32_e32 v0, s9, v3
	v_mul_f32_e32 v1, s8, v3
	s_andn2_b64 vcc, exec, s[0:1]
	v_fma_f32 v0, v5, s8, -v0
	v_fmac_f32_e32 v1, s9, v5
	v_ashrrev_i32_e32 v3, 31, v2
	s_cbranch_vccz .LBB43_16
; %bb.15:
	s_cbranch_execz .LBB43_17
	s_branch .LBB43_18
.LBB43_16:
.LBB43_17:
	v_lshlrev_b64 v[4:5], 3, v[2:3]
	v_mov_b32_e32 v6, s11
	v_add_co_u32_e32 v4, vcc, s7, v4
	v_addc_co_u32_e32 v5, vcc, v6, v5, vcc
	flat_load_dwordx2 v[4:5], v[4:5]
	s_waitcnt vmcnt(0) lgkmcnt(0)
	v_mul_f32_e32 v6, s3, v5
	v_mul_f32_e32 v5, s2, v5
	v_fma_f32 v6, v4, s2, -v6
	v_fmac_f32_e32 v5, s3, v4
	v_add_f32_e32 v0, v0, v6
	v_add_f32_e32 v1, v1, v5
.LBB43_18:
	v_lshlrev_b64 v[2:3], 3, v[2:3]
	v_mov_b32_e32 v4, s11
	v_add_co_u32_e32 v2, vcc, s7, v2
	v_addc_co_u32_e32 v3, vcc, v4, v3, vcc
	flat_store_dwordx2 v[2:3], v[0:1]
.LBB43_19:
	s_endpgm
	.section	.rodata,"a",@progbits
	.p2align	6, 0x0
	.amdhsa_kernel _ZL36rocblas_hemvn_kernel_lower_block_sumILi64EiPK19rocblas_complex_numIfEPKPS1_S1_EviT1_lS7_lT2_lT0_lPT3_i
		.amdhsa_group_segment_fixed_size 0
		.amdhsa_private_segment_fixed_size 0
		.amdhsa_kernarg_size 344
		.amdhsa_user_sgpr_count 6
		.amdhsa_user_sgpr_private_segment_buffer 1
		.amdhsa_user_sgpr_dispatch_ptr 0
		.amdhsa_user_sgpr_queue_ptr 0
		.amdhsa_user_sgpr_kernarg_segment_ptr 1
		.amdhsa_user_sgpr_dispatch_id 0
		.amdhsa_user_sgpr_flat_scratch_init 0
		.amdhsa_user_sgpr_private_segment_size 0
		.amdhsa_uses_dynamic_stack 0
		.amdhsa_system_sgpr_private_segment_wavefront_offset 0
		.amdhsa_system_sgpr_workgroup_id_x 1
		.amdhsa_system_sgpr_workgroup_id_y 0
		.amdhsa_system_sgpr_workgroup_id_z 1
		.amdhsa_system_sgpr_workgroup_info 0
		.amdhsa_system_vgpr_workitem_id 0
		.amdhsa_next_free_vgpr 8
		.amdhsa_next_free_sgpr 24
		.amdhsa_reserve_vcc 1
		.amdhsa_reserve_flat_scratch 0
		.amdhsa_float_round_mode_32 0
		.amdhsa_float_round_mode_16_64 0
		.amdhsa_float_denorm_mode_32 3
		.amdhsa_float_denorm_mode_16_64 3
		.amdhsa_dx10_clamp 1
		.amdhsa_ieee_mode 1
		.amdhsa_fp16_overflow 0
		.amdhsa_exception_fp_ieee_invalid_op 0
		.amdhsa_exception_fp_denorm_src 0
		.amdhsa_exception_fp_ieee_div_zero 0
		.amdhsa_exception_fp_ieee_overflow 0
		.amdhsa_exception_fp_ieee_underflow 0
		.amdhsa_exception_fp_ieee_inexact 0
		.amdhsa_exception_int_div_zero 0
	.end_amdhsa_kernel
	.section	.text._ZL36rocblas_hemvn_kernel_lower_block_sumILi64EiPK19rocblas_complex_numIfEPKPS1_S1_EviT1_lS7_lT2_lT0_lPT3_i,"axG",@progbits,_ZL36rocblas_hemvn_kernel_lower_block_sumILi64EiPK19rocblas_complex_numIfEPKPS1_S1_EviT1_lS7_lT2_lT0_lPT3_i,comdat
.Lfunc_end43:
	.size	_ZL36rocblas_hemvn_kernel_lower_block_sumILi64EiPK19rocblas_complex_numIfEPKPS1_S1_EviT1_lS7_lT2_lT0_lPT3_i, .Lfunc_end43-_ZL36rocblas_hemvn_kernel_lower_block_sumILi64EiPK19rocblas_complex_numIfEPKPS1_S1_EviT1_lS7_lT2_lT0_lPT3_i
                                        ; -- End function
	.set _ZL36rocblas_hemvn_kernel_lower_block_sumILi64EiPK19rocblas_complex_numIfEPKPS1_S1_EviT1_lS7_lT2_lT0_lPT3_i.num_vgpr, 8
	.set _ZL36rocblas_hemvn_kernel_lower_block_sumILi64EiPK19rocblas_complex_numIfEPKPS1_S1_EviT1_lS7_lT2_lT0_lPT3_i.num_agpr, 0
	.set _ZL36rocblas_hemvn_kernel_lower_block_sumILi64EiPK19rocblas_complex_numIfEPKPS1_S1_EviT1_lS7_lT2_lT0_lPT3_i.numbered_sgpr, 24
	.set _ZL36rocblas_hemvn_kernel_lower_block_sumILi64EiPK19rocblas_complex_numIfEPKPS1_S1_EviT1_lS7_lT2_lT0_lPT3_i.num_named_barrier, 0
	.set _ZL36rocblas_hemvn_kernel_lower_block_sumILi64EiPK19rocblas_complex_numIfEPKPS1_S1_EviT1_lS7_lT2_lT0_lPT3_i.private_seg_size, 0
	.set _ZL36rocblas_hemvn_kernel_lower_block_sumILi64EiPK19rocblas_complex_numIfEPKPS1_S1_EviT1_lS7_lT2_lT0_lPT3_i.uses_vcc, 1
	.set _ZL36rocblas_hemvn_kernel_lower_block_sumILi64EiPK19rocblas_complex_numIfEPKPS1_S1_EviT1_lS7_lT2_lT0_lPT3_i.uses_flat_scratch, 0
	.set _ZL36rocblas_hemvn_kernel_lower_block_sumILi64EiPK19rocblas_complex_numIfEPKPS1_S1_EviT1_lS7_lT2_lT0_lPT3_i.has_dyn_sized_stack, 0
	.set _ZL36rocblas_hemvn_kernel_lower_block_sumILi64EiPK19rocblas_complex_numIfEPKPS1_S1_EviT1_lS7_lT2_lT0_lPT3_i.has_recursion, 0
	.set _ZL36rocblas_hemvn_kernel_lower_block_sumILi64EiPK19rocblas_complex_numIfEPKPS1_S1_EviT1_lS7_lT2_lT0_lPT3_i.has_indirect_call, 0
	.section	.AMDGPU.csdata,"",@progbits
; Kernel info:
; codeLenInByte = 748
; TotalNumSgprs: 28
; NumVgprs: 8
; ScratchSize: 0
; MemoryBound: 0
; FloatMode: 240
; IeeeMode: 1
; LDSByteSize: 0 bytes/workgroup (compile time only)
; SGPRBlocks: 3
; VGPRBlocks: 1
; NumSGPRsForWavesPerEU: 28
; NumVGPRsForWavesPerEU: 8
; Occupancy: 10
; WaveLimiterHint : 1
; COMPUTE_PGM_RSRC2:SCRATCH_EN: 0
; COMPUTE_PGM_RSRC2:USER_SGPR: 6
; COMPUTE_PGM_RSRC2:TRAP_HANDLER: 0
; COMPUTE_PGM_RSRC2:TGID_X_EN: 1
; COMPUTE_PGM_RSRC2:TGID_Y_EN: 0
; COMPUTE_PGM_RSRC2:TGID_Z_EN: 1
; COMPUTE_PGM_RSRC2:TIDIG_COMP_CNT: 0
	.section	.text._ZL26rocblas_hemvn_kernel_lowerILb1ELi64ELi4ELi33ELi32ELi16El19rocblas_complex_numIfEPKPKS1_PS1_EviT6_lT7_lT5_lS8_lS9_lS7_lT8_i,"axG",@progbits,_ZL26rocblas_hemvn_kernel_lowerILb1ELi64ELi4ELi33ELi32ELi16El19rocblas_complex_numIfEPKPKS1_PS1_EviT6_lT7_lT5_lS8_lS9_lS7_lT8_i,comdat
	.globl	_ZL26rocblas_hemvn_kernel_lowerILb1ELi64ELi4ELi33ELi32ELi16El19rocblas_complex_numIfEPKPKS1_PS1_EviT6_lT7_lT5_lS8_lS9_lS7_lT8_i ; -- Begin function _ZL26rocblas_hemvn_kernel_lowerILb1ELi64ELi4ELi33ELi32ELi16El19rocblas_complex_numIfEPKPKS1_PS1_EviT6_lT7_lT5_lS8_lS9_lS7_lT8_i
	.p2align	8
	.type	_ZL26rocblas_hemvn_kernel_lowerILb1ELi64ELi4ELi33ELi32ELi16El19rocblas_complex_numIfEPKPKS1_PS1_EviT6_lT7_lT5_lS8_lS9_lS7_lT8_i,@function
_ZL26rocblas_hemvn_kernel_lowerILb1ELi64ELi4ELi33ELi32ELi16El19rocblas_complex_numIfEPKPKS1_PS1_EviT6_lT7_lT5_lS8_lS9_lS7_lT8_i: ; @_ZL26rocblas_hemvn_kernel_lowerILb1ELi64ELi4ELi33ELi32ELi16El19rocblas_complex_numIfEPKPKS1_PS1_EviT6_lT7_lT5_lS8_lS9_lS7_lT8_i
; %bb.0:
	s_load_dwordx2 s[2:3], s[4:5], 0x84
	s_add_u32 s0, s4, 0x78
	s_mov_b32 s26, s7
	s_addc_u32 s1, s5, 0
	s_waitcnt lgkmcnt(0)
	s_lshr_b32 s7, s2, 16
	s_and_b32 s2, s2, 0xffff
	s_and_b32 s3, s3, 0xffff
	s_mul_i32 s2, s7, s2
	s_mul_i32 s2, s2, s3
	s_cmpk_lg_i32 s2, 0x100
	s_cbranch_scc1 .LBB44_150
; %bb.1:
	s_load_dwordx2 s[2:3], s[4:5], 0x4
	s_waitcnt lgkmcnt(0)
	s_or_b32 s2, s2, s3
	s_bitset0_b32 s2, 31
	s_cmp_lg_u32 s2, 0
	s_mov_b64 s[2:3], -1
	s_cbranch_scc1 .LBB44_3
; %bb.2:
	s_load_dwordx2 s[2:3], s[4:5], 0x58
	s_waitcnt lgkmcnt(0)
	v_cmp_eq_f32_e64 s[8:9], s2, 1.0
	v_cmp_eq_f32_e64 s[2:3], s3, 0
	s_and_b64 s[2:3], s[8:9], s[2:3]
	s_andn2_b64 vcc, exec, s[2:3]
	s_mov_b64 s[2:3], 0
.LBB44_3:
	s_andn2_b64 vcc, exec, s[2:3]
	s_cbranch_vccnz .LBB44_150
; %bb.4:
	s_load_dword s7, s[4:5], 0x0
	s_load_dwordx4 s[8:11], s[4:5], 0x18
	s_load_dwordx2 s[24:25], s[4:5], 0x28
	s_load_dwordx4 s[12:15], s[4:5], 0x38
	s_mov_b32 s27, 0
	s_lshl_b64 s[2:3], s[26:27], 3
	s_waitcnt lgkmcnt(0)
	s_add_u32 s16, s8, s2
	s_addc_u32 s17, s9, s3
	s_add_u32 s2, s12, s2
	s_addc_u32 s3, s13, s3
	s_load_dwordx2 s[12:13], s[2:3], 0x0
	s_load_dword s27, s[0:1], 0x0
	s_load_dwordx2 s[22:23], s[4:5], 0x48
	s_load_dwordx2 s[8:9], s[16:17], 0x0
	s_lshl_b64 s[0:1], s[14:15], 3
	s_waitcnt lgkmcnt(0)
	s_add_u32 s2, s12, s0
	s_addc_u32 s3, s13, s1
	s_lshl_b32 s30, s6, 6
	s_ashr_i32 s33, s7, 31
	s_lshr_b32 s0, s33, 26
	v_add_u32_e32 v34, s30, v0
	s_add_i32 s0, s7, s0
	v_ashrrev_i32_e32 v35, 31, v34
	s_and_b32 s13, s0, 0xffffffc0
	v_mul_lo_u32 v4, s22, v35
	v_mul_lo_u32 v5, s23, v34
	v_mad_u64_u32 v[2:3], s[0:1], s22, v34, 0
	s_add_i32 s12, s27, -1
	s_sub_i32 s0, s7, s13
	v_add3_u32 v3, v3, v4, v5
	v_lshlrev_b64 v[2:3], 3, v[2:3]
	s_cmp_eq_u32 s6, s12
	v_mov_b32_e32 v4, s3
	v_add_co_u32_e32 v18, vcc, s2, v2
	s_cselect_b32 s28, s0, 0
	v_addc_co_u32_e32 v19, vcc, v4, v3, vcc
	v_cmp_ne_u32_e64 s[0:1], 0, v1
	v_cmp_eq_u32_e64 s[2:3], 0, v1
	s_and_saveexec_b64 s[12:13], s[2:3]
	s_cbranch_execz .LBB44_9
; %bb.5:
	s_cmp_lg_u32 s28, 0
	s_cselect_b64 s[14:15], -1, 0
	v_cmp_le_i32_e32 vcc, s28, v0
	v_mov_b32_e32 v2, 0x2380
	s_and_b64 s[14:15], s[14:15], vcc
	v_lshl_add_u32 v2, v0, 3, v2
	s_and_saveexec_b64 s[16:17], s[14:15]
	s_xor_b64 s[14:15], exec, s[16:17]
; %bb.6:
	v_mov_b32_e32 v3, 0
	v_mov_b32_e32 v4, v3
	ds_write_b64 v2, v[3:4]
                                        ; implicit-def: $vgpr2
; %bb.7:
	s_andn2_saveexec_b64 s[14:15], s[14:15]
	s_cbranch_execz .LBB44_9
; %bb.8:
	flat_load_dwordx2 v[3:4], v[18:19]
	s_waitcnt vmcnt(0) lgkmcnt(0)
	ds_write_b64 v2, v[3:4]
.LBB44_9:
	s_or_b64 exec, exec, s[12:13]
	v_lshl_add_u32 v24, v1, 6, v0
	v_and_b32_e32 v2, 31, v0
	v_lshrrev_b32_e32 v7, 5, v24
	v_mov_b32_e32 v3, 0
	v_mad_u64_u32 v[3:4], s[12:13], s24, v7, v[2:3]
	s_lshl_b64 s[10:11], s[10:11], 3
	s_add_u32 s10, s8, s10
	s_addc_u32 s11, s9, s11
	v_mad_u64_u32 v[4:5], s[8:9], s25, v7, v[4:5]
	s_ashr_i32 s31, s30, 31
	s_lshl_b64 s[8:9], s[30:31], 3
	s_add_u32 s8, s10, s8
	v_lshlrev_b64 v[20:21], 3, v[3:4]
	s_addc_u32 s9, s11, s9
	v_mov_b32_e32 v3, s9
	v_add_co_u32_e32 v4, vcc, s8, v20
	s_mul_hi_u32 s8, s24, s30
	s_mul_i32 s9, s24, s31
	s_add_i32 s8, s8, s9
	s_mul_i32 s9, s25, s30
	s_add_i32 s9, s8, s9
	s_mul_i32 s8, s24, s30
	v_addc_co_u32_e32 v5, vcc, v3, v21, vcc
	s_lshl_b64 s[34:35], s[8:9], 3
	v_mov_b32_e32 v6, s35
	v_add_co_u32_e32 v3, vcc, s34, v4
	s_cmp_lg_u32 s28, 0
	v_addc_co_u32_e32 v4, vcc, v5, v6, vcc
	s_cselect_b64 s[36:37], -1, 0
	s_cmp_eq_u32 s28, 0
	s_cselect_b64 s[18:19], -1, 0
	s_mov_b64 s[8:9], -1
	s_and_b64 vcc, exec, s[36:37]
	s_cbranch_vccnz .LBB44_11
; %bb.10:
	s_lshl_b64 s[8:9], s[24:25], 6
	v_mov_b32_e32 v11, s9
	v_add_co_u32_e32 v5, vcc, s8, v3
	v_addc_co_u32_e32 v6, vcc, v4, v11, vcc
	v_add_co_u32_e32 v8, vcc, s8, v5
	v_addc_co_u32_e32 v9, vcc, v6, v11, vcc
	;; [unrolled: 2-line block ×3, first 2 shown]
	flat_load_dwordx2 v[12:13], v[3:4]
	flat_load_dwordx2 v[14:15], v[5:6]
	;; [unrolled: 1-line block ×4, first 2 shown]
	v_mul_u32_u24_e32 v5, 0x108, v7
	v_lshl_add_u32 v5, v2, 3, v5
	s_mov_b64 s[8:9], 0
	s_waitcnt vmcnt(0) lgkmcnt(0)
	ds_write_b64 v5, v[12:13]
	ds_write_b64 v5, v[14:15] offset:2112
	ds_write_b64 v5, v[16:17] offset:4224
	;; [unrolled: 1-line block ×3, first 2 shown]
.LBB44_11:
	s_andn2_b64 vcc, exec, s[8:9]
	v_lshlrev_b32_e32 v8, 3, v2
	s_cbranch_vccnz .LBB44_29
; %bb.12:
	v_lshlrev_b32_e32 v9, 3, v2
	v_sub_co_u32_e32 v5, vcc, v3, v9
	s_ashr_i32 s29, s28, 31
	v_subbrev_co_u32_e32 v6, vcc, 0, v4, vcc
	s_lshl_b64 s[10:11], s[28:29], 3
	v_mov_b32_e32 v10, s11
	v_add_co_u32_e32 v5, vcc, s10, v5
	v_addc_co_u32_e32 v6, vcc, v6, v10, vcc
	v_add_co_u32_e32 v5, vcc, -8, v5
	v_addc_co_u32_e32 v6, vcc, -1, v6, vcc
	v_cmp_gt_i32_e32 vcc, s28, v2
	v_cndmask_b32_e32 v6, v6, v4, vcc
	v_cndmask_b32_e32 v5, v5, v3, vcc
	v_cmp_le_i32_e64 s[8:9], s28, v7
	v_mul_u32_u24_e32 v10, 0x108, v7
	s_and_saveexec_b64 s[12:13], s[8:9]
	s_xor_b64 s[8:9], exec, s[12:13]
; %bb.13:
	v_mov_b32_e32 v11, 0
	v_add_u32_e32 v13, v8, v10
	v_mov_b32_e32 v12, v11
	ds_write_b64 v13, v[11:12]
; %bb.14:
	s_andn2_saveexec_b64 s[8:9], s[8:9]
	s_cbranch_execz .LBB44_16
; %bb.15:
	flat_load_dwordx2 v[11:12], v[5:6]
	v_add_u32_e32 v13, v8, v10
	s_waitcnt vmcnt(0) lgkmcnt(0)
	ds_write_b64 v13, v[11:12]
.LBB44_16:
	s_or_b64 exec, exec, s[8:9]
	v_add_u32_e32 v11, 8, v7
	v_cmp_le_i32_e64 s[8:9], s28, v11
	s_and_saveexec_b64 s[12:13], s[8:9]
	s_xor_b64 s[8:9], exec, s[12:13]
; %bb.17:
	v_mov_b32_e32 v11, 0
	v_add_u32_e32 v13, v10, v8
	v_mov_b32_e32 v12, v11
	ds_write_b64 v13, v[11:12] offset:2112
; %bb.18:
	s_andn2_saveexec_b64 s[12:13], s[8:9]
	s_cbranch_execz .LBB44_20
; %bb.19:
	s_lshl_b64 s[8:9], s[24:25], 6
	v_mov_b32_e32 v12, s9
	v_add_co_u32_e64 v11, s[8:9], s8, v5
	v_addc_co_u32_e64 v12, s[8:9], v6, v12, s[8:9]
	flat_load_dwordx2 v[11:12], v[11:12]
	v_add_u32_e32 v13, v10, v8
	s_waitcnt vmcnt(0) lgkmcnt(0)
	ds_write_b64 v13, v[11:12] offset:2112
.LBB44_20:
	s_or_b64 exec, exec, s[12:13]
	v_add_u32_e32 v11, 16, v7
	v_cmp_le_i32_e64 s[8:9], s28, v11
	s_and_saveexec_b64 s[12:13], s[8:9]
	s_xor_b64 s[8:9], exec, s[12:13]
; %bb.21:
	v_mov_b32_e32 v11, 0
	v_add_u32_e32 v13, v10, v8
	v_mov_b32_e32 v12, v11
	ds_write_b64 v13, v[11:12] offset:4224
; %bb.22:
	s_andn2_saveexec_b64 s[12:13], s[8:9]
	s_cbranch_execz .LBB44_24
; %bb.23:
	s_lshl_b64 s[8:9], s[24:25], 7
	v_mov_b32_e32 v12, s9
	v_add_co_u32_e64 v11, s[8:9], s8, v5
	v_addc_co_u32_e64 v12, s[8:9], v6, v12, s[8:9]
	flat_load_dwordx2 v[11:12], v[11:12]
	v_add_u32_e32 v13, v10, v8
	s_waitcnt vmcnt(0) lgkmcnt(0)
	ds_write_b64 v13, v[11:12] offset:4224
.LBB44_24:
	s_or_b64 exec, exec, s[12:13]
	v_add_u32_e32 v11, 24, v7
	v_cmp_le_i32_e64 s[8:9], s28, v11
	s_and_saveexec_b64 s[12:13], s[8:9]
	s_xor_b64 s[8:9], exec, s[12:13]
; %bb.25:
	v_add_u32_e32 v12, v10, v8
	v_mov_b32_e32 v10, 0
	v_mov_b32_e32 v11, v10
	ds_write_b64 v12, v[10:11] offset:6336
                                        ; implicit-def: $vgpr10
; %bb.26:
	s_andn2_saveexec_b64 s[8:9], s[8:9]
	s_cbranch_execz .LBB44_28
; %bb.27:
	v_mov_b32_e32 v11, 0xc0
	v_mad_u64_u32 v[11:12], s[12:13], s24, v11, v[5:6]
	s_mul_i32 s12, s25, 0xc0
	v_add_u32_e32 v10, v10, v8
	v_add_u32_e32 v12, s12, v12
	flat_load_dwordx2 v[11:12], v[11:12]
	s_waitcnt vmcnt(0) lgkmcnt(0)
	ds_write_b64 v10, v[11:12] offset:6336
.LBB44_28:
	s_or_b64 exec, exec, s[8:9]
	v_add_co_u32_e64 v5, s[8:9], v5, v9
	v_addc_co_u32_e64 v6, s[8:9], 0, v6, s[8:9]
	v_mov_b32_e32 v9, s11
	v_subrev_co_u32_e64 v5, s[8:9], s10, v5
	v_subb_co_u32_e64 v6, s[8:9], v6, v9, s[8:9]
	v_add_co_u32_e64 v5, s[8:9], 8, v5
	v_addc_co_u32_e64 v6, s[8:9], 0, v6, s[8:9]
	v_cndmask_b32_e32 v4, v6, v4, vcc
	v_cndmask_b32_e32 v3, v5, v3, vcc
.LBB44_29:
	v_lshlrev_b32_e32 v5, 2, v7
	v_mul_u32_u24_e32 v6, 0x108, v2
	v_cmp_ge_u32_e64 s[8:9], v5, v2
	s_mov_b64 s[10:11], 0
	s_waitcnt lgkmcnt(0)
	s_barrier
                                        ; implicit-def: $vgpr10
	s_and_saveexec_b64 s[12:13], s[8:9]
	s_xor_b64 s[12:13], exec, s[12:13]
	s_cbranch_execz .LBB44_33
; %bb.30:
	v_cmp_eq_u32_e32 vcc, v5, v2
                                        ; implicit-def: $vgpr10
	s_and_saveexec_b64 s[14:15], vcc
	s_xor_b64 s[14:15], exec, s[14:15]
; %bb.31:
	s_mov_b64 s[10:11], exec
	v_add_u32_e32 v10, v8, v6
; %bb.32:
	s_or_b64 exec, exec, s[14:15]
	s_and_b64 s[10:11], s[10:11], exec
.LBB44_33:
	s_or_saveexec_b64 s[12:13], s[12:13]
	v_lshl_or_b32 v9, v2, 8, v8
	v_mov_b32_e32 v11, 0
	s_xor_b64 exec, exec, s[12:13]
	s_cbranch_execz .LBB44_35
; %bb.34:
	s_movk_i32 s14, 0x420
	v_mad_u32_u24 v10, v7, s14, v8
	ds_read_b64 v[12:13], v10
	v_lshl_add_u32 v10, v5, 3, v9
	s_or_b64 s[10:11], s[10:11], exec
	s_waitcnt lgkmcnt(0)
	v_xor_b32_e32 v11, 0x80000000, v13
	ds_write_b32 v10, v12
.LBB44_35:
	s_or_b64 exec, exec, s[12:13]
	s_and_saveexec_b64 s[12:13], s[10:11]
; %bb.36:
	ds_write_b32 v10, v11 offset:4
; %bb.37:
	s_or_b64 exec, exec, s[12:13]
	v_or_b32_e32 v10, 1, v5
	v_cmp_ge_u32_e64 s[10:11], v10, v2
	s_mov_b64 s[12:13], 0
                                        ; implicit-def: $vgpr11
	s_and_saveexec_b64 s[14:15], s[10:11]
	s_xor_b64 s[14:15], exec, s[14:15]
	s_cbranch_execnz .LBB44_99
; %bb.38:
	s_or_saveexec_b64 s[14:15], s[14:15]
	v_mov_b32_e32 v12, 0
	s_xor_b64 exec, exec, s[14:15]
	s_cbranch_execnz .LBB44_102
.LBB44_39:
	s_or_b64 exec, exec, s[14:15]
	s_and_saveexec_b64 s[14:15], s[12:13]
.LBB44_40:
	ds_write_b32 v11, v12 offset:4
.LBB44_41:
	s_or_b64 exec, exec, s[14:15]
	v_or_b32_e32 v11, 2, v5
	v_cmp_ge_u32_e64 s[12:13], v11, v2
	s_mov_b64 s[14:15], 0
                                        ; implicit-def: $vgpr12
	s_and_saveexec_b64 s[16:17], s[12:13]
	s_xor_b64 s[16:17], exec, s[16:17]
	s_cbranch_execnz .LBB44_103
; %bb.42:
	s_or_saveexec_b64 s[16:17], s[16:17]
	v_mov_b32_e32 v13, 0
	s_xor_b64 exec, exec, s[16:17]
	s_cbranch_execnz .LBB44_106
.LBB44_43:
	s_or_b64 exec, exec, s[16:17]
	s_and_saveexec_b64 s[16:17], s[14:15]
.LBB44_44:
	ds_write_b32 v12, v13 offset:4
.LBB44_45:
	s_or_b64 exec, exec, s[16:17]
	v_or_b32_e32 v12, 3, v5
	v_cmp_ge_u32_e64 s[14:15], v12, v2
	s_mov_b64 s[16:17], 0
                                        ; implicit-def: $vgpr13
	s_and_saveexec_b64 s[20:21], s[14:15]
	s_xor_b64 s[20:21], exec, s[20:21]
	s_cbranch_execnz .LBB44_107
; %bb.46:
	s_or_saveexec_b64 s[20:21], s[20:21]
	v_mov_b32_e32 v14, 0
	s_xor_b64 exec, exec, s[20:21]
	s_cbranch_execnz .LBB44_110
.LBB44_47:
	s_or_b64 exec, exec, s[20:21]
	s_and_saveexec_b64 s[20:21], s[16:17]
.LBB44_48:
	ds_write_b32 v13, v14 offset:4
.LBB44_49:
	s_or_b64 exec, exec, s[20:21]
	s_movk_i32 s16, 0x420
	v_mad_u32_u24 v13, v7, s16, v8
	s_waitcnt lgkmcnt(0)
	s_barrier
	v_lshlrev_b32_e32 v9, 3, v5
	ds_read_b64 v[22:23], v13
	ds_read_b128 v[13:16], v9 offset:9088
	ds_read_b128 v[25:28], v9 offset:9104
	s_movk_i32 s16, 0x108
	v_mov_b32_e32 v36, 0
	v_cmp_gt_u32_e64 s[20:21], 32, v24
	s_waitcnt lgkmcnt(1)
	v_mul_f32_e32 v17, v14, v23
	v_fma_f32 v17, v13, v22, -v17
	v_mul_f32_e32 v13, v13, v23
	v_mad_u32_u24 v23, v10, s16, v8
	ds_read2_b64 v[29:32], v23 offset1:33
	v_fmac_f32_e32 v13, v14, v22
	v_add_f32_e32 v14, 0, v17
	v_add_f32_e32 v13, 0, v13
	v_mov_b32_e32 v37, 0
	s_waitcnt lgkmcnt(0)
	v_mul_f32_e32 v17, v16, v30
	v_fma_f32 v17, v15, v29, -v17
	v_mul_f32_e32 v15, v15, v30
	v_fmac_f32_e32 v15, v16, v29
	v_add_f32_e32 v16, v14, v17
	v_add_f32_e32 v15, v13, v15
	ds_read_b64 v[13:14], v23 offset:528
	v_mul_f32_e32 v17, v26, v32
	v_fma_f32 v17, v25, v31, -v17
	v_mul_f32_e32 v22, v25, v32
	v_fmac_f32_e32 v22, v26, v31
	v_add_f32_e32 v16, v16, v17
	s_waitcnt lgkmcnt(0)
	v_mul_f32_e32 v17, v28, v14
	v_mul_f32_e32 v14, v27, v14
	v_add_f32_e32 v15, v15, v22
	v_fmac_f32_e32 v14, v28, v13
	v_add_f32_e32 v14, v15, v14
	v_mul_u32_u24_e32 v15, 33, v2
	v_fma_f32 v17, v27, v13, -v17
	v_lshlrev_b32_e32 v25, 3, v15
	v_add_f32_e32 v13, v16, v17
	v_lshl_add_u32 v26, v7, 3, v25
	s_barrier
	ds_write_b64 v26, v[13:14]
	s_waitcnt lgkmcnt(0)
	s_barrier
	s_and_saveexec_b64 s[16:17], s[20:21]
	s_cbranch_execz .LBB44_51
; %bb.50:
	ds_read2_b64 v[13:16], v25 offset1:7
	ds_read2_b64 v[27:30], v25 offset0:1 offset1:2
	ds_read2_b64 v[36:39], v25 offset0:3 offset1:4
	s_waitcnt lgkmcnt(1)
	v_add_f32_e32 v13, v27, v13
	v_add_f32_e32 v14, v28, v14
	;; [unrolled: 1-line block ×4, first 2 shown]
	ds_read2_b64 v[27:30], v25 offset0:5 offset1:6
	s_waitcnt lgkmcnt(1)
	v_add_f32_e32 v13, v13, v36
	v_add_f32_e32 v14, v14, v37
	;; [unrolled: 1-line block ×4, first 2 shown]
	s_waitcnt lgkmcnt(0)
	v_add_f32_e32 v13, v13, v27
	v_add_f32_e32 v14, v14, v28
	;; [unrolled: 1-line block ×6, first 2 shown]
.LBB44_51:
	s_or_b64 exec, exec, s[16:17]
	s_lshl_b64 s[16:17], s[24:25], 8
	v_mov_b32_e32 v13, s17
	v_add_co_u32_e32 v3, vcc, s16, v3
	v_addc_co_u32_e32 v4, vcc, v4, v13, vcc
	v_add_co_u32_e32 v13, vcc, 0x100, v3
	v_addc_co_u32_e32 v14, vcc, 0, v4, vcc
	v_cndmask_b32_e64 v15, 0, 1, s[18:19]
	v_cmp_ne_u32_e64 s[16:17], 1, v15
	s_andn2_b64 vcc, exec, s[18:19]
	s_mov_b64 s[18:19], -1
	s_barrier
	s_cbranch_vccnz .LBB44_53
; %bb.52:
	s_lshl_b64 s[18:19], s[24:25], 6
	v_mov_b32_e32 v17, s19
	v_add_co_u32_e32 v15, vcc, s18, v3
	v_addc_co_u32_e32 v16, vcc, v4, v17, vcc
	v_add_co_u32_e32 v22, vcc, s18, v15
	v_addc_co_u32_e32 v23, vcc, v16, v17, vcc
	;; [unrolled: 2-line block ×3, first 2 shown]
	flat_load_dwordx2 v[29:30], v[3:4] offset:256
	flat_load_dwordx2 v[31:32], v[15:16] offset:256
	;; [unrolled: 1-line block ×4, first 2 shown]
	s_movk_i32 s18, 0x108
	v_mad_u32_u24 v15, v7, s18, v8
	s_mov_b64 s[18:19], 0
	s_waitcnt vmcnt(0) lgkmcnt(0)
	ds_write_b64 v15, v[29:30]
	ds_write_b64 v15, v[31:32] offset:2112
	ds_write_b64 v15, v[38:39] offset:4224
	;; [unrolled: 1-line block ×3, first 2 shown]
.LBB44_53:
	s_andn2_b64 vcc, exec, s[18:19]
	s_cbranch_vccnz .LBB44_71
; %bb.54:
	v_lshlrev_b32_e32 v15, 3, v2
	v_sub_co_u32_e32 v3, vcc, v3, v15
	s_ashr_i32 s29, s28, 31
	v_subbrev_co_u32_e32 v4, vcc, 0, v4, vcc
	s_lshl_b64 s[38:39], s[28:29], 3
	v_mov_b32_e32 v17, s39
	v_add_co_u32_e32 v3, vcc, s38, v3
	v_addc_co_u32_e32 v4, vcc, v4, v17, vcc
	v_or_b32_e32 v16, 32, v2
	v_add_co_u32_e32 v3, vcc, -8, v3
	v_addc_co_u32_e32 v4, vcc, -1, v4, vcc
	v_cmp_gt_i32_e64 s[18:19], s28, v16
	s_sub_i32 s29, s28, 32
	v_cndmask_b32_e64 v4, v4, v14, s[18:19]
	v_cndmask_b32_e64 v3, v3, v13, s[18:19]
	v_cmp_le_i32_e32 vcc, s29, v7
	v_mul_u32_u24_e32 v16, 0x108, v7
	s_and_saveexec_b64 s[40:41], vcc
	s_xor_b64 s[40:41], exec, s[40:41]
; %bb.55:
	v_mov_b32_e32 v22, 0
	v_add_u32_e32 v17, v8, v16
	v_mov_b32_e32 v23, v22
	ds_write_b64 v17, v[22:23]
; %bb.56:
	s_andn2_saveexec_b64 s[40:41], s[40:41]
	s_cbranch_execz .LBB44_58
; %bb.57:
	flat_load_dwordx2 v[22:23], v[3:4]
	v_add_u32_e32 v17, v8, v16
	s_waitcnt vmcnt(0) lgkmcnt(0)
	ds_write_b64 v17, v[22:23]
.LBB44_58:
	s_or_b64 exec, exec, s[40:41]
	v_add_u32_e32 v17, 8, v7
	v_cmp_le_i32_e32 vcc, s29, v17
	s_and_saveexec_b64 s[40:41], vcc
	s_xor_b64 s[40:41], exec, s[40:41]
; %bb.59:
	v_mov_b32_e32 v22, 0
	v_add_u32_e32 v17, v16, v8
	v_mov_b32_e32 v23, v22
	ds_write_b64 v17, v[22:23] offset:2112
; %bb.60:
	s_andn2_saveexec_b64 s[40:41], s[40:41]
	s_cbranch_execz .LBB44_62
; %bb.61:
	s_lshl_b64 s[42:43], s[24:25], 6
	v_mov_b32_e32 v17, s43
	v_add_co_u32_e32 v22, vcc, s42, v3
	v_addc_co_u32_e32 v23, vcc, v4, v17, vcc
	flat_load_dwordx2 v[22:23], v[22:23]
	v_add_u32_e32 v17, v16, v8
	s_waitcnt vmcnt(0) lgkmcnt(0)
	ds_write_b64 v17, v[22:23] offset:2112
.LBB44_62:
	s_or_b64 exec, exec, s[40:41]
	v_add_u32_e32 v17, 16, v7
	v_cmp_le_i32_e32 vcc, s29, v17
	s_and_saveexec_b64 s[40:41], vcc
	s_xor_b64 s[40:41], exec, s[40:41]
; %bb.63:
	v_mov_b32_e32 v22, 0
	v_add_u32_e32 v17, v16, v8
	v_mov_b32_e32 v23, v22
	ds_write_b64 v17, v[22:23] offset:4224
; %bb.64:
	s_andn2_saveexec_b64 s[40:41], s[40:41]
	s_cbranch_execz .LBB44_66
; %bb.65:
	s_lshl_b64 s[42:43], s[24:25], 7
	v_mov_b32_e32 v17, s43
	v_add_co_u32_e32 v22, vcc, s42, v3
	v_addc_co_u32_e32 v23, vcc, v4, v17, vcc
	flat_load_dwordx2 v[22:23], v[22:23]
	v_add_u32_e32 v17, v16, v8
	s_waitcnt vmcnt(0) lgkmcnt(0)
	ds_write_b64 v17, v[22:23] offset:4224
.LBB44_66:
	s_or_b64 exec, exec, s[40:41]
	v_add_u32_e32 v17, 24, v7
	v_cmp_le_i32_e32 vcc, s29, v17
	s_and_saveexec_b64 s[40:41], vcc
	s_xor_b64 s[40:41], exec, s[40:41]
; %bb.67:
	v_add_u32_e32 v22, v16, v8
	v_mov_b32_e32 v16, 0
	v_mov_b32_e32 v17, v16
	ds_write_b64 v22, v[16:17] offset:6336
                                        ; implicit-def: $vgpr16
; %bb.68:
	s_andn2_saveexec_b64 s[40:41], s[40:41]
	s_cbranch_execz .LBB44_70
; %bb.69:
	v_mov_b32_e32 v17, 0xc0
	v_mad_u64_u32 v[22:23], s[42:43], s24, v17, v[3:4]
	s_mul_i32 s29, s25, 0xc0
	v_add_u32_e32 v16, v16, v8
	v_add_u32_e32 v23, s29, v23
	flat_load_dwordx2 v[22:23], v[22:23]
	s_waitcnt vmcnt(0) lgkmcnt(0)
	ds_write_b64 v16, v[22:23] offset:6336
.LBB44_70:
	s_or_b64 exec, exec, s[40:41]
	v_add_co_u32_e32 v3, vcc, v3, v15
	v_addc_co_u32_e32 v4, vcc, 0, v4, vcc
	v_mov_b32_e32 v15, s39
	v_subrev_co_u32_e32 v3, vcc, s38, v3
	v_subb_co_u32_e32 v4, vcc, v4, v15, vcc
	v_add_co_u32_e32 v3, vcc, 0x108, v3
	v_addc_co_u32_e32 v4, vcc, 0, v4, vcc
	v_cndmask_b32_e64 v14, v4, v14, s[18:19]
	v_cndmask_b32_e64 v13, v3, v13, s[18:19]
.LBB44_71:
	v_mul_u32_u24_e32 v3, 0x420, v7
	v_add_u32_e32 v9, 0x2380, v9
	v_mul_u32_u24_e32 v4, 0x108, v10
	s_lshl_b64 s[18:19], s[24:25], 5
	s_mov_b64 s[38:39], 0
	s_waitcnt lgkmcnt(0)
	s_barrier
                                        ; implicit-def: $vgpr15
	s_and_saveexec_b64 s[40:41], s[8:9]
	s_xor_b64 s[8:9], exec, s[40:41]
	s_cbranch_execz .LBB44_75
; %bb.72:
	v_cmp_eq_u32_e32 vcc, v5, v2
                                        ; implicit-def: $vgpr15
	s_and_saveexec_b64 s[40:41], vcc
	s_xor_b64 s[40:41], exec, s[40:41]
; %bb.73:
	s_mov_b64 s[38:39], exec
	v_add_u32_e32 v15, v8, v6
; %bb.74:
	s_or_b64 exec, exec, s[40:41]
	s_and_b64 s[38:39], s[38:39], exec
.LBB44_75:
	s_or_saveexec_b64 s[8:9], s[8:9]
	v_mov_b32_e32 v16, 0
	v_add_u32_e32 v3, v8, v3
	s_xor_b64 exec, exec, s[8:9]
	s_cbranch_execz .LBB44_77
; %bb.76:
	ds_read_b64 v[22:23], v3
	v_lshl_add_u32 v15, v5, 3, v25
	s_or_b64 s[38:39], s[38:39], exec
	s_waitcnt lgkmcnt(0)
	v_xor_b32_e32 v16, 0x80000000, v23
	ds_write_b32 v15, v22
.LBB44_77:
	s_or_b64 exec, exec, s[8:9]
	s_and_saveexec_b64 s[8:9], s[38:39]
; %bb.78:
	ds_write_b32 v15, v16 offset:4
; %bb.79:
	s_or_b64 exec, exec, s[8:9]
	s_mov_b64 s[8:9], 0
                                        ; implicit-def: $vgpr15
	s_and_saveexec_b64 s[38:39], s[10:11]
	s_xor_b64 s[10:11], exec, s[38:39]
	s_cbranch_execz .LBB44_83
; %bb.80:
	v_cmp_eq_u32_e32 vcc, v10, v2
                                        ; implicit-def: $vgpr15
	s_and_saveexec_b64 s[38:39], vcc
; %bb.81:
	s_mov_b64 s[8:9], exec
	v_add_u32_e32 v15, v8, v6
; %bb.82:
	s_or_b64 exec, exec, s[38:39]
	s_and_b64 s[8:9], s[8:9], exec
.LBB44_83:
	s_or_saveexec_b64 s[10:11], s[10:11]
	v_mov_b32_e32 v10, 0
	v_add_u32_e32 v4, v8, v4
	s_xor_b64 exec, exec, s[10:11]
	s_cbranch_execz .LBB44_85
; %bb.84:
	ds_read_b64 v[16:17], v4
	v_lshl_add_u32 v22, v5, 3, v25
	v_add_u32_e32 v15, 8, v22
	s_or_b64 s[8:9], s[8:9], exec
	s_waitcnt lgkmcnt(0)
	v_xor_b32_e32 v10, 0x80000000, v17
	ds_write_b32 v22, v16 offset:8
.LBB44_85:
	s_or_b64 exec, exec, s[10:11]
	s_and_saveexec_b64 s[10:11], s[8:9]
; %bb.86:
	ds_write_b32 v15, v10 offset:4
; %bb.87:
	s_or_b64 exec, exec, s[10:11]
	s_mov_b64 s[8:9], 0
                                        ; implicit-def: $vgpr10
	s_and_saveexec_b64 s[10:11], s[12:13]
	s_xor_b64 s[10:11], exec, s[10:11]
	s_cbranch_execnz .LBB44_111
; %bb.88:
	s_or_saveexec_b64 s[10:11], s[10:11]
	v_mov_b32_e32 v11, 0
	s_xor_b64 exec, exec, s[10:11]
	s_cbranch_execnz .LBB44_114
.LBB44_89:
	s_or_b64 exec, exec, s[10:11]
	s_and_saveexec_b64 s[10:11], s[8:9]
.LBB44_90:
	ds_write_b32 v10, v11 offset:4
.LBB44_91:
	s_or_b64 exec, exec, s[10:11]
	s_mov_b64 s[8:9], 0
                                        ; implicit-def: $vgpr10
	s_and_saveexec_b64 s[10:11], s[14:15]
	s_xor_b64 s[10:11], exec, s[10:11]
	s_cbranch_execnz .LBB44_115
; %bb.92:
	s_or_saveexec_b64 s[10:11], s[10:11]
	v_mov_b32_e32 v6, 0
	s_xor_b64 exec, exec, s[10:11]
	s_cbranch_execnz .LBB44_118
.LBB44_93:
	s_or_b64 exec, exec, s[10:11]
	s_and_saveexec_b64 s[10:11], s[8:9]
.LBB44_94:
	ds_write_b32 v10, v6 offset:4
.LBB44_95:
	s_or_b64 exec, exec, s[10:11]
	s_waitcnt lgkmcnt(0)
	s_barrier
	ds_read_b64 v[10:11], v3
	ds_read_b128 v[27:30], v9 offset:256
	ds_read_b128 v[38:41], v9 offset:272
	ds_read_b64 v[15:16], v4 offset:528
	ds_read2_b64 v[42:45], v4 offset1:33
	v_cmp_eq_u32_e64 s[8:9], 1, v7
	s_waitcnt lgkmcnt(3)
	v_mul_f32_e32 v3, v28, v11
	v_mul_f32_e32 v4, v27, v11
	v_fma_f32 v3, v27, v10, -v3
	v_fmac_f32_e32 v4, v28, v10
	s_waitcnt lgkmcnt(0)
	v_mul_f32_e32 v6, v30, v43
	v_mul_f32_e32 v10, v29, v43
	v_add_f32_e32 v3, 0, v3
	v_add_f32_e32 v4, 0, v4
	v_fma_f32 v6, v29, v42, -v6
	v_fmac_f32_e32 v10, v30, v42
	v_add_f32_e32 v3, v3, v6
	v_add_f32_e32 v4, v4, v10
	v_mul_f32_e32 v6, v39, v45
	v_mul_f32_e32 v10, v38, v45
	v_fma_f32 v6, v38, v44, -v6
	v_fmac_f32_e32 v10, v39, v44
	v_add_f32_e32 v3, v3, v6
	v_add_f32_e32 v4, v4, v10
	v_mul_f32_e32 v6, v41, v16
	v_mul_f32_e32 v10, v40, v16
	v_fma_f32 v6, v40, v15, -v6
	v_fmac_f32_e32 v10, v41, v15
	v_add_f32_e32 v3, v3, v6
	v_add_f32_e32 v4, v4, v10
	s_barrier
	ds_write_b64 v26, v[3:4]
	s_waitcnt lgkmcnt(0)
	s_barrier
	s_and_saveexec_b64 s[10:11], s[8:9]
	s_cbranch_execz .LBB44_97
; %bb.96:
	ds_read2_b64 v[27:30], v25 offset1:7
	ds_read2_b64 v[36:39], v25 offset0:1 offset1:2
	ds_read2_b64 v[40:43], v25 offset0:3 offset1:4
	s_waitcnt lgkmcnt(1)
	v_add_f32_e32 v3, v36, v27
	v_add_f32_e32 v4, v37, v28
	;; [unrolled: 1-line block ×4, first 2 shown]
	ds_read2_b64 v[36:39], v25 offset0:5 offset1:6
	s_waitcnt lgkmcnt(1)
	v_add_f32_e32 v3, v3, v40
	v_add_f32_e32 v4, v4, v41
	;; [unrolled: 1-line block ×4, first 2 shown]
	s_waitcnt lgkmcnt(0)
	v_add_f32_e32 v3, v3, v36
	v_add_f32_e32 v4, v4, v37
	;; [unrolled: 1-line block ×6, first 2 shown]
.LBB44_97:
	s_or_b64 exec, exec, s[10:11]
	s_lshl_b64 s[10:11], s[18:19], 3
	v_mov_b32_e32 v3, s11
	v_subrev_co_u32_e64 v22, s[10:11], s10, v13
	s_and_b64 vcc, exec, s[16:17]
	v_subb_co_u32_e64 v23, s[10:11], v14, v3, s[10:11]
	s_barrier
	s_cbranch_vccnz .LBB44_119
; %bb.98:
	s_lshl_b64 s[10:11], s[24:25], 6
	v_mov_b32_e32 v6, s11
	v_add_co_u32_e32 v3, vcc, s10, v22
	v_addc_co_u32_e32 v4, vcc, v23, v6, vcc
	v_add_co_u32_e32 v10, vcc, s10, v3
	v_addc_co_u32_e32 v11, vcc, v4, v6, vcc
	;; [unrolled: 2-line block ×3, first 2 shown]
	flat_load_dwordx2 v[14:15], v[22:23]
	flat_load_dwordx2 v[16:17], v[3:4]
	;; [unrolled: 1-line block ×4, first 2 shown]
	s_movk_i32 s10, 0x108
	v_mov_b32_e32 v3, 0x840
	v_mov_b32_e32 v13, 0x1080
	;; [unrolled: 1-line block ×3, first 2 shown]
	v_mul_u32_u24_e32 v6, 0x108, v7
	v_add_u32_e32 v10, 8, v7
	v_add_u32_e32 v11, 16, v7
	;; [unrolled: 1-line block ×3, first 2 shown]
	v_mad_u32_u24 v32, v7, s10, v8
	v_mad_u32_u24 v4, v7, s10, v3
	;; [unrolled: 1-line block ×4, first 2 shown]
	v_add_u32_e32 v31, v8, v4
	v_add_u32_e32 v33, v8, v3
	v_add_u32_e32 v38, v8, v13
	s_waitcnt vmcnt(0) lgkmcnt(0)
	ds_write_b64 v32, v[14:15]
	ds_write_b64 v31, v[16:17]
	;; [unrolled: 1-line block ×4, first 2 shown]
	s_cbranch_execz .LBB44_120
	s_branch .LBB44_137
.LBB44_99:
	v_cmp_eq_u32_e32 vcc, v10, v2
                                        ; implicit-def: $vgpr11
	s_and_saveexec_b64 s[16:17], vcc
; %bb.100:
	s_mov_b64 s[12:13], exec
	v_add_u32_e32 v11, v8, v6
; %bb.101:
	s_or_b64 exec, exec, s[16:17]
	s_and_b64 s[12:13], s[12:13], exec
	s_or_saveexec_b64 s[14:15], s[14:15]
	v_mov_b32_e32 v12, 0
	s_xor_b64 exec, exec, s[14:15]
	s_cbranch_execz .LBB44_39
.LBB44_102:
	s_movk_i32 s16, 0x108
	v_mad_u32_u24 v11, v10, s16, v8
	ds_read_b64 v[13:14], v11
	v_lshl_add_u32 v15, v5, 3, v9
	v_add_u32_e32 v11, 8, v15
	s_or_b64 s[12:13], s[12:13], exec
	s_waitcnt lgkmcnt(0)
	v_xor_b32_e32 v12, 0x80000000, v14
	ds_write_b32 v15, v13 offset:8
	s_or_b64 exec, exec, s[14:15]
	s_and_saveexec_b64 s[14:15], s[12:13]
	s_cbranch_execnz .LBB44_40
	s_branch .LBB44_41
.LBB44_103:
	v_cmp_eq_u32_e32 vcc, v11, v2
                                        ; implicit-def: $vgpr12
	s_and_saveexec_b64 s[20:21], vcc
; %bb.104:
	s_mov_b64 s[14:15], exec
	v_add_u32_e32 v12, v8, v6
; %bb.105:
	s_or_b64 exec, exec, s[20:21]
	s_and_b64 s[14:15], s[14:15], exec
	s_or_saveexec_b64 s[16:17], s[16:17]
	v_mov_b32_e32 v13, 0
	s_xor_b64 exec, exec, s[16:17]
	s_cbranch_execz .LBB44_43
.LBB44_106:
	s_movk_i32 s20, 0x108
	v_mad_u32_u24 v12, v11, s20, v8
	ds_read_b64 v[14:15], v12
	v_lshl_add_u32 v16, v5, 3, v9
	v_add_u32_e32 v12, 16, v16
	s_or_b64 s[14:15], s[14:15], exec
	s_waitcnt lgkmcnt(0)
	v_xor_b32_e32 v13, 0x80000000, v15
	ds_write_b32 v16, v14 offset:16
	s_or_b64 exec, exec, s[16:17]
	s_and_saveexec_b64 s[16:17], s[14:15]
	s_cbranch_execnz .LBB44_44
	s_branch .LBB44_45
.LBB44_107:
	v_cmp_eq_u32_e32 vcc, v12, v2
                                        ; implicit-def: $vgpr13
	s_and_saveexec_b64 s[38:39], vcc
; %bb.108:
	s_mov_b64 s[16:17], exec
	v_add_u32_e32 v13, v8, v6
; %bb.109:
	s_or_b64 exec, exec, s[38:39]
	s_and_b64 s[16:17], s[16:17], exec
                                        ; implicit-def: $vgpr9
	s_or_saveexec_b64 s[20:21], s[20:21]
	v_mov_b32_e32 v14, 0
	s_xor_b64 exec, exec, s[20:21]
	s_cbranch_execz .LBB44_47
.LBB44_110:
	s_movk_i32 s29, 0x108
	v_mad_u32_u24 v13, v12, s29, v8
	ds_read_b64 v[15:16], v13
	v_lshl_add_u32 v9, v5, 3, v9
	v_add_u32_e32 v13, 24, v9
	s_or_b64 s[16:17], s[16:17], exec
	s_waitcnt lgkmcnt(0)
	v_xor_b32_e32 v14, 0x80000000, v16
	ds_write_b32 v9, v15 offset:24
	s_or_b64 exec, exec, s[20:21]
	s_and_saveexec_b64 s[20:21], s[16:17]
	s_cbranch_execnz .LBB44_48
	s_branch .LBB44_49
.LBB44_111:
	v_cmp_eq_u32_e32 vcc, v11, v2
                                        ; implicit-def: $vgpr10
	s_and_saveexec_b64 s[12:13], vcc
; %bb.112:
	s_mov_b64 s[8:9], exec
	v_add_u32_e32 v10, v8, v6
; %bb.113:
	s_or_b64 exec, exec, s[12:13]
	s_and_b64 s[8:9], s[8:9], exec
	s_or_saveexec_b64 s[10:11], s[10:11]
	v_mov_b32_e32 v11, 0
	s_xor_b64 exec, exec, s[10:11]
	s_cbranch_execz .LBB44_89
.LBB44_114:
	ds_read_b64 v[15:16], v4 offset:264
	v_lshl_add_u32 v17, v5, 3, v25
	v_add_u32_e32 v10, 16, v17
	s_or_b64 s[8:9], s[8:9], exec
	s_waitcnt lgkmcnt(0)
	v_xor_b32_e32 v11, 0x80000000, v16
	ds_write_b32 v17, v15 offset:16
	s_or_b64 exec, exec, s[10:11]
	s_and_saveexec_b64 s[10:11], s[8:9]
	s_cbranch_execnz .LBB44_90
	s_branch .LBB44_91
.LBB44_115:
	v_cmp_eq_u32_e32 vcc, v12, v2
                                        ; implicit-def: $vgpr10
	s_and_saveexec_b64 s[12:13], vcc
; %bb.116:
	s_mov_b64 s[8:9], exec
	v_add_u32_e32 v10, v8, v6
; %bb.117:
	s_or_b64 exec, exec, s[12:13]
	s_and_b64 s[8:9], s[8:9], exec
	s_or_saveexec_b64 s[10:11], s[10:11]
	v_mov_b32_e32 v6, 0
	s_xor_b64 exec, exec, s[10:11]
	s_cbranch_execz .LBB44_93
.LBB44_118:
	ds_read_b64 v[11:12], v4 offset:528
	v_lshl_add_u32 v15, v5, 3, v25
	v_add_u32_e32 v10, 24, v15
	s_or_b64 s[8:9], s[8:9], exec
	s_waitcnt lgkmcnt(0)
	v_xor_b32_e32 v6, 0x80000000, v12
	ds_write_b32 v15, v11 offset:24
	s_or_b64 exec, exec, s[10:11]
	s_and_saveexec_b64 s[10:11], s[8:9]
	s_cbranch_execnz .LBB44_94
	s_branch .LBB44_95
.LBB44_119:
                                        ; implicit-def: $vgpr6
                                        ; implicit-def: $vgpr10
                                        ; implicit-def: $vgpr4
                                        ; implicit-def: $vgpr11
                                        ; implicit-def: $vgpr3
                                        ; implicit-def: $vgpr12
                                        ; implicit-def: $vgpr13
.LBB44_120:
	v_or_b32_e32 v3, 32, v2
	v_lshlrev_b32_e32 v4, 3, v3
	v_sub_co_u32_e32 v4, vcc, v22, v4
	s_ashr_i32 s29, s28, 31
	v_subbrev_co_u32_e32 v6, vcc, 0, v23, vcc
	s_lshl_b64 s[12:13], s[28:29], 3
	v_mov_b32_e32 v10, s13
	v_add_co_u32_e32 v4, vcc, s12, v4
	v_addc_co_u32_e32 v6, vcc, v6, v10, vcc
	v_add_co_u32_e32 v10, vcc, -8, v4
	v_addc_co_u32_e32 v4, vcc, -1, v6, vcc
	v_cmp_gt_i32_e64 s[10:11], s28, v3
	v_cndmask_b32_e64 v4, v4, v23, s[10:11]
	v_cndmask_b32_e64 v3, v10, v22, s[10:11]
	v_cmp_le_i32_e32 vcc, s28, v7
	v_mul_u32_u24_e32 v6, 0x108, v7
	s_and_saveexec_b64 s[14:15], vcc
	s_xor_b64 s[14:15], exec, s[14:15]
; %bb.121:
	v_mov_b32_e32 v10, 0
	v_add_u32_e32 v12, v8, v6
	v_mov_b32_e32 v11, v10
	ds_write_b64 v12, v[10:11]
; %bb.122:
	s_andn2_saveexec_b64 s[14:15], s[14:15]
	s_cbranch_execz .LBB44_124
; %bb.123:
	flat_load_dwordx2 v[10:11], v[3:4]
	v_add_u32_e32 v12, v8, v6
	s_waitcnt vmcnt(0) lgkmcnt(0)
	ds_write_b64 v12, v[10:11]
.LBB44_124:
	s_or_b64 exec, exec, s[14:15]
	v_add_u32_e32 v10, 8, v7
	v_cmp_le_i32_e32 vcc, s28, v10
	s_and_saveexec_b64 s[14:15], vcc
	s_xor_b64 s[14:15], exec, s[14:15]
; %bb.125:
	v_mov_b32_e32 v11, 0
	v_add_u32_e32 v13, v6, v8
	v_mov_b32_e32 v12, v11
	ds_write_b64 v13, v[11:12] offset:2112
; %bb.126:
	s_andn2_saveexec_b64 s[14:15], s[14:15]
	s_cbranch_execz .LBB44_128
; %bb.127:
	s_lshl_b64 s[16:17], s[24:25], 6
	v_mov_b32_e32 v12, s17
	v_add_co_u32_e32 v11, vcc, s16, v3
	v_addc_co_u32_e32 v12, vcc, v4, v12, vcc
	flat_load_dwordx2 v[11:12], v[11:12]
	v_add_u32_e32 v13, v6, v8
	s_waitcnt vmcnt(0) lgkmcnt(0)
	ds_write_b64 v13, v[11:12] offset:2112
.LBB44_128:
	s_or_b64 exec, exec, s[14:15]
	v_add_u32_e32 v11, 16, v7
	v_cmp_le_i32_e32 vcc, s28, v11
	s_and_saveexec_b64 s[14:15], vcc
	s_xor_b64 s[14:15], exec, s[14:15]
; %bb.129:
	v_mov_b32_e32 v12, 0
	v_add_u32_e32 v14, v6, v8
	v_mov_b32_e32 v13, v12
	ds_write_b64 v14, v[12:13] offset:4224
; %bb.130:
	s_andn2_saveexec_b64 s[14:15], s[14:15]
	s_cbranch_execz .LBB44_132
; %bb.131:
	s_lshl_b64 s[16:17], s[24:25], 7
	v_mov_b32_e32 v13, s17
	v_add_co_u32_e32 v12, vcc, s16, v3
	v_addc_co_u32_e32 v13, vcc, v4, v13, vcc
	flat_load_dwordx2 v[12:13], v[12:13]
	v_add_u32_e32 v14, v6, v8
	s_waitcnt vmcnt(0) lgkmcnt(0)
	ds_write_b64 v14, v[12:13] offset:4224
.LBB44_132:
	s_or_b64 exec, exec, s[14:15]
	v_add_u32_e32 v12, 24, v7
	v_cmp_le_i32_e32 vcc, s28, v12
                                        ; implicit-def: $vgpr13
	s_and_saveexec_b64 s[14:15], vcc
	s_xor_b64 s[14:15], exec, s[14:15]
; %bb.133:
	v_add_u32_e32 v13, 0x18c0, v6
	v_mov_b32_e32 v14, 0
	v_add_u32_e32 v16, v8, v13
	v_mov_b32_e32 v15, v14
	ds_write_b64 v16, v[14:15]
; %bb.134:
	s_andn2_saveexec_b64 s[14:15], s[14:15]
	s_cbranch_execz .LBB44_136
; %bb.135:
	v_mov_b32_e32 v13, 0xc0
	v_mad_u64_u32 v[13:14], s[16:17], s24, v13, v[3:4]
	s_mul_i32 s16, s25, 0xc0
	v_add_u32_e32 v14, s16, v14
	flat_load_dwordx2 v[14:15], v[13:14]
	v_add_u32_e32 v13, 0x18c0, v6
	v_add_u32_e32 v16, v8, v13
	s_waitcnt vmcnt(0) lgkmcnt(0)
	ds_write_b64 v16, v[14:15]
.LBB44_136:
	s_or_b64 exec, exec, s[14:15]
	v_lshlrev_b32_e32 v2, 3, v2
	v_add_co_u32_e32 v2, vcc, v3, v2
	v_addc_co_u32_e32 v3, vcc, 0, v4, vcc
	v_mov_b32_e32 v4, s13
	v_subrev_co_u32_e32 v2, vcc, s12, v2
	v_subb_co_u32_e32 v3, vcc, v3, v4, vcc
	v_add_co_u32_e32 v2, vcc, 0x108, v2
	v_addc_co_u32_e32 v3, vcc, 0, v3, vcc
	v_cndmask_b32_e64 v23, v3, v23, s[10:11]
	v_cndmask_b32_e64 v22, v2, v22, s[10:11]
	v_add_u32_e32 v4, 0x840, v6
	v_add_u32_e32 v3, 0x1080, v6
.LBB44_137:
	v_add_u32_e32 v2, v8, v6
	v_lshlrev_b32_e32 v14, 3, v7
	s_waitcnt lgkmcnt(0)
	s_barrier
	ds_read_b64 v[6:7], v2
	ds_read_b64 v[14:15], v14 offset:9088
	v_add_u32_e32 v2, v8, v4
	v_lshlrev_b32_e32 v4, 3, v10
	ds_read_b64 v[27:28], v2
	ds_read_b64 v[29:30], v4 offset:9088
	v_add_u32_e32 v3, v8, v3
	v_lshlrev_b32_e32 v10, 3, v11
	;; [unrolled: 4-line block ×3, first 2 shown]
	ds_read2_b32 v[40:41], v3 offset1:1
	ds_read_b64 v[42:43], v8 offset:9088
	s_waitcnt lgkmcnt(6)
	v_mul_f32_e32 v2, v15, v7
	v_fma_f32 v2, v14, v6, -v2
	s_waitcnt lgkmcnt(4)
	v_mul_f32_e32 v4, v30, v28
	v_add_f32_e32 v2, 0, v2
	v_fma_f32 v4, v29, v27, -v4
	s_waitcnt lgkmcnt(2)
	v_mul_f32_e32 v3, v39, v32
	v_add_f32_e32 v2, v2, v4
	v_fma_f32 v3, v38, v31, -v3
	v_mul_f32_e32 v33, v14, v7
	v_add_f32_e32 v2, v2, v3
	s_waitcnt lgkmcnt(0)
	v_mul_f32_e32 v3, v43, v41
	v_fmac_f32_e32 v33, v15, v6
	v_mul_f32_e32 v28, v29, v28
	v_fma_f32 v3, v42, v40, -v3
	v_lshl_add_u32 v8, v5, 3, v25
	v_add_f32_e32 v33, 0, v33
	v_fmac_f32_e32 v28, v30, v27
	v_add_f32_e32 v44, v2, v3
	ds_read_b128 v[10:13], v9 offset:256
	ds_read_b128 v[2:5], v9 offset:272
	ds_read2_b64 v[14:17], v8 offset1:1
	ds_read2_b64 v[6:9], v8 offset0:2 offset1:3
	v_add_f32_e32 v27, v33, v28
	v_mul_f32_e32 v28, v38, v32
	v_fmac_f32_e32 v28, v39, v31
	v_add_f32_e32 v27, v27, v28
	v_mul_f32_e32 v28, v42, v41
	v_fmac_f32_e32 v28, v43, v40
	v_add_f32_e32 v45, v27, v28
	s_waitcnt lgkmcnt(0)
	s_barrier
	ds_write_b64 v26, v[44:45]
	s_waitcnt lgkmcnt(0)
	s_barrier
	s_and_saveexec_b64 s[10:11], s[8:9]
	s_cbranch_execz .LBB44_139
; %bb.138:
	ds_read2_b64 v[27:30], v25 offset1:1
	ds_read2_b64 v[38:41], v25 offset0:2 offset1:3
	ds_read2_b64 v[42:45], v25 offset0:4 offset1:5
	s_waitcnt lgkmcnt(2)
	v_add_f32_e32 v27, v36, v27
	v_add_f32_e32 v28, v37, v28
	;; [unrolled: 1-line block ×4, first 2 shown]
	s_waitcnt lgkmcnt(1)
	v_add_f32_e32 v27, v27, v38
	v_add_f32_e32 v28, v28, v39
	;; [unrolled: 1-line block ×4, first 2 shown]
	ds_read2_b64 v[27:30], v25 offset0:6 offset1:7
	s_waitcnt lgkmcnt(1)
	v_add_f32_e32 v31, v31, v42
	v_add_f32_e32 v32, v32, v43
	;; [unrolled: 1-line block ×4, first 2 shown]
	s_waitcnt lgkmcnt(0)
	v_add_f32_e32 v27, v31, v27
	v_add_f32_e32 v28, v32, v28
	;; [unrolled: 1-line block ×4, first 2 shown]
.LBB44_139:
	s_or_b64 exec, exec, s[10:11]
	v_mul_f32_e32 v27, v15, v11
	v_fmac_f32_e32 v27, v14, v10
	v_mul_f32_e32 v10, v15, v10
	v_fma_f32 v10, v14, v11, -v10
	v_mul_f32_e32 v14, v17, v13
	v_fmac_f32_e32 v14, v16, v12
	v_mul_f32_e32 v12, v17, v12
	v_add_f32_e32 v10, 0, v10
	v_fma_f32 v12, v16, v13, -v12
	v_add_f32_e32 v10, v10, v12
	v_mul_f32_e32 v12, v7, v3
	v_fmac_f32_e32 v12, v6, v2
	v_mul_f32_e32 v2, v7, v2
	v_fma_f32 v2, v6, v3, -v2
	v_add_f32_e32 v11, 0, v27
	v_add_f32_e32 v6, v10, v2
	v_mul_f32_e32 v2, v9, v5
	v_add_f32_e32 v11, v11, v14
	v_fmac_f32_e32 v2, v8, v4
	v_mul_f32_e32 v4, v9, v4
	v_add_f32_e32 v3, v11, v12
	v_fma_f32 v4, v8, v5, -v4
	v_add_f32_e32 v2, v3, v2
	v_add_f32_e32 v3, v6, v4
	s_barrier
	ds_write_b64 v26, v[2:3]
	s_waitcnt lgkmcnt(0)
	s_barrier
	s_and_saveexec_b64 s[8:9], s[20:21]
	s_cbranch_execz .LBB44_141
; %bb.140:
	ds_read2_b64 v[2:5], v25 offset1:1
	ds_read2_b64 v[6:9], v25 offset0:2 offset1:3
	ds_read2_b64 v[10:13], v25 offset0:4 offset1:5
	s_waitcnt lgkmcnt(2)
	v_add_f32_e32 v2, v36, v2
	v_add_f32_e32 v3, v37, v3
	;; [unrolled: 1-line block ×4, first 2 shown]
	s_waitcnt lgkmcnt(1)
	v_add_f32_e32 v2, v2, v6
	v_add_f32_e32 v3, v3, v7
	;; [unrolled: 1-line block ×4, first 2 shown]
	ds_read2_b64 v[2:5], v25 offset0:6 offset1:7
	s_waitcnt lgkmcnt(1)
	v_add_f32_e32 v6, v6, v10
	v_add_f32_e32 v7, v7, v11
	;; [unrolled: 1-line block ×4, first 2 shown]
	s_waitcnt lgkmcnt(0)
	v_add_f32_e32 v2, v6, v2
	v_add_f32_e32 v3, v7, v3
	;; [unrolled: 1-line block ×4, first 2 shown]
.LBB44_141:
	s_or_b64 exec, exec, s[8:9]
	s_load_dwordx2 s[4:5], s[4:5], 0x68
	s_mul_hi_u32 s8, s7, s26
	s_mul_i32 s33, s33, s26
	s_add_i32 s8, s8, s33
	s_mul_i32 s10, s7, s26
	s_mul_i32 s8, s8, s27
	s_mul_hi_u32 s9, s10, s27
	s_add_i32 s9, s9, s8
	s_mul_i32 s8, s10, s27
	s_lshl_b64 s[8:9], s[8:9], 3
	s_waitcnt lgkmcnt(0)
	s_add_u32 s8, s4, s8
	s_mul_i32 s4, s7, s6
	s_addc_u32 s9, s5, s9
	s_ashr_i32 s5, s4, 31
	s_lshl_b64 s[4:5], s[4:5], 3
	s_add_u32 s7, s8, s4
	v_cmp_le_i32_e32 vcc, s28, v0
	s_addc_u32 s14, s9, s5
	s_and_b64 vcc, s[36:37], vcc
	s_cmp_lt_i32 s6, 1
	v_lshlrev_b32_e32 v74, 3, v0
	s_barrier
	s_cbranch_scc1 .LBB44_148
; %bb.142:
	s_mul_i32 s4, s22, s31
	s_mul_hi_u32 s5, s22, s30
	s_add_i32 s4, s5, s4
	s_mul_i32 s5, s23, s30
	s_add_i32 s5, s4, s5
	s_mul_i32 s4, s22, s30
	s_lshl_b64 s[4:5], s[4:5], 3
	v_mov_b32_e32 v2, s5
	v_subrev_co_u32_e64 v75, s[4:5], s4, v18
	v_subb_co_u32_e64 v76, s[4:5], v19, v2, s[4:5]
	v_mov_b32_e32 v2, s35
	v_subrev_co_u32_e64 v4, s[4:5], s34, v22
	v_lshlrev_b32_e32 v8, 2, v1
	v_subb_co_u32_e64 v7, s[4:5], v23, v2, s[4:5]
	v_mad_u64_u32 v[2:3], s[4:5], s24, v8, 0
	s_movk_i32 s8, 0xff00
	v_add_co_u32_e64 v9, s[4:5], s8, v4
	v_addc_co_u32_e64 v7, s[4:5], -1, v7, s[4:5]
	v_mad_u64_u32 v[3:4], s[4:5], s25, v8, v[3:4]
	v_sub_co_u32_e64 v4, s[4:5], v9, v20
	v_lshlrev_b64 v[2:3], 3, v[2:3]
	v_subb_co_u32_e64 v7, s[4:5], v7, v21, s[4:5]
	v_add_co_u32_e64 v2, s[4:5], v4, v2
	v_addc_co_u32_e64 v3, s[4:5], v7, v3, s[4:5]
	s_ashr_i32 s29, s28, 31
	s_lshl_b64 s[4:5], s[28:29], 3
	v_mov_b32_e32 v4, s5
	v_add_co_u32_e64 v7, s[4:5], s4, v2
	v_addc_co_u32_e64 v4, s[4:5], v3, v4, s[4:5]
	v_add_co_u32_e64 v7, s[4:5], -8, v7
	v_addc_co_u32_e64 v4, s[4:5], -1, v4, s[4:5]
	v_add_co_u32_e64 v2, s[4:5], v2, v74
	v_addc_co_u32_e64 v3, s[4:5], 0, v3, s[4:5]
	v_lshrrev_b32_e32 v5, 4, v24
	v_cndmask_b32_e32 v3, v3, v4, vcc
	v_mov_b32_e32 v4, 0x2180
	v_and_b32_e32 v6, 15, v0
	v_lshl_add_u32 v78, v1, 5, v4
	v_lshlrev_b32_e32 v4, 5, v5
	s_movk_i32 s8, 0x218
	v_mad_u32_u24 v81, v6, s8, v4
	v_mul_i32_i24_e32 v4, 0xffffffe8, v5
	v_and_b32_e32 v5, 48, v0
	v_lshlrev_b32_e32 v5, 3, v5
	v_mad_u32_u24 v82, v6, s8, v5
	v_or_b32_e32 v5, 0x78, v74
	v_mad_u32_u24 v83, v6, s8, v5
	s_mul_i32 s8, s25, 0x68
	s_mul_hi_u32 s9, s24, 0x68
	s_movk_i32 s4, 0x860
	s_lshl_b64 s[10:11], s[24:25], 3
	s_add_i32 s8, s9, s8
	v_mov_b32_e32 v39, 0
	v_cndmask_b32_e32 v2, v2, v7, vcc
	v_add_u32_e32 v77, 0x2180, v74
	v_add_u32_e32 v79, 0x2380, v74
	v_mad_u32_u24 v80, v1, s4, v74
	v_cmp_gt_u32_e64 s[4:5], 64, v24
	s_mul_i32 s15, s24, 0x68
	s_mov_b32 s16, 0
	v_mov_b32_e32 v84, s11
	v_mov_b32_e32 v85, s8
	v_add_u32_e32 v86, v81, v4
	s_branch .LBB44_144
.LBB44_143:                             ;   in Loop: Header=BB44_144 Depth=1
	s_or_b64 exec, exec, s[12:13]
	v_mul_f32_e32 v38, v41, v7
	v_fma_f32 v38, v40, v6, -v38
	v_add_f32_e32 v36, v36, v38
	v_mul_f32_e32 v38, v43, v9
	v_mul_f32_e32 v7, v40, v7
	v_fma_f32 v38, v42, v8, -v38
	v_mul_f32_e32 v9, v42, v9
	v_add_f32_e32 v36, v36, v38
	v_mul_f32_e32 v38, v45, v3
	v_fmac_f32_e32 v7, v41, v6
	v_fma_f32 v38, v44, v2, -v38
	v_mul_f32_e32 v3, v44, v3
	v_add_f32_e32 v6, v37, v7
	v_fmac_f32_e32 v9, v43, v8
	v_add_f32_e32 v36, v36, v38
	v_mul_f32_e32 v38, v47, v5
	v_mul_f32_e32 v5, v46, v5
	v_add_f32_e32 v6, v6, v9
	v_fmac_f32_e32 v3, v45, v2
	v_fma_f32 v38, v46, v4, -v38
	v_add_f32_e32 v2, v6, v3
	v_fmac_f32_e32 v5, v47, v4
	v_mul_f32_e32 v3, v49, v15
	v_add_f32_e32 v36, v36, v38
	v_add_f32_e32 v2, v2, v5
	v_fma_f32 v3, v48, v14, -v3
	v_mul_f32_e32 v5, v53, v17
	v_add_f32_e32 v3, v36, v3
	v_fma_f32 v5, v52, v16, -v5
	v_add_f32_e32 v3, v3, v5
	v_mul_f32_e32 v5, v51, v11
	v_mul_f32_e32 v4, v48, v15
	v_fma_f32 v5, v50, v10, -v5
	v_add_f32_e32 v3, v3, v5
	v_mul_f32_e32 v5, v55, v13
	v_fmac_f32_e32 v4, v49, v14
	v_fma_f32 v5, v54, v12, -v5
	v_add_f32_e32 v2, v2, v4
	v_mul_f32_e32 v4, v61, v23
	v_add_f32_e32 v3, v3, v5
	v_fma_f32 v4, v60, v22, -v4
	v_add_f32_e32 v3, v3, v4
	v_mul_f32_e32 v4, v57, v25
	v_mul_f32_e32 v6, v52, v17
	v_fma_f32 v4, v56, v24, -v4
	v_mul_f32_e32 v7, v50, v11
	v_fmac_f32_e32 v6, v53, v16
	v_add_f32_e32 v3, v3, v4
	v_mul_f32_e32 v4, v59, v19
	v_mul_f32_e32 v8, v54, v13
	v_add_f32_e32 v2, v2, v6
	v_fmac_f32_e32 v7, v51, v10
	v_fma_f32 v4, v58, v18, -v4
	v_add_f32_e32 v2, v2, v7
	v_fmac_f32_e32 v8, v55, v12
	v_mul_f32_e32 v5, v60, v23
	v_add_f32_e32 v3, v3, v4
	v_mul_f32_e32 v4, v63, v21
	v_add_f32_e32 v2, v2, v8
	v_mul_f32_e32 v6, v56, v25
	v_fma_f32 v4, v62, v20, -v4
	v_fmac_f32_e32 v5, v61, v22
	v_mul_f32_e32 v7, v58, v19
	v_add_f32_e32 v3, v3, v4
	v_add_f32_e32 v2, v2, v5
	v_fmac_f32_e32 v6, v57, v24
	v_mul_f32_e32 v4, v69, v31
	v_mul_f32_e32 v8, v62, v21
	v_add_f32_e32 v2, v2, v6
	v_fmac_f32_e32 v7, v59, v18
	v_fma_f32 v4, v68, v30, -v4
	v_add_f32_e32 v2, v2, v7
	v_fmac_f32_e32 v8, v63, v20
	v_mul_f32_e32 v5, v68, v31
	v_add_f32_e32 v3, v3, v4
	v_mul_f32_e32 v4, v67, v33
	v_add_f32_e32 v2, v2, v8
	v_fma_f32 v4, v66, v32, -v4
	v_mul_f32_e32 v6, v66, v33
	v_fmac_f32_e32 v5, v69, v30
	v_add_f32_e32 v3, v3, v4
	v_mul_f32_e32 v4, v71, v27
	v_mul_f32_e32 v7, v70, v27
	v_fmac_f32_e32 v6, v67, v32
	v_add_f32_e32 v2, v2, v5
	v_fma_f32 v4, v70, v26, -v4
	v_mul_f32_e32 v8, v72, v29
	v_fmac_f32_e32 v7, v71, v26
	v_add_f32_e32 v2, v2, v6
	v_add_f32_e32 v3, v3, v4
	v_mul_f32_e32 v4, v73, v29
	v_fmac_f32_e32 v8, v73, v28
	v_add_f32_e32 v2, v2, v7
	v_fma_f32 v4, v72, v28, -v4
	v_add_f32_e32 v37, v2, v8
	s_add_i32 s16, s16, 64
	s_add_i32 s6, s6, -1
	v_add_co_u32_e64 v2, s[8:9], s15, v64
	v_add_f32_e32 v36, v3, v4
	s_cmp_eq_u32 s6, 0
	v_addc_co_u32_e64 v3, s[8:9], v65, v85, s[8:9]
	s_waitcnt vmcnt(0)
	s_barrier
	s_cbranch_scc1 .LBB44_148
.LBB44_144:                             ; =>This Inner Loop Header: Depth=1
	s_and_saveexec_b64 s[12:13], s[2:3]
	s_cbranch_execz .LBB44_146
; %bb.145:                              ;   in Loop: Header=BB44_144 Depth=1
	s_mul_i32 s8, s23, s16
	s_mul_hi_u32 s9, s22, s16
	s_add_i32 s9, s9, s8
	s_mul_i32 s8, s22, s16
	s_lshl_b64 s[8:9], s[8:9], 3
	v_mov_b32_e32 v5, s9
	v_add_co_u32_e64 v4, s[8:9], s8, v75
	v_addc_co_u32_e64 v5, s[8:9], v76, v5, s[8:9]
	flat_load_dwordx2 v[4:5], v[4:5]
	s_waitcnt vmcnt(0) lgkmcnt(0)
	ds_write_b64 v77, v[4:5]
.LBB44_146:                             ;   in Loop: Header=BB44_144 Depth=1
	s_or_b64 exec, exec, s[12:13]
	s_waitcnt lgkmcnt(0)
	s_barrier
	flat_load_dwordx2 v[40:41], v[2:3]
	v_add_co_u32_e64 v2, s[8:9], s10, v2
	v_addc_co_u32_e64 v3, s[8:9], v3, v84, s[8:9]
	flat_load_dwordx2 v[42:43], v[2:3]
	v_add_co_u32_e64 v2, s[8:9], s10, v2
	v_addc_co_u32_e64 v3, s[8:9], v3, v84, s[8:9]
	v_add_co_u32_e64 v10, s[8:9], s10, v2
	v_addc_co_u32_e64 v11, s[8:9], v3, v84, s[8:9]
	flat_load_dwordx2 v[44:45], v[2:3]
	flat_load_dwordx2 v[46:47], v[10:11]
	ds_read_b64 v[12:13], v79
	ds_read_b128 v[6:9], v78
	ds_read_b128 v[2:5], v78 offset:16
	v_add_co_u32_e64 v10, s[8:9], s15, v10
	v_addc_co_u32_e64 v11, s[8:9], v11, v85, s[8:9]
	v_add_co_u32_e64 v14, s[8:9], s10, v10
	v_addc_co_u32_e64 v15, s[8:9], v11, v84, s[8:9]
	;; [unrolled: 2-line block ×3, first 2 shown]
	s_waitcnt vmcnt(0) lgkmcnt(0)
	v_mul_f32_e32 v18, v41, v13
	v_mul_f32_e32 v19, v41, v12
	v_fmac_f32_e32 v18, v40, v12
	v_fma_f32 v19, v40, v13, -v19
	v_mul_f32_e32 v20, v43, v13
	v_mul_f32_e32 v21, v43, v12
	v_fmac_f32_e32 v20, v42, v12
	v_fma_f32 v21, v42, v13, -v21
	ds_write2_b64 v80, v[18:19], v[20:21] offset1:67
	v_mul_f32_e32 v22, v45, v13
	v_mul_f32_e32 v23, v45, v12
	;; [unrolled: 1-line block ×4, first 2 shown]
	v_fmac_f32_e32 v22, v44, v12
	v_fma_f32 v23, v44, v13, -v23
	v_fmac_f32_e32 v18, v46, v12
	v_fma_f32 v19, v46, v13, -v19
	ds_write2_b64 v80, v[22:23], v[18:19] offset0:134 offset1:201
	s_waitcnt lgkmcnt(0)
	s_barrier
	ds_read2_b64 v[26:29], v81 offset1:1
	ds_read2_b64 v[30:33], v81 offset0:2 offset1:3
	s_waitcnt lgkmcnt(0)
	s_barrier
	flat_load_dwordx2 v[48:49], v[10:11]
	flat_load_dwordx2 v[52:53], v[14:15]
	;; [unrolled: 1-line block ×3, first 2 shown]
	v_add_co_u32_e64 v10, s[8:9], s10, v16
	v_addc_co_u32_e64 v11, s[8:9], v17, v84, s[8:9]
	flat_load_dwordx2 v[54:55], v[10:11]
	ds_read_b64 v[22:23], v79
	v_add_co_u32_e64 v18, s[8:9], s15, v10
	v_addc_co_u32_e64 v19, s[8:9], v11, v85, s[8:9]
	v_add_co_u32_e64 v20, s[8:9], s10, v18
	v_addc_co_u32_e64 v21, s[8:9], v19, v84, s[8:9]
	v_add_co_u32_e64 v24, s[8:9], s10, v20
	v_addc_co_u32_e64 v25, s[8:9], v21, v84, s[8:9]
	ds_read_b128 v[14:17], v78 offset:128
	ds_read_b128 v[10:13], v78 offset:144
	v_add_f32_e32 v26, 0, v26
	v_add_f32_e32 v27, 0, v27
	;; [unrolled: 1-line block ×6, first 2 shown]
	s_waitcnt vmcnt(0) lgkmcnt(0)
	v_mul_f32_e32 v56, v49, v23
	v_mul_f32_e32 v38, v49, v22
	;; [unrolled: 1-line block ×6, first 2 shown]
	v_fma_f32 v57, v48, v23, -v38
	v_mul_f32_e32 v63, v55, v22
	v_mul_f32_e32 v62, v55, v23
	v_fma_f32 v59, v52, v23, -v59
	v_fma_f32 v61, v50, v23, -v61
	v_fmac_f32_e32 v56, v48, v22
	v_fmac_f32_e32 v58, v52, v22
	;; [unrolled: 1-line block ×3, first 2 shown]
	v_fma_f32 v63, v54, v23, -v63
	v_fmac_f32_e32 v62, v54, v22
	ds_write2_b64 v80, v[56:57], v[58:59] offset1:67
	ds_write2_b64 v80, v[60:61], v[62:63] offset0:134 offset1:201
	s_waitcnt lgkmcnt(0)
	s_barrier
	ds_read2_b64 v[87:90], v81 offset1:1
	ds_read2_b64 v[91:94], v81 offset0:2 offset1:3
	s_waitcnt lgkmcnt(0)
	s_barrier
	flat_load_dwordx2 v[60:61], v[18:19]
	flat_load_dwordx2 v[56:57], v[20:21]
	;; [unrolled: 1-line block ×3, first 2 shown]
	v_add_co_u32_e64 v18, s[8:9], s10, v24
	v_addc_co_u32_e64 v19, s[8:9], v25, v84, s[8:9]
	flat_load_dwordx2 v[62:63], v[18:19]
	ds_read_b64 v[66:67], v79
	v_add_co_u32_e64 v64, s[8:9], s15, v18
	v_addc_co_u32_e64 v65, s[8:9], v19, v85, s[8:9]
	v_add_co_u32_e64 v72, s[8:9], s10, v64
	v_addc_co_u32_e64 v73, s[8:9], v65, v84, s[8:9]
	v_add_co_u32_e64 v103, s[8:9], s10, v72
	v_addc_co_u32_e64 v104, s[8:9], v73, v84, s[8:9]
	ds_read_b128 v[22:25], v78 offset:256
	ds_read_b128 v[18:21], v78 offset:272
	s_waitcnt vmcnt(0) lgkmcnt(0)
	v_mul_f32_e32 v38, v61, v66
	v_mul_f32_e32 v68, v61, v67
	;; [unrolled: 1-line block ×6, first 2 shown]
	v_fma_f32 v69, v60, v67, -v38
	v_mul_f32_e32 v98, v63, v66
	v_mul_f32_e32 v97, v63, v67
	v_fma_f32 v71, v56, v67, -v71
	v_fma_f32 v96, v58, v67, -v96
	;; [unrolled: 1-line block ×3, first 2 shown]
	v_fmac_f32_e32 v68, v60, v66
	v_fmac_f32_e32 v70, v56, v66
	v_fmac_f32_e32 v95, v58, v66
	v_fmac_f32_e32 v97, v62, v66
	ds_write2_b64 v80, v[68:69], v[70:71] offset1:67
	ds_write2_b64 v80, v[95:96], v[97:98] offset0:134 offset1:201
	s_waitcnt lgkmcnt(0)
	s_barrier
	ds_read2_b64 v[95:98], v81 offset1:1
	ds_read2_b64 v[99:102], v81 offset0:2 offset1:3
	s_waitcnt lgkmcnt(0)
	s_barrier
	flat_load_dwordx2 v[68:69], v[64:65]
	flat_load_dwordx2 v[66:67], v[72:73]
	;; [unrolled: 1-line block ×3, first 2 shown]
	v_add_co_u32_e64 v64, s[8:9], s10, v103
	v_addc_co_u32_e64 v65, s[8:9], v104, v84, s[8:9]
	flat_load_dwordx2 v[72:73], v[64:65]
	v_add_f32_e32 v103, v26, v32
	v_add_f32_e32 v104, v27, v33
	;; [unrolled: 1-line block ×10, first 2 shown]
	ds_read_b64 v[87:88], v79
	ds_read_b128 v[30:33], v78 offset:384
	ds_read_b128 v[26:29], v78 offset:400
	v_add_f32_e32 v38, 0, v95
	v_add_f32_e32 v89, 0, v96
	;; [unrolled: 1-line block ×8, first 2 shown]
	s_waitcnt vmcnt(0) lgkmcnt(0)
	v_mul_f32_e32 v38, v69, v87
	v_mul_f32_e32 v89, v69, v88
	;; [unrolled: 1-line block ×6, first 2 shown]
	v_fma_f32 v90, v68, v88, -v38
	v_mul_f32_e32 v98, v73, v87
	v_mul_f32_e32 v97, v73, v88
	v_fma_f32 v92, v66, v88, -v92
	v_fmac_f32_e32 v89, v68, v87
	v_fmac_f32_e32 v91, v66, v87
	v_fma_f32 v94, v70, v88, -v94
	v_fmac_f32_e32 v93, v70, v87
	v_fma_f32 v98, v72, v88, -v98
	v_fmac_f32_e32 v97, v72, v87
	ds_write2_b64 v80, v[89:90], v[91:92] offset1:67
	ds_write2_b64 v80, v[93:94], v[97:98] offset0:134 offset1:201
	s_waitcnt lgkmcnt(0)
	s_barrier
	ds_read2_b64 v[87:90], v81 offset1:1
	ds_read2_b64 v[91:94], v81 offset0:2 offset1:3
	s_waitcnt lgkmcnt(0)
	s_barrier
	v_add_f32_e32 v38, 0, v87
	v_add_f32_e32 v87, 0, v88
	v_add_f32_e32 v38, v38, v89
	v_add_f32_e32 v87, v87, v90
	v_add_f32_e32 v38, v38, v91
	v_add_f32_e32 v88, v87, v92
	v_add_f32_e32 v87, v38, v93
	v_add_f32_e32 v88, v88, v94
	ds_write2_b64 v86, v[103:104], v[105:106] offset1:16
	ds_write2_b64 v86, v[95:96], v[87:88] offset0:32 offset1:48
	s_waitcnt lgkmcnt(0)
	s_barrier
	s_and_saveexec_b64 s[12:13], s[4:5]
	s_cbranch_execz .LBB44_143
; %bb.147:                              ;   in Loop: Header=BB44_144 Depth=1
	ds_read_b64 v[95:96], v82
	ds_read2_b64 v[87:90], v82 offset0:1 offset1:2
	ds_read2_b64 v[91:94], v82 offset0:3 offset1:4
	s_waitcnt lgkmcnt(1)
	v_add_f32_e32 v38, v87, v95
	v_add_f32_e32 v87, v88, v96
	v_add_f32_e32 v38, v89, v38
	v_add_f32_e32 v95, v90, v87
	ds_read2_b64 v[87:90], v82 offset0:5 offset1:6
	s_waitcnt lgkmcnt(1)
	v_add_f32_e32 v38, v38, v91
	v_add_f32_e32 v91, v95, v92
	v_add_f32_e32 v38, v38, v93
	v_add_f32_e32 v95, v91, v94
	;; [unrolled: 6-line block ×6, first 2 shown]
	ds_read_b64 v[91:92], v83
	s_waitcnt lgkmcnt(1)
	v_add_f32_e32 v38, v38, v87
	v_add_f32_e32 v87, v93, v88
	;; [unrolled: 1-line block ×4, first 2 shown]
	s_waitcnt lgkmcnt(0)
	v_add_f32_e32 v87, v38, v91
	v_add_u32_e32 v38, s16, v0
	v_lshlrev_b64 v[89:90], 3, v[38:39]
	v_mov_b32_e32 v38, s14
	v_add_co_u32_e64 v89, s[8:9], s7, v89
	v_add_f32_e32 v88, v88, v92
	v_addc_co_u32_e64 v90, s[8:9], v38, v90, s[8:9]
	global_store_dwordx2 v[89:90], v[87:88], off
	s_branch .LBB44_143
.LBB44_148:
	s_movk_i32 s2, 0x218
	v_mad_u32_u24 v0, v1, s2, v74
	s_nor_b64 s[0:1], s[0:1], vcc
	ds_write_b64 v0, v[36:37]
	s_waitcnt lgkmcnt(0)
	s_barrier
	s_and_saveexec_b64 s[2:3], s[0:1]
	s_cbranch_execz .LBB44_150
; %bb.149:
	ds_read2_b64 v[0:3], v74 offset1:67
	ds_read2_b64 v[4:7], v74 offset0:134 offset1:201
	s_waitcnt lgkmcnt(1)
	v_add_f32_e32 v0, v2, v0
	v_add_f32_e32 v1, v3, v1
	v_lshlrev_b64 v[2:3], 3, v[34:35]
	s_waitcnt lgkmcnt(0)
	v_add_f32_e32 v0, v4, v0
	v_add_f32_e32 v1, v5, v1
	v_mov_b32_e32 v4, s14
	v_add_co_u32_e32 v2, vcc, s7, v2
	v_add_f32_e32 v0, v0, v6
	v_add_f32_e32 v1, v1, v7
	v_addc_co_u32_e32 v3, vcc, v4, v3, vcc
	global_store_dwordx2 v[2:3], v[0:1], off
.LBB44_150:
	s_endpgm
	.section	.rodata,"a",@progbits
	.p2align	6, 0x0
	.amdhsa_kernel _ZL26rocblas_hemvn_kernel_lowerILb1ELi64ELi4ELi33ELi32ELi16El19rocblas_complex_numIfEPKPKS1_PS1_EviT6_lT7_lT5_lS8_lS9_lS7_lT8_i
		.amdhsa_group_segment_fixed_size 9600
		.amdhsa_private_segment_fixed_size 0
		.amdhsa_kernarg_size 376
		.amdhsa_user_sgpr_count 6
		.amdhsa_user_sgpr_private_segment_buffer 1
		.amdhsa_user_sgpr_dispatch_ptr 0
		.amdhsa_user_sgpr_queue_ptr 0
		.amdhsa_user_sgpr_kernarg_segment_ptr 1
		.amdhsa_user_sgpr_dispatch_id 0
		.amdhsa_user_sgpr_flat_scratch_init 0
		.amdhsa_user_sgpr_private_segment_size 0
		.amdhsa_uses_dynamic_stack 0
		.amdhsa_system_sgpr_private_segment_wavefront_offset 0
		.amdhsa_system_sgpr_workgroup_id_x 1
		.amdhsa_system_sgpr_workgroup_id_y 0
		.amdhsa_system_sgpr_workgroup_id_z 1
		.amdhsa_system_sgpr_workgroup_info 0
		.amdhsa_system_vgpr_workitem_id 1
		.amdhsa_next_free_vgpr 107
		.amdhsa_next_free_sgpr 93
		.amdhsa_reserve_vcc 1
		.amdhsa_reserve_flat_scratch 0
		.amdhsa_float_round_mode_32 0
		.amdhsa_float_round_mode_16_64 0
		.amdhsa_float_denorm_mode_32 3
		.amdhsa_float_denorm_mode_16_64 3
		.amdhsa_dx10_clamp 1
		.amdhsa_ieee_mode 1
		.amdhsa_fp16_overflow 0
		.amdhsa_exception_fp_ieee_invalid_op 0
		.amdhsa_exception_fp_denorm_src 0
		.amdhsa_exception_fp_ieee_div_zero 0
		.amdhsa_exception_fp_ieee_overflow 0
		.amdhsa_exception_fp_ieee_underflow 0
		.amdhsa_exception_fp_ieee_inexact 0
		.amdhsa_exception_int_div_zero 0
	.end_amdhsa_kernel
	.section	.text._ZL26rocblas_hemvn_kernel_lowerILb1ELi64ELi4ELi33ELi32ELi16El19rocblas_complex_numIfEPKPKS1_PS1_EviT6_lT7_lT5_lS8_lS9_lS7_lT8_i,"axG",@progbits,_ZL26rocblas_hemvn_kernel_lowerILb1ELi64ELi4ELi33ELi32ELi16El19rocblas_complex_numIfEPKPKS1_PS1_EviT6_lT7_lT5_lS8_lS9_lS7_lT8_i,comdat
.Lfunc_end44:
	.size	_ZL26rocblas_hemvn_kernel_lowerILb1ELi64ELi4ELi33ELi32ELi16El19rocblas_complex_numIfEPKPKS1_PS1_EviT6_lT7_lT5_lS8_lS9_lS7_lT8_i, .Lfunc_end44-_ZL26rocblas_hemvn_kernel_lowerILb1ELi64ELi4ELi33ELi32ELi16El19rocblas_complex_numIfEPKPKS1_PS1_EviT6_lT7_lT5_lS8_lS9_lS7_lT8_i
                                        ; -- End function
	.set _ZL26rocblas_hemvn_kernel_lowerILb1ELi64ELi4ELi33ELi32ELi16El19rocblas_complex_numIfEPKPKS1_PS1_EviT6_lT7_lT5_lS8_lS9_lS7_lT8_i.num_vgpr, 107
	.set _ZL26rocblas_hemvn_kernel_lowerILb1ELi64ELi4ELi33ELi32ELi16El19rocblas_complex_numIfEPKPKS1_PS1_EviT6_lT7_lT5_lS8_lS9_lS7_lT8_i.num_agpr, 0
	.set _ZL26rocblas_hemvn_kernel_lowerILb1ELi64ELi4ELi33ELi32ELi16El19rocblas_complex_numIfEPKPKS1_PS1_EviT6_lT7_lT5_lS8_lS9_lS7_lT8_i.numbered_sgpr, 44
	.set _ZL26rocblas_hemvn_kernel_lowerILb1ELi64ELi4ELi33ELi32ELi16El19rocblas_complex_numIfEPKPKS1_PS1_EviT6_lT7_lT5_lS8_lS9_lS7_lT8_i.num_named_barrier, 0
	.set _ZL26rocblas_hemvn_kernel_lowerILb1ELi64ELi4ELi33ELi32ELi16El19rocblas_complex_numIfEPKPKS1_PS1_EviT6_lT7_lT5_lS8_lS9_lS7_lT8_i.private_seg_size, 0
	.set _ZL26rocblas_hemvn_kernel_lowerILb1ELi64ELi4ELi33ELi32ELi16El19rocblas_complex_numIfEPKPKS1_PS1_EviT6_lT7_lT5_lS8_lS9_lS7_lT8_i.uses_vcc, 1
	.set _ZL26rocblas_hemvn_kernel_lowerILb1ELi64ELi4ELi33ELi32ELi16El19rocblas_complex_numIfEPKPKS1_PS1_EviT6_lT7_lT5_lS8_lS9_lS7_lT8_i.uses_flat_scratch, 0
	.set _ZL26rocblas_hemvn_kernel_lowerILb1ELi64ELi4ELi33ELi32ELi16El19rocblas_complex_numIfEPKPKS1_PS1_EviT6_lT7_lT5_lS8_lS9_lS7_lT8_i.has_dyn_sized_stack, 0
	.set _ZL26rocblas_hemvn_kernel_lowerILb1ELi64ELi4ELi33ELi32ELi16El19rocblas_complex_numIfEPKPKS1_PS1_EviT6_lT7_lT5_lS8_lS9_lS7_lT8_i.has_recursion, 0
	.set _ZL26rocblas_hemvn_kernel_lowerILb1ELi64ELi4ELi33ELi32ELi16El19rocblas_complex_numIfEPKPKS1_PS1_EviT6_lT7_lT5_lS8_lS9_lS7_lT8_i.has_indirect_call, 0
	.section	.AMDGPU.csdata,"",@progbits
; Kernel info:
; codeLenInByte = 7872
; TotalNumSgprs: 48
; NumVgprs: 107
; ScratchSize: 0
; MemoryBound: 1
; FloatMode: 240
; IeeeMode: 1
; LDSByteSize: 9600 bytes/workgroup (compile time only)
; SGPRBlocks: 12
; VGPRBlocks: 26
; NumSGPRsForWavesPerEU: 97
; NumVGPRsForWavesPerEU: 107
; Occupancy: 2
; WaveLimiterHint : 1
; COMPUTE_PGM_RSRC2:SCRATCH_EN: 0
; COMPUTE_PGM_RSRC2:USER_SGPR: 6
; COMPUTE_PGM_RSRC2:TRAP_HANDLER: 0
; COMPUTE_PGM_RSRC2:TGID_X_EN: 1
; COMPUTE_PGM_RSRC2:TGID_Y_EN: 0
; COMPUTE_PGM_RSRC2:TGID_Z_EN: 1
; COMPUTE_PGM_RSRC2:TIDIG_COMP_CNT: 1
	.section	.text._ZL36rocblas_hemvn_kernel_lower_block_sumILi64El19rocblas_complex_numIfEPKPS1_S1_EviT1_lS5_lT2_lT0_lPT3_i,"axG",@progbits,_ZL36rocblas_hemvn_kernel_lower_block_sumILi64El19rocblas_complex_numIfEPKPS1_S1_EviT1_lS5_lT2_lT0_lPT3_i,comdat
	.globl	_ZL36rocblas_hemvn_kernel_lower_block_sumILi64El19rocblas_complex_numIfEPKPS1_S1_EviT1_lS5_lT2_lT0_lPT3_i ; -- Begin function _ZL36rocblas_hemvn_kernel_lower_block_sumILi64El19rocblas_complex_numIfEPKPS1_S1_EviT1_lS5_lT2_lT0_lPT3_i
	.p2align	8
	.type	_ZL36rocblas_hemvn_kernel_lower_block_sumILi64El19rocblas_complex_numIfEPKPS1_S1_EviT1_lS5_lT2_lT0_lPT3_i,@function
_ZL36rocblas_hemvn_kernel_lower_block_sumILi64El19rocblas_complex_numIfEPKPS1_S1_EviT1_lS5_lT2_lT0_lPT3_i: ; @_ZL36rocblas_hemvn_kernel_lower_block_sumILi64El19rocblas_complex_numIfEPKPS1_S1_EviT1_lS5_lT2_lT0_lPT3_i
; %bb.0:
	s_load_dwordx4 s[8:11], s[4:5], 0x0
	s_load_dwordx2 s[12:13], s[4:5], 0x18
	s_mov_b32 s14, s7
	s_waitcnt lgkmcnt(0)
	s_or_b32 s0, s9, s10
	s_bitset0_b32 s0, 31
	s_cmp_eq_u32 s0, 0
	s_cselect_b64 s[16:17], -1, 0
	s_cmp_lg_u32 s0, 0
	s_mov_b64 s[0:1], -1
	s_cbranch_scc1 .LBB45_2
; %bb.1:
	v_cmp_neq_f32_e64 s[0:1], s12, 1.0
	v_cmp_neq_f32_e64 s[2:3], s13, 0
	s_or_b64 s[0:1], s[0:1], s[2:3]
.LBB45_2:
	s_andn2_b64 vcc, exec, s[0:1]
	s_cbranch_vccnz .LBB45_19
; %bb.3:
	s_load_dwordx2 s[18:19], s[4:5], 0x28
	s_load_dwordx4 s[0:3], s[4:5], 0x30
	s_mov_b32 s15, 0
	s_lshl_b64 s[20:21], s[14:15], 3
	v_lshl_or_b32 v4, s6, 6, v0
	s_waitcnt lgkmcnt(0)
	s_add_u32 s18, s18, s20
	s_addc_u32 s19, s19, s21
	s_load_dwordx2 s[20:21], s[18:19], 0x0
	s_lshl_b64 s[0:1], s[0:1], 3
	s_mov_b64 s[18:19], -1
	s_waitcnt lgkmcnt(0)
	s_add_u32 s7, s20, s0
	s_addc_u32 s11, s21, s1
	s_andn2_b64 vcc, exec, s[16:17]
	v_cmp_gt_i32_e64 s[0:1], s8, v4
	s_cbranch_vccnz .LBB45_9
; %bb.4:
	s_and_saveexec_b64 s[16:17], s[0:1]
	s_cbranch_execz .LBB45_8
; %bb.5:
	v_ashrrev_i32_e32 v0, 31, v4
	v_mul_lo_u32 v3, s3, v4
	v_mul_lo_u32 v5, s2, v0
	v_mad_u64_u32 v[1:2], s[0:1], s2, v4, 0
	v_cmp_neq_f32_e64 s[0:1], s12, 0
	v_cmp_neq_f32_e64 s[18:19], s13, 0
	v_add3_u32 v2, v2, v5, v3
	s_or_b64 s[0:1], s[0:1], s[18:19]
	v_lshlrev_b64 v[2:3], 3, v[1:2]
	v_mov_b32_e32 v0, 0
	s_andn2_b64 vcc, exec, s[0:1]
	v_mov_b32_e32 v1, 0
	s_cbranch_vccnz .LBB45_7
; %bb.6:
	v_mov_b32_e32 v1, s11
	v_add_co_u32_e32 v0, vcc, s7, v2
	v_addc_co_u32_e32 v1, vcc, v1, v3, vcc
	flat_load_dwordx2 v[5:6], v[0:1]
	s_waitcnt vmcnt(0) lgkmcnt(0)
	v_mul_f32_e32 v0, s13, v6
	v_mul_f32_e32 v1, s12, v6
	v_fma_f32 v0, v5, s12, -v0
	v_fmac_f32_e32 v1, s13, v5
.LBB45_7:
	v_mov_b32_e32 v5, s11
	v_add_co_u32_e32 v2, vcc, s7, v2
	v_addc_co_u32_e32 v3, vcc, v5, v3, vcc
	flat_store_dwordx2 v[2:3], v[0:1]
.LBB45_8:
	s_or_b64 exec, exec, s[16:17]
	s_mov_b64 s[18:19], 0
.LBB45_9:
	s_andn2_b64 vcc, exec, s[18:19]
	s_cbranch_vccnz .LBB45_19
; %bb.10:
	v_cmp_gt_i32_e32 vcc, s8, v4
	s_and_saveexec_b64 s[0:1], vcc
	s_cbranch_execz .LBB45_19
; %bb.11:
	s_load_dword s15, s[4:5], 0x58
	v_mov_b32_e32 v2, 0
	v_mov_b32_e32 v3, 0
	s_waitcnt lgkmcnt(0)
	s_cmp_ge_i32 s6, s15
	s_cbranch_scc1 .LBB45_14
; %bb.12:
	s_load_dwordx2 s[0:1], s[4:5], 0x48
	s_ashr_i32 s5, s8, 31
	s_mul_i32 s16, s8, s6
	v_add_u32_e32 v0, s16, v4
	s_mul_hi_u32 s16, s8, s14
	s_mul_i32 s17, s5, s14
	s_mov_b32 s4, s8
	s_add_i32 s16, s16, s17
	s_mul_i32 s8, s8, s14
	s_mul_i32 s16, s16, s15
	s_mul_hi_u32 s14, s8, s15
	s_add_i32 s17, s14, s16
	s_mul_i32 s16, s8, s15
	v_ashrrev_i32_e32 v1, 31, v0
	s_lshl_b64 s[16:17], s[16:17], 3
	v_lshlrev_b64 v[0:1], 3, v[0:1]
	s_waitcnt lgkmcnt(0)
	s_add_u32 s0, s0, s16
	s_addc_u32 s1, s1, s17
	v_mov_b32_e32 v2, s1
	v_add_co_u32_e32 v0, vcc, s0, v0
	v_addc_co_u32_e32 v1, vcc, v2, v1, vcc
	v_add_co_u32_e32 v0, vcc, 4, v0
	s_lshl_b64 s[0:1], s[4:5], 3
	v_addc_co_u32_e32 v1, vcc, 0, v1, vcc
	v_mov_b32_e32 v2, 0
	v_mov_b32_e32 v5, s1
	;; [unrolled: 1-line block ×3, first 2 shown]
.LBB45_13:                              ; =>This Inner Loop Header: Depth=1
	global_load_dwordx2 v[6:7], v[0:1], off offset:-4
	s_add_i32 s6, s6, 1
	v_add_co_u32_e32 v0, vcc, s0, v0
	v_addc_co_u32_e32 v1, vcc, v1, v5, vcc
	s_cmp_ge_i32 s6, s15
	s_waitcnt vmcnt(0)
	v_add_f32_e32 v3, v3, v6
	v_add_f32_e32 v2, v2, v7
	s_cbranch_scc0 .LBB45_13
.LBB45_14:
	v_ashrrev_i32_e32 v1, 31, v4
	v_mul_lo_u32 v5, s3, v4
	v_mul_lo_u32 v6, s2, v1
	v_cmp_neq_f32_e64 s[0:1], s12, 0
	v_cmp_neq_f32_e64 s[4:5], s13, 0
	s_or_b64 s[0:1], s[0:1], s[4:5]
	v_mul_f32_e32 v0, s10, v2
	v_mul_f32_e32 v1, s9, v2
	s_andn2_b64 vcc, exec, s[0:1]
	v_fma_f32 v0, v3, s9, -v0
	v_fmac_f32_e32 v1, s10, v3
	s_cbranch_vccz .LBB45_16
; %bb.15:
	v_mad_u64_u32 v[2:3], s[0:1], s2, v4, 0
	v_add3_u32 v3, v3, v6, v5
	s_cbranch_execz .LBB45_17
	s_branch .LBB45_18
.LBB45_16:
                                        ; implicit-def: $vgpr2_vgpr3
.LBB45_17:
	v_mad_u64_u32 v[2:3], s[0:1], s2, v4, 0
	v_mov_b32_e32 v7, s11
	v_add3_u32 v3, v3, v6, v5
	v_lshlrev_b64 v[4:5], 3, v[2:3]
	v_add_co_u32_e32 v4, vcc, s7, v4
	v_addc_co_u32_e32 v5, vcc, v7, v5, vcc
	flat_load_dwordx2 v[4:5], v[4:5]
	s_waitcnt vmcnt(0) lgkmcnt(0)
	v_mul_f32_e32 v6, s13, v5
	v_mul_f32_e32 v5, s12, v5
	v_fma_f32 v6, v4, s12, -v6
	v_fmac_f32_e32 v5, s13, v4
	v_add_f32_e32 v0, v0, v6
	v_add_f32_e32 v1, v1, v5
.LBB45_18:
	v_lshlrev_b64 v[2:3], 3, v[2:3]
	v_mov_b32_e32 v4, s11
	v_add_co_u32_e32 v2, vcc, s7, v2
	v_addc_co_u32_e32 v3, vcc, v4, v3, vcc
	flat_store_dwordx2 v[2:3], v[0:1]
.LBB45_19:
	s_endpgm
	.section	.rodata,"a",@progbits
	.p2align	6, 0x0
	.amdhsa_kernel _ZL36rocblas_hemvn_kernel_lower_block_sumILi64El19rocblas_complex_numIfEPKPS1_S1_EviT1_lS5_lT2_lT0_lPT3_i
		.amdhsa_group_segment_fixed_size 0
		.amdhsa_private_segment_fixed_size 0
		.amdhsa_kernarg_size 344
		.amdhsa_user_sgpr_count 6
		.amdhsa_user_sgpr_private_segment_buffer 1
		.amdhsa_user_sgpr_dispatch_ptr 0
		.amdhsa_user_sgpr_queue_ptr 0
		.amdhsa_user_sgpr_kernarg_segment_ptr 1
		.amdhsa_user_sgpr_dispatch_id 0
		.amdhsa_user_sgpr_flat_scratch_init 0
		.amdhsa_user_sgpr_private_segment_size 0
		.amdhsa_uses_dynamic_stack 0
		.amdhsa_system_sgpr_private_segment_wavefront_offset 0
		.amdhsa_system_sgpr_workgroup_id_x 1
		.amdhsa_system_sgpr_workgroup_id_y 0
		.amdhsa_system_sgpr_workgroup_id_z 1
		.amdhsa_system_sgpr_workgroup_info 0
		.amdhsa_system_vgpr_workitem_id 0
		.amdhsa_next_free_vgpr 8
		.amdhsa_next_free_sgpr 22
		.amdhsa_reserve_vcc 1
		.amdhsa_reserve_flat_scratch 0
		.amdhsa_float_round_mode_32 0
		.amdhsa_float_round_mode_16_64 0
		.amdhsa_float_denorm_mode_32 3
		.amdhsa_float_denorm_mode_16_64 3
		.amdhsa_dx10_clamp 1
		.amdhsa_ieee_mode 1
		.amdhsa_fp16_overflow 0
		.amdhsa_exception_fp_ieee_invalid_op 0
		.amdhsa_exception_fp_denorm_src 0
		.amdhsa_exception_fp_ieee_div_zero 0
		.amdhsa_exception_fp_ieee_overflow 0
		.amdhsa_exception_fp_ieee_underflow 0
		.amdhsa_exception_fp_ieee_inexact 0
		.amdhsa_exception_int_div_zero 0
	.end_amdhsa_kernel
	.section	.text._ZL36rocblas_hemvn_kernel_lower_block_sumILi64El19rocblas_complex_numIfEPKPS1_S1_EviT1_lS5_lT2_lT0_lPT3_i,"axG",@progbits,_ZL36rocblas_hemvn_kernel_lower_block_sumILi64El19rocblas_complex_numIfEPKPS1_S1_EviT1_lS5_lT2_lT0_lPT3_i,comdat
.Lfunc_end45:
	.size	_ZL36rocblas_hemvn_kernel_lower_block_sumILi64El19rocblas_complex_numIfEPKPS1_S1_EviT1_lS5_lT2_lT0_lPT3_i, .Lfunc_end45-_ZL36rocblas_hemvn_kernel_lower_block_sumILi64El19rocblas_complex_numIfEPKPS1_S1_EviT1_lS5_lT2_lT0_lPT3_i
                                        ; -- End function
	.set _ZL36rocblas_hemvn_kernel_lower_block_sumILi64El19rocblas_complex_numIfEPKPS1_S1_EviT1_lS5_lT2_lT0_lPT3_i.num_vgpr, 8
	.set _ZL36rocblas_hemvn_kernel_lower_block_sumILi64El19rocblas_complex_numIfEPKPS1_S1_EviT1_lS5_lT2_lT0_lPT3_i.num_agpr, 0
	.set _ZL36rocblas_hemvn_kernel_lower_block_sumILi64El19rocblas_complex_numIfEPKPS1_S1_EviT1_lS5_lT2_lT0_lPT3_i.numbered_sgpr, 22
	.set _ZL36rocblas_hemvn_kernel_lower_block_sumILi64El19rocblas_complex_numIfEPKPS1_S1_EviT1_lS5_lT2_lT0_lPT3_i.num_named_barrier, 0
	.set _ZL36rocblas_hemvn_kernel_lower_block_sumILi64El19rocblas_complex_numIfEPKPS1_S1_EviT1_lS5_lT2_lT0_lPT3_i.private_seg_size, 0
	.set _ZL36rocblas_hemvn_kernel_lower_block_sumILi64El19rocblas_complex_numIfEPKPS1_S1_EviT1_lS5_lT2_lT0_lPT3_i.uses_vcc, 1
	.set _ZL36rocblas_hemvn_kernel_lower_block_sumILi64El19rocblas_complex_numIfEPKPS1_S1_EviT1_lS5_lT2_lT0_lPT3_i.uses_flat_scratch, 0
	.set _ZL36rocblas_hemvn_kernel_lower_block_sumILi64El19rocblas_complex_numIfEPKPS1_S1_EviT1_lS5_lT2_lT0_lPT3_i.has_dyn_sized_stack, 0
	.set _ZL36rocblas_hemvn_kernel_lower_block_sumILi64El19rocblas_complex_numIfEPKPS1_S1_EviT1_lS5_lT2_lT0_lPT3_i.has_recursion, 0
	.set _ZL36rocblas_hemvn_kernel_lower_block_sumILi64El19rocblas_complex_numIfEPKPS1_S1_EviT1_lS5_lT2_lT0_lPT3_i.has_indirect_call, 0
	.section	.AMDGPU.csdata,"",@progbits
; Kernel info:
; codeLenInByte = 736
; TotalNumSgprs: 26
; NumVgprs: 8
; ScratchSize: 0
; MemoryBound: 0
; FloatMode: 240
; IeeeMode: 1
; LDSByteSize: 0 bytes/workgroup (compile time only)
; SGPRBlocks: 3
; VGPRBlocks: 1
; NumSGPRsForWavesPerEU: 26
; NumVGPRsForWavesPerEU: 8
; Occupancy: 10
; WaveLimiterHint : 1
; COMPUTE_PGM_RSRC2:SCRATCH_EN: 0
; COMPUTE_PGM_RSRC2:USER_SGPR: 6
; COMPUTE_PGM_RSRC2:TRAP_HANDLER: 0
; COMPUTE_PGM_RSRC2:TGID_X_EN: 1
; COMPUTE_PGM_RSRC2:TGID_Y_EN: 0
; COMPUTE_PGM_RSRC2:TGID_Z_EN: 1
; COMPUTE_PGM_RSRC2:TIDIG_COMP_CNT: 0
	.section	.text._ZL26rocblas_hemvn_kernel_lowerILb1ELi64ELi4ELi33ELi32ELi16Ei19rocblas_complex_numIfEPKPKS1_PS1_EviT6_lT7_lT5_lS8_lS9_lS7_lT8_i,"axG",@progbits,_ZL26rocblas_hemvn_kernel_lowerILb1ELi64ELi4ELi33ELi32ELi16Ei19rocblas_complex_numIfEPKPKS1_PS1_EviT6_lT7_lT5_lS8_lS9_lS7_lT8_i,comdat
	.globl	_ZL26rocblas_hemvn_kernel_lowerILb1ELi64ELi4ELi33ELi32ELi16Ei19rocblas_complex_numIfEPKPKS1_PS1_EviT6_lT7_lT5_lS8_lS9_lS7_lT8_i ; -- Begin function _ZL26rocblas_hemvn_kernel_lowerILb1ELi64ELi4ELi33ELi32ELi16Ei19rocblas_complex_numIfEPKPKS1_PS1_EviT6_lT7_lT5_lS8_lS9_lS7_lT8_i
	.p2align	8
	.type	_ZL26rocblas_hemvn_kernel_lowerILb1ELi64ELi4ELi33ELi32ELi16Ei19rocblas_complex_numIfEPKPKS1_PS1_EviT6_lT7_lT5_lS8_lS9_lS7_lT8_i,@function
_ZL26rocblas_hemvn_kernel_lowerILb1ELi64ELi4ELi33ELi32ELi16Ei19rocblas_complex_numIfEPKPKS1_PS1_EviT6_lT7_lT5_lS8_lS9_lS7_lT8_i: ; @_ZL26rocblas_hemvn_kernel_lowerILb1ELi64ELi4ELi33ELi32ELi16Ei19rocblas_complex_numIfEPKPKS1_PS1_EviT6_lT7_lT5_lS8_lS9_lS7_lT8_i
; %bb.0:
	s_load_dwordx2 s[2:3], s[4:5], 0x84
	s_add_u32 s0, s4, 0x78
	s_mov_b32 s22, s7
	s_addc_u32 s1, s5, 0
	s_waitcnt lgkmcnt(0)
	s_lshr_b32 s7, s2, 16
	s_and_b32 s2, s2, 0xffff
	s_and_b32 s3, s3, 0xffff
	s_mul_i32 s2, s7, s2
	s_mul_i32 s2, s2, s3
	s_cmpk_lg_i32 s2, 0x100
	s_cbranch_scc1 .LBB46_150
; %bb.1:
	s_load_dwordx2 s[2:3], s[4:5], 0x4
	v_mov_b32_e32 v2, v1
	s_waitcnt lgkmcnt(0)
	s_or_b32 s2, s2, s3
	s_bitset0_b32 s2, 31
	s_cmp_lg_u32 s2, 0
	s_mov_b64 s[2:3], -1
	s_cbranch_scc1 .LBB46_3
; %bb.2:
	s_load_dwordx2 s[2:3], s[4:5], 0x58
	s_waitcnt lgkmcnt(0)
	v_cmp_eq_f32_e64 s[8:9], s2, 1.0
	v_cmp_eq_f32_e64 s[2:3], s3, 0
	s_and_b64 s[2:3], s[8:9], s[2:3]
	s_andn2_b64 vcc, exec, s[2:3]
	s_mov_b64 s[2:3], 0
.LBB46_3:
	s_andn2_b64 vcc, exec, s[2:3]
	s_cbranch_vccnz .LBB46_150
; %bb.4:
	s_load_dwordx4 s[8:11], s[4:5], 0x18
	s_load_dwordx4 s[12:15], s[4:5], 0x38
	s_load_dword s7, s[4:5], 0x48
	s_mov_b32 s23, 0
	s_lshl_b64 s[2:3], s[22:23], 3
	s_waitcnt lgkmcnt(0)
	s_add_u32 s16, s8, s2
	s_addc_u32 s17, s9, s3
	s_add_u32 s2, s12, s2
	s_addc_u32 s3, s13, s3
	s_load_dwordx2 s[12:13], s[2:3], 0x0
	s_load_dword s23, s[4:5], 0x0
	s_load_dword s33, s[0:1], 0x0
	s_load_dwordx2 s[8:9], s[16:17], 0x0
	s_lshl_b64 s[0:1], s[14:15], 3
	s_waitcnt lgkmcnt(0)
	s_add_u32 s0, s12, s0
	s_addc_u32 s1, s13, s1
	s_lshl_b32 s26, s6, 6
	v_add_u32_e32 v35, s26, v0
	v_mul_lo_u32 v3, s7, v35
	s_ashr_i32 s42, s23, 31
	s_lshr_b32 s3, s42, 26
	s_add_i32 s3, s23, s3
	v_ashrrev_i32_e32 v4, 31, v3
	s_andn2_b32 s3, s3, 63
	v_lshlrev_b64 v[3:4], 3, v[3:4]
	s_add_i32 s2, s33, -1
	s_sub_i32 s3, s23, s3
	s_cmp_eq_u32 s6, s2
	v_mov_b32_e32 v1, s1
	v_add_co_u32_e32 v19, vcc, s0, v3
	s_cselect_b32 s24, s3, 0
	v_addc_co_u32_e32 v20, vcc, v1, v4, vcc
	v_cmp_ne_u32_e64 s[0:1], 0, v2
	v_cmp_eq_u32_e64 s[2:3], 0, v2
	s_and_saveexec_b64 s[12:13], s[2:3]
	s_cbranch_execz .LBB46_9
; %bb.5:
	s_cmp_lg_u32 s24, 0
	s_cselect_b64 s[14:15], -1, 0
	v_cmp_le_i32_e32 vcc, s24, v0
	v_mov_b32_e32 v1, 0x2380
	s_and_b64 s[14:15], s[14:15], vcc
	v_lshl_add_u32 v1, v0, 3, v1
	s_and_saveexec_b64 s[16:17], s[14:15]
	s_xor_b64 s[14:15], exec, s[16:17]
; %bb.6:
	v_mov_b32_e32 v3, 0
	v_mov_b32_e32 v4, v3
	ds_write_b64 v1, v[3:4]
                                        ; implicit-def: $vgpr1
; %bb.7:
	s_andn2_saveexec_b64 s[14:15], s[14:15]
	s_cbranch_execz .LBB46_9
; %bb.8:
	flat_load_dwordx2 v[3:4], v[19:20]
	s_waitcnt vmcnt(0) lgkmcnt(0)
	ds_write_b64 v1, v[3:4]
.LBB46_9:
	s_or_b64 exec, exec, s[12:13]
	s_load_dword s28, s[4:5], 0x28
	s_lshl_b64 s[10:11], s[10:11], 3
	v_lshl_add_u32 v25, v2, 6, v0
	s_add_u32 s10, s8, s10
	v_and_b32_e32 v1, 31, v0
	v_lshrrev_b32_e32 v7, 5, v25
	s_addc_u32 s11, s9, s11
	s_waitcnt lgkmcnt(0)
	v_mad_u64_u32 v[3:4], s[8:9], s28, v7, v[1:2]
	s_ashr_i32 s27, s26, 31
	s_lshl_b64 s[8:9], s[26:27], 3
	v_ashrrev_i32_e32 v4, 31, v3
	v_lshlrev_b64 v[21:22], 3, v[3:4]
	s_add_u32 s8, s10, s8
	s_addc_u32 s9, s11, s9
	v_add_co_u32_e32 v4, vcc, s8, v21
	s_mul_i32 s8, s28, s26
	v_mov_b32_e32 v3, s9
	s_ashr_i32 s9, s8, 31
	v_addc_co_u32_e32 v5, vcc, v3, v22, vcc
	s_lshl_b64 s[30:31], s[8:9], 3
	v_mov_b32_e32 v6, s31
	v_add_co_u32_e32 v3, vcc, s30, v4
	s_cmp_lg_u32 s24, 0
	v_addc_co_u32_e32 v4, vcc, v5, v6, vcc
	s_cselect_b64 s[34:35], -1, 0
	s_cmp_eq_u32 s24, 0
	s_cselect_b64 s[18:19], -1, 0
	s_mov_b64 s[8:9], -1
	s_and_b64 vcc, exec, s[34:35]
	s_cbranch_vccnz .LBB46_11
; %bb.10:
	s_lshl_b32 s8, s28, 3
	s_ashr_i32 s9, s8, 31
	s_lshl_b64 s[8:9], s[8:9], 3
	v_mov_b32_e32 v6, s9
	v_add_co_u32_e32 v5, vcc, s8, v3
	s_ashr_i32 s29, s28, 31
	v_addc_co_u32_e32 v6, vcc, v4, v6, vcc
	s_lshl_b64 s[8:9], s[28:29], 6
	v_mov_b32_e32 v11, s9
	v_add_co_u32_e32 v8, vcc, s8, v5
	v_addc_co_u32_e32 v9, vcc, v6, v11, vcc
	v_add_co_u32_e32 v10, vcc, s8, v8
	v_addc_co_u32_e32 v11, vcc, v9, v11, vcc
	flat_load_dwordx2 v[12:13], v[3:4]
	flat_load_dwordx2 v[14:15], v[5:6]
	flat_load_dwordx2 v[16:17], v[8:9]
	flat_load_dwordx2 v[23:24], v[10:11]
	v_mul_u32_u24_e32 v5, 0x108, v7
	v_lshl_add_u32 v5, v1, 3, v5
	s_mov_b64 s[8:9], 0
	s_waitcnt vmcnt(0) lgkmcnt(0)
	ds_write_b64 v5, v[12:13]
	ds_write_b64 v5, v[14:15] offset:2112
	ds_write_b64 v5, v[16:17] offset:4224
	ds_write_b64 v5, v[23:24] offset:6336
.LBB46_11:
	s_andn2_b64 vcc, exec, s[8:9]
	v_lshlrev_b32_e32 v8, 3, v1
	s_cbranch_vccnz .LBB46_29
; %bb.12:
	v_sub_co_u32_e32 v5, vcc, v3, v8
	s_ashr_i32 s25, s24, 31
	v_subbrev_co_u32_e32 v6, vcc, 0, v4, vcc
	s_lshl_b64 s[10:11], s[24:25], 3
	v_mov_b32_e32 v9, s11
	v_add_co_u32_e32 v5, vcc, s10, v5
	v_addc_co_u32_e32 v6, vcc, v6, v9, vcc
	v_add_co_u32_e32 v5, vcc, -8, v5
	v_addc_co_u32_e32 v6, vcc, -1, v6, vcc
	v_cmp_gt_i32_e32 vcc, s24, v1
	v_cndmask_b32_e32 v6, v6, v4, vcc
	v_cndmask_b32_e32 v5, v5, v3, vcc
	v_cmp_le_i32_e64 s[8:9], s24, v7
	v_mul_u32_u24_e32 v9, 0x108, v7
	s_and_saveexec_b64 s[12:13], s[8:9]
	s_xor_b64 s[8:9], exec, s[12:13]
; %bb.13:
	v_mov_b32_e32 v10, 0
	v_add_u32_e32 v12, v8, v9
	v_mov_b32_e32 v11, v10
	ds_write_b64 v12, v[10:11]
; %bb.14:
	s_andn2_saveexec_b64 s[8:9], s[8:9]
	s_cbranch_execz .LBB46_16
; %bb.15:
	flat_load_dwordx2 v[10:11], v[5:6]
	v_add_u32_e32 v12, v8, v9
	s_waitcnt vmcnt(0) lgkmcnt(0)
	ds_write_b64 v12, v[10:11]
.LBB46_16:
	s_or_b64 exec, exec, s[8:9]
	v_add_u32_e32 v10, 8, v7
	v_cmp_le_i32_e64 s[8:9], s24, v10
	s_and_saveexec_b64 s[12:13], s[8:9]
	s_xor_b64 s[8:9], exec, s[12:13]
; %bb.17:
	v_mov_b32_e32 v10, 0
	v_add_u32_e32 v12, v9, v8
	v_mov_b32_e32 v11, v10
	ds_write_b64 v12, v[10:11] offset:2112
; %bb.18:
	s_andn2_saveexec_b64 s[12:13], s[8:9]
	s_cbranch_execz .LBB46_20
; %bb.19:
	s_lshl_b32 s8, s28, 3
	s_ashr_i32 s9, s8, 31
	s_lshl_b64 s[8:9], s[8:9], 3
	v_mov_b32_e32 v11, s9
	v_add_co_u32_e64 v10, s[8:9], s8, v5
	v_addc_co_u32_e64 v11, s[8:9], v6, v11, s[8:9]
	flat_load_dwordx2 v[10:11], v[10:11]
	v_add_u32_e32 v12, v9, v8
	s_waitcnt vmcnt(0) lgkmcnt(0)
	ds_write_b64 v12, v[10:11] offset:2112
.LBB46_20:
	s_or_b64 exec, exec, s[12:13]
	v_add_u32_e32 v10, 16, v7
	v_cmp_le_i32_e64 s[8:9], s24, v10
	s_and_saveexec_b64 s[12:13], s[8:9]
	s_xor_b64 s[8:9], exec, s[12:13]
; %bb.21:
	v_mov_b32_e32 v10, 0
	v_add_u32_e32 v12, v9, v8
	v_mov_b32_e32 v11, v10
	ds_write_b64 v12, v[10:11] offset:4224
; %bb.22:
	s_andn2_saveexec_b64 s[12:13], s[8:9]
	s_cbranch_execz .LBB46_24
; %bb.23:
	s_lshl_b32 s8, s28, 4
	s_ashr_i32 s9, s8, 31
	s_lshl_b64 s[8:9], s[8:9], 3
	v_mov_b32_e32 v11, s9
	v_add_co_u32_e64 v10, s[8:9], s8, v5
	v_addc_co_u32_e64 v11, s[8:9], v6, v11, s[8:9]
	flat_load_dwordx2 v[10:11], v[10:11]
	v_add_u32_e32 v12, v9, v8
	s_waitcnt vmcnt(0) lgkmcnt(0)
	ds_write_b64 v12, v[10:11] offset:4224
.LBB46_24:
	s_or_b64 exec, exec, s[12:13]
	v_add_u32_e32 v10, 24, v7
	v_cmp_le_i32_e64 s[8:9], s24, v10
	s_and_saveexec_b64 s[12:13], s[8:9]
	s_xor_b64 s[8:9], exec, s[12:13]
; %bb.25:
	v_add_u32_e32 v11, v9, v8
	v_mov_b32_e32 v9, 0
	v_mov_b32_e32 v10, v9
	ds_write_b64 v11, v[9:10] offset:6336
                                        ; implicit-def: $vgpr9
; %bb.26:
	s_andn2_saveexec_b64 s[12:13], s[8:9]
	s_cbranch_execz .LBB46_28
; %bb.27:
	s_mul_i32 s8, s28, 24
	s_ashr_i32 s9, s8, 31
	s_lshl_b64 s[8:9], s[8:9], 3
	v_mov_b32_e32 v11, s9
	v_add_co_u32_e64 v10, s[8:9], s8, v5
	v_addc_co_u32_e64 v11, s[8:9], v6, v11, s[8:9]
	flat_load_dwordx2 v[10:11], v[10:11]
	v_add_u32_e32 v9, v9, v8
	s_waitcnt vmcnt(0) lgkmcnt(0)
	ds_write_b64 v9, v[10:11] offset:6336
.LBB46_28:
	s_or_b64 exec, exec, s[12:13]
	v_add_co_u32_e64 v5, s[8:9], v5, v8
	v_addc_co_u32_e64 v6, s[8:9], 0, v6, s[8:9]
	v_mov_b32_e32 v9, s11
	v_subrev_co_u32_e64 v5, s[8:9], s10, v5
	v_subb_co_u32_e64 v6, s[8:9], v6, v9, s[8:9]
	v_add_co_u32_e64 v5, s[8:9], 8, v5
	v_addc_co_u32_e64 v6, s[8:9], 0, v6, s[8:9]
	v_cndmask_b32_e32 v4, v6, v4, vcc
	v_cndmask_b32_e32 v3, v5, v3, vcc
.LBB46_29:
	v_lshlrev_b32_e32 v5, 2, v7
	v_mul_u32_u24_e32 v6, 0x108, v1
	v_cmp_ge_u32_e64 s[8:9], v5, v1
	s_mov_b64 s[10:11], 0
	s_waitcnt lgkmcnt(0)
	s_barrier
                                        ; implicit-def: $vgpr10
	s_and_saveexec_b64 s[12:13], s[8:9]
	s_xor_b64 s[12:13], exec, s[12:13]
	s_cbranch_execz .LBB46_33
; %bb.30:
	v_cmp_eq_u32_e32 vcc, v5, v1
                                        ; implicit-def: $vgpr10
	s_and_saveexec_b64 s[14:15], vcc
	s_xor_b64 s[14:15], exec, s[14:15]
; %bb.31:
	s_mov_b64 s[10:11], exec
	v_add_u32_e32 v10, v8, v6
; %bb.32:
	s_or_b64 exec, exec, s[14:15]
	s_and_b64 s[10:11], s[10:11], exec
.LBB46_33:
	s_or_saveexec_b64 s[12:13], s[12:13]
	v_lshl_or_b32 v9, v1, 8, v8
	v_mov_b32_e32 v11, 0
	s_xor_b64 exec, exec, s[12:13]
	s_cbranch_execz .LBB46_35
; %bb.34:
	s_movk_i32 s14, 0x420
	v_mad_u32_u24 v10, v7, s14, v8
	ds_read_b64 v[12:13], v10
	v_lshl_add_u32 v10, v5, 3, v9
	s_or_b64 s[10:11], s[10:11], exec
	s_waitcnt lgkmcnt(0)
	v_xor_b32_e32 v11, 0x80000000, v13
	ds_write_b32 v10, v12
.LBB46_35:
	s_or_b64 exec, exec, s[12:13]
	s_and_saveexec_b64 s[12:13], s[10:11]
; %bb.36:
	ds_write_b32 v10, v11 offset:4
; %bb.37:
	s_or_b64 exec, exec, s[12:13]
	v_or_b32_e32 v10, 1, v5
	v_cmp_ge_u32_e64 s[10:11], v10, v1
	s_mov_b64 s[12:13], 0
                                        ; implicit-def: $vgpr11
	s_and_saveexec_b64 s[14:15], s[10:11]
	s_xor_b64 s[14:15], exec, s[14:15]
	s_cbranch_execnz .LBB46_99
; %bb.38:
	s_or_saveexec_b64 s[14:15], s[14:15]
	v_mov_b32_e32 v12, 0
	s_xor_b64 exec, exec, s[14:15]
	s_cbranch_execnz .LBB46_102
.LBB46_39:
	s_or_b64 exec, exec, s[14:15]
	s_and_saveexec_b64 s[14:15], s[12:13]
.LBB46_40:
	ds_write_b32 v11, v12 offset:4
.LBB46_41:
	s_or_b64 exec, exec, s[14:15]
	v_or_b32_e32 v11, 2, v5
	v_cmp_ge_u32_e64 s[12:13], v11, v1
	s_mov_b64 s[14:15], 0
                                        ; implicit-def: $vgpr12
	s_and_saveexec_b64 s[16:17], s[12:13]
	s_xor_b64 s[16:17], exec, s[16:17]
	s_cbranch_execnz .LBB46_103
; %bb.42:
	s_or_saveexec_b64 s[16:17], s[16:17]
	v_mov_b32_e32 v13, 0
	s_xor_b64 exec, exec, s[16:17]
	s_cbranch_execnz .LBB46_106
.LBB46_43:
	s_or_b64 exec, exec, s[16:17]
	s_and_saveexec_b64 s[16:17], s[14:15]
.LBB46_44:
	ds_write_b32 v12, v13 offset:4
.LBB46_45:
	s_or_b64 exec, exec, s[16:17]
	v_or_b32_e32 v12, 3, v5
	v_cmp_ge_u32_e64 s[14:15], v12, v1
	s_mov_b64 s[16:17], 0
                                        ; implicit-def: $vgpr13
	s_and_saveexec_b64 s[20:21], s[14:15]
	s_xor_b64 s[20:21], exec, s[20:21]
	s_cbranch_execnz .LBB46_107
; %bb.46:
	s_or_saveexec_b64 s[20:21], s[20:21]
	v_mov_b32_e32 v14, 0
	s_xor_b64 exec, exec, s[20:21]
	s_cbranch_execnz .LBB46_110
.LBB46_47:
	s_or_b64 exec, exec, s[20:21]
	s_and_saveexec_b64 s[20:21], s[16:17]
.LBB46_48:
	ds_write_b32 v13, v14 offset:4
.LBB46_49:
	s_or_b64 exec, exec, s[20:21]
	s_movk_i32 s16, 0x420
	v_mad_u32_u24 v13, v7, s16, v8
	s_waitcnt lgkmcnt(0)
	s_barrier
	v_lshlrev_b32_e32 v9, 3, v5
	ds_read_b64 v[17:18], v13
	ds_read_b128 v[13:16], v9 offset:9088
	ds_read_b128 v[26:29], v9 offset:9104
	s_movk_i32 s16, 0x108
	v_mov_b32_e32 v36, 0
	v_cmp_gt_u32_e64 s[20:21], 32, v25
	s_waitcnt lgkmcnt(1)
	v_mul_f32_e32 v23, v14, v18
	v_fma_f32 v23, v13, v17, -v23
	v_mul_f32_e32 v13, v13, v18
	v_mad_u32_u24 v18, v10, s16, v8
	ds_read2_b64 v[30:33], v18 offset1:33
	v_fmac_f32_e32 v13, v14, v17
	v_add_f32_e32 v14, 0, v23
	v_add_f32_e32 v13, 0, v13
	v_mov_b32_e32 v37, 0
	s_waitcnt lgkmcnt(0)
	v_mul_f32_e32 v17, v16, v31
	v_fma_f32 v17, v15, v30, -v17
	v_mul_f32_e32 v15, v15, v31
	v_fmac_f32_e32 v15, v16, v30
	v_add_f32_e32 v16, v14, v17
	v_add_f32_e32 v15, v13, v15
	ds_read_b64 v[13:14], v18 offset:528
	v_mul_f32_e32 v17, v27, v33
	v_fma_f32 v17, v26, v32, -v17
	v_mul_f32_e32 v18, v26, v33
	v_fmac_f32_e32 v18, v27, v32
	v_add_f32_e32 v16, v16, v17
	s_waitcnt lgkmcnt(0)
	v_mul_f32_e32 v17, v29, v14
	v_mul_f32_e32 v14, v28, v14
	v_add_f32_e32 v15, v15, v18
	v_fmac_f32_e32 v14, v29, v13
	v_add_f32_e32 v14, v15, v14
	v_mul_u32_u24_e32 v15, 33, v1
	v_fma_f32 v17, v28, v13, -v17
	v_lshlrev_b32_e32 v26, 3, v15
	v_add_f32_e32 v13, v16, v17
	v_lshl_add_u32 v27, v7, 3, v26
	s_barrier
	ds_write_b64 v27, v[13:14]
	s_waitcnt lgkmcnt(0)
	s_barrier
	s_and_saveexec_b64 s[16:17], s[20:21]
	s_cbranch_execz .LBB46_51
; %bb.50:
	ds_read2_b64 v[13:16], v26 offset1:7
	ds_read2_b64 v[28:31], v26 offset0:1 offset1:2
	ds_read2_b64 v[36:39], v26 offset0:3 offset1:4
	s_waitcnt lgkmcnt(1)
	v_add_f32_e32 v13, v28, v13
	v_add_f32_e32 v14, v29, v14
	;; [unrolled: 1-line block ×4, first 2 shown]
	ds_read2_b64 v[28:31], v26 offset0:5 offset1:6
	s_waitcnt lgkmcnt(1)
	v_add_f32_e32 v13, v13, v36
	v_add_f32_e32 v14, v14, v37
	;; [unrolled: 1-line block ×4, first 2 shown]
	s_waitcnt lgkmcnt(0)
	v_add_f32_e32 v13, v13, v28
	v_add_f32_e32 v14, v14, v29
	;; [unrolled: 1-line block ×6, first 2 shown]
.LBB46_51:
	s_or_b64 exec, exec, s[16:17]
	s_lshl_b32 s16, s28, 5
	s_ashr_i32 s17, s16, 31
	s_lshl_b64 s[36:37], s[16:17], 3
	v_mov_b32_e32 v13, s37
	v_add_co_u32_e32 v3, vcc, s36, v3
	v_addc_co_u32_e32 v4, vcc, v4, v13, vcc
	v_add_co_u32_e32 v13, vcc, 0x100, v3
	v_addc_co_u32_e32 v14, vcc, 0, v4, vcc
	v_cndmask_b32_e64 v15, 0, 1, s[18:19]
	v_cmp_ne_u32_e64 s[16:17], 1, v15
	s_andn2_b64 vcc, exec, s[18:19]
	s_mov_b64 s[18:19], -1
	s_barrier
	s_cbranch_vccnz .LBB46_53
; %bb.52:
	s_lshl_b32 s18, s28, 3
	s_ashr_i32 s19, s18, 31
	s_lshl_b64 s[18:19], s[18:19], 3
	v_mov_b32_e32 v16, s19
	v_add_co_u32_e32 v15, vcc, s18, v3
	s_ashr_i32 s29, s28, 31
	v_addc_co_u32_e32 v16, vcc, v4, v16, vcc
	s_lshl_b64 s[18:19], s[28:29], 6
	v_mov_b32_e32 v24, s19
	v_add_co_u32_e32 v17, vcc, s18, v15
	v_addc_co_u32_e32 v18, vcc, v16, v24, vcc
	v_add_co_u32_e32 v23, vcc, s18, v17
	v_addc_co_u32_e32 v24, vcc, v18, v24, vcc
	flat_load_dwordx2 v[28:29], v[3:4] offset:256
	flat_load_dwordx2 v[30:31], v[15:16] offset:256
	;; [unrolled: 1-line block ×4, first 2 shown]
	s_movk_i32 s18, 0x108
	v_mad_u32_u24 v15, v7, s18, v8
	s_mov_b64 s[18:19], 0
	s_waitcnt vmcnt(0) lgkmcnt(0)
	ds_write_b64 v15, v[28:29]
	ds_write_b64 v15, v[30:31] offset:2112
	ds_write_b64 v15, v[32:33] offset:4224
	ds_write_b64 v15, v[38:39] offset:6336
.LBB46_53:
	s_andn2_b64 vcc, exec, s[18:19]
	s_cbranch_vccnz .LBB46_71
; %bb.54:
	v_sub_co_u32_e32 v3, vcc, v3, v8
	s_ashr_i32 s25, s24, 31
	v_subbrev_co_u32_e32 v4, vcc, 0, v4, vcc
	s_lshl_b64 s[38:39], s[24:25], 3
	v_mov_b32_e32 v16, s39
	v_add_co_u32_e32 v3, vcc, s38, v3
	v_addc_co_u32_e32 v4, vcc, v4, v16, vcc
	v_or_b32_e32 v15, 32, v1
	v_add_co_u32_e32 v3, vcc, -8, v3
	v_addc_co_u32_e32 v4, vcc, -1, v4, vcc
	v_cmp_gt_i32_e64 s[18:19], s24, v15
	s_sub_i32 s25, s24, 32
	v_cndmask_b32_e64 v4, v4, v14, s[18:19]
	v_cndmask_b32_e64 v3, v3, v13, s[18:19]
	v_cmp_le_i32_e32 vcc, s25, v7
	v_mul_u32_u24_e32 v15, 0x108, v7
	s_and_saveexec_b64 s[40:41], vcc
	s_xor_b64 s[40:41], exec, s[40:41]
; %bb.55:
	v_mov_b32_e32 v16, 0
	v_add_u32_e32 v18, v8, v15
	v_mov_b32_e32 v17, v16
	ds_write_b64 v18, v[16:17]
; %bb.56:
	s_andn2_saveexec_b64 s[40:41], s[40:41]
	s_cbranch_execz .LBB46_58
; %bb.57:
	flat_load_dwordx2 v[16:17], v[3:4]
	v_add_u32_e32 v18, v8, v15
	s_waitcnt vmcnt(0) lgkmcnt(0)
	ds_write_b64 v18, v[16:17]
.LBB46_58:
	s_or_b64 exec, exec, s[40:41]
	v_add_u32_e32 v16, 8, v7
	v_cmp_le_i32_e32 vcc, s25, v16
	s_and_saveexec_b64 s[40:41], vcc
	s_xor_b64 s[40:41], exec, s[40:41]
; %bb.59:
	v_mov_b32_e32 v16, 0
	v_add_u32_e32 v18, v15, v8
	v_mov_b32_e32 v17, v16
	ds_write_b64 v18, v[16:17] offset:2112
; %bb.60:
	s_andn2_saveexec_b64 s[40:41], s[40:41]
	s_cbranch_execz .LBB46_62
; %bb.61:
	s_lshl_b32 s44, s28, 3
	s_ashr_i32 s45, s44, 31
	s_lshl_b64 s[44:45], s[44:45], 3
	v_mov_b32_e32 v17, s45
	v_add_co_u32_e32 v16, vcc, s44, v3
	v_addc_co_u32_e32 v17, vcc, v4, v17, vcc
	flat_load_dwordx2 v[16:17], v[16:17]
	v_add_u32_e32 v18, v15, v8
	s_waitcnt vmcnt(0) lgkmcnt(0)
	ds_write_b64 v18, v[16:17] offset:2112
.LBB46_62:
	s_or_b64 exec, exec, s[40:41]
	v_add_u32_e32 v16, 16, v7
	v_cmp_le_i32_e32 vcc, s25, v16
	s_and_saveexec_b64 s[40:41], vcc
	s_xor_b64 s[40:41], exec, s[40:41]
; %bb.63:
	v_mov_b32_e32 v16, 0
	v_add_u32_e32 v18, v15, v8
	v_mov_b32_e32 v17, v16
	ds_write_b64 v18, v[16:17] offset:4224
; %bb.64:
	s_andn2_saveexec_b64 s[40:41], s[40:41]
	s_cbranch_execz .LBB46_66
; %bb.65:
	s_lshl_b32 s44, s28, 4
	s_ashr_i32 s45, s44, 31
	s_lshl_b64 s[44:45], s[44:45], 3
	v_mov_b32_e32 v17, s45
	v_add_co_u32_e32 v16, vcc, s44, v3
	v_addc_co_u32_e32 v17, vcc, v4, v17, vcc
	flat_load_dwordx2 v[16:17], v[16:17]
	v_add_u32_e32 v18, v15, v8
	s_waitcnt vmcnt(0) lgkmcnt(0)
	ds_write_b64 v18, v[16:17] offset:4224
.LBB46_66:
	s_or_b64 exec, exec, s[40:41]
	v_add_u32_e32 v16, 24, v7
	v_cmp_le_i32_e32 vcc, s25, v16
	s_and_saveexec_b64 s[40:41], vcc
	s_xor_b64 s[40:41], exec, s[40:41]
; %bb.67:
	v_add_u32_e32 v17, v15, v8
	v_mov_b32_e32 v15, 0
	v_mov_b32_e32 v16, v15
	ds_write_b64 v17, v[15:16] offset:6336
                                        ; implicit-def: $vgpr15
; %bb.68:
	s_andn2_saveexec_b64 s[40:41], s[40:41]
	s_cbranch_execz .LBB46_70
; %bb.69:
	s_mul_i32 s44, s28, 24
	s_ashr_i32 s45, s44, 31
	s_lshl_b64 s[44:45], s[44:45], 3
	v_mov_b32_e32 v17, s45
	v_add_co_u32_e32 v16, vcc, s44, v3
	v_addc_co_u32_e32 v17, vcc, v4, v17, vcc
	flat_load_dwordx2 v[16:17], v[16:17]
	v_add_u32_e32 v15, v15, v8
	s_waitcnt vmcnt(0) lgkmcnt(0)
	ds_write_b64 v15, v[16:17] offset:6336
.LBB46_70:
	s_or_b64 exec, exec, s[40:41]
	v_add_co_u32_e32 v3, vcc, v3, v8
	v_addc_co_u32_e32 v4, vcc, 0, v4, vcc
	v_mov_b32_e32 v15, s39
	v_subrev_co_u32_e32 v3, vcc, s38, v3
	v_subb_co_u32_e32 v4, vcc, v4, v15, vcc
	v_add_co_u32_e32 v3, vcc, 0x108, v3
	v_addc_co_u32_e32 v4, vcc, 0, v4, vcc
	v_cndmask_b32_e64 v14, v4, v14, s[18:19]
	v_cndmask_b32_e64 v13, v3, v13, s[18:19]
.LBB46_71:
	v_mul_u32_u24_e32 v3, 0x420, v7
	v_add_u32_e32 v9, 0x2380, v9
	v_mul_u32_u24_e32 v4, 0x108, v10
	s_mov_b64 s[18:19], 0
	s_waitcnt lgkmcnt(0)
	s_barrier
                                        ; implicit-def: $vgpr15
	s_and_saveexec_b64 s[38:39], s[8:9]
	s_xor_b64 s[8:9], exec, s[38:39]
	s_cbranch_execz .LBB46_75
; %bb.72:
	v_cmp_eq_u32_e32 vcc, v5, v1
                                        ; implicit-def: $vgpr15
	s_and_saveexec_b64 s[38:39], vcc
	s_xor_b64 s[38:39], exec, s[38:39]
; %bb.73:
	s_mov_b64 s[18:19], exec
	v_add_u32_e32 v15, v8, v6
; %bb.74:
	s_or_b64 exec, exec, s[38:39]
	s_and_b64 s[18:19], s[18:19], exec
.LBB46_75:
	s_or_saveexec_b64 s[8:9], s[8:9]
	v_mov_b32_e32 v16, 0
	v_add_u32_e32 v3, v8, v3
	s_xor_b64 exec, exec, s[8:9]
	s_cbranch_execz .LBB46_77
; %bb.76:
	ds_read_b64 v[17:18], v3
	v_lshl_add_u32 v15, v5, 3, v26
	s_or_b64 s[18:19], s[18:19], exec
	s_waitcnt lgkmcnt(0)
	v_xor_b32_e32 v16, 0x80000000, v18
	ds_write_b32 v15, v17
.LBB46_77:
	s_or_b64 exec, exec, s[8:9]
	s_and_saveexec_b64 s[8:9], s[18:19]
; %bb.78:
	ds_write_b32 v15, v16 offset:4
; %bb.79:
	s_or_b64 exec, exec, s[8:9]
	s_mov_b64 s[8:9], 0
                                        ; implicit-def: $vgpr15
	s_and_saveexec_b64 s[18:19], s[10:11]
	s_xor_b64 s[10:11], exec, s[18:19]
	s_cbranch_execz .LBB46_83
; %bb.80:
	v_cmp_eq_u32_e32 vcc, v10, v1
                                        ; implicit-def: $vgpr15
	s_and_saveexec_b64 s[18:19], vcc
; %bb.81:
	s_mov_b64 s[8:9], exec
	v_add_u32_e32 v15, v8, v6
; %bb.82:
	s_or_b64 exec, exec, s[18:19]
	s_and_b64 s[8:9], s[8:9], exec
.LBB46_83:
	s_or_saveexec_b64 s[10:11], s[10:11]
	v_mov_b32_e32 v10, 0
	v_add_u32_e32 v4, v8, v4
	s_xor_b64 exec, exec, s[10:11]
	s_cbranch_execz .LBB46_85
; %bb.84:
	ds_read_b64 v[16:17], v4
	v_lshl_add_u32 v18, v5, 3, v26
	v_add_u32_e32 v15, 8, v18
	s_or_b64 s[8:9], s[8:9], exec
	s_waitcnt lgkmcnt(0)
	v_xor_b32_e32 v10, 0x80000000, v17
	ds_write_b32 v18, v16 offset:8
.LBB46_85:
	s_or_b64 exec, exec, s[10:11]
	s_and_saveexec_b64 s[10:11], s[8:9]
; %bb.86:
	ds_write_b32 v15, v10 offset:4
; %bb.87:
	s_or_b64 exec, exec, s[10:11]
	s_mov_b64 s[8:9], 0
                                        ; implicit-def: $vgpr10
	s_and_saveexec_b64 s[10:11], s[12:13]
	s_xor_b64 s[10:11], exec, s[10:11]
	s_cbranch_execnz .LBB46_111
; %bb.88:
	s_or_saveexec_b64 s[10:11], s[10:11]
	v_mov_b32_e32 v11, 0
	s_xor_b64 exec, exec, s[10:11]
	s_cbranch_execnz .LBB46_114
.LBB46_89:
	s_or_b64 exec, exec, s[10:11]
	s_and_saveexec_b64 s[10:11], s[8:9]
.LBB46_90:
	ds_write_b32 v10, v11 offset:4
.LBB46_91:
	s_or_b64 exec, exec, s[10:11]
	s_mov_b64 s[8:9], 0
                                        ; implicit-def: $vgpr10
	s_and_saveexec_b64 s[10:11], s[14:15]
	s_xor_b64 s[10:11], exec, s[10:11]
	s_cbranch_execnz .LBB46_115
; %bb.92:
	s_or_saveexec_b64 s[10:11], s[10:11]
	v_mov_b32_e32 v6, 0
	s_xor_b64 exec, exec, s[10:11]
	s_cbranch_execnz .LBB46_118
.LBB46_93:
	s_or_b64 exec, exec, s[10:11]
	s_and_saveexec_b64 s[10:11], s[8:9]
.LBB46_94:
	ds_write_b32 v10, v6 offset:4
.LBB46_95:
	s_or_b64 exec, exec, s[10:11]
	s_waitcnt lgkmcnt(0)
	s_barrier
	ds_read_b64 v[10:11], v3
	ds_read_b128 v[15:18], v9 offset:256
	ds_read_b128 v[28:31], v9 offset:272
	ds_read_b64 v[23:24], v4 offset:528
	ds_read2_b64 v[38:41], v4 offset1:33
	v_cmp_eq_u32_e64 s[8:9], 1, v7
	s_waitcnt lgkmcnt(3)
	v_mul_f32_e32 v3, v16, v11
	v_mul_f32_e32 v4, v15, v11
	v_fma_f32 v3, v15, v10, -v3
	v_fmac_f32_e32 v4, v16, v10
	s_waitcnt lgkmcnt(0)
	v_mul_f32_e32 v6, v18, v39
	v_mul_f32_e32 v10, v17, v39
	v_add_f32_e32 v3, 0, v3
	v_add_f32_e32 v4, 0, v4
	v_fma_f32 v6, v17, v38, -v6
	v_fmac_f32_e32 v10, v18, v38
	v_add_f32_e32 v3, v3, v6
	v_add_f32_e32 v4, v4, v10
	v_mul_f32_e32 v6, v29, v41
	v_mul_f32_e32 v10, v28, v41
	v_fma_f32 v6, v28, v40, -v6
	v_fmac_f32_e32 v10, v29, v40
	v_add_f32_e32 v3, v3, v6
	v_add_f32_e32 v4, v4, v10
	v_mul_f32_e32 v6, v31, v24
	v_mul_f32_e32 v10, v30, v24
	v_fma_f32 v6, v30, v23, -v6
	v_fmac_f32_e32 v10, v31, v23
	v_add_f32_e32 v3, v3, v6
	v_add_f32_e32 v4, v4, v10
	s_barrier
	ds_write_b64 v27, v[3:4]
	s_waitcnt lgkmcnt(0)
	s_barrier
	s_and_saveexec_b64 s[10:11], s[8:9]
	s_cbranch_execz .LBB46_97
; %bb.96:
	ds_read2_b64 v[15:18], v26 offset1:7
	ds_read2_b64 v[28:31], v26 offset0:1 offset1:2
	ds_read2_b64 v[36:39], v26 offset0:3 offset1:4
	s_waitcnt lgkmcnt(1)
	v_add_f32_e32 v3, v28, v15
	v_add_f32_e32 v4, v29, v16
	v_add_f32_e32 v3, v30, v3
	v_add_f32_e32 v4, v31, v4
	ds_read2_b64 v[28:31], v26 offset0:5 offset1:6
	s_waitcnt lgkmcnt(1)
	v_add_f32_e32 v3, v3, v36
	v_add_f32_e32 v4, v4, v37
	;; [unrolled: 1-line block ×4, first 2 shown]
	s_waitcnt lgkmcnt(0)
	v_add_f32_e32 v3, v3, v28
	v_add_f32_e32 v4, v4, v29
	;; [unrolled: 1-line block ×6, first 2 shown]
.LBB46_97:
	s_or_b64 exec, exec, s[10:11]
	v_mov_b32_e32 v3, s37
	v_subrev_co_u32_e64 v23, s[10:11], s36, v13
	s_and_b64 vcc, exec, s[16:17]
	v_subb_co_u32_e64 v24, s[10:11], v14, v3, s[10:11]
	s_barrier
	s_cbranch_vccnz .LBB46_119
; %bb.98:
	s_lshl_b32 s10, s28, 3
	s_ashr_i32 s11, s10, 31
	s_lshl_b64 s[10:11], s[10:11], 3
	v_mov_b32_e32 v4, s11
	v_add_co_u32_e32 v3, vcc, s10, v23
	s_ashr_i32 s29, s28, 31
	v_addc_co_u32_e32 v4, vcc, v24, v4, vcc
	s_lshl_b64 s[10:11], s[28:29], 6
	v_mov_b32_e32 v6, s11
	v_add_co_u32_e32 v10, vcc, s10, v3
	v_addc_co_u32_e32 v11, vcc, v4, v6, vcc
	v_add_co_u32_e32 v12, vcc, s10, v10
	v_addc_co_u32_e32 v13, vcc, v11, v6, vcc
	flat_load_dwordx2 v[14:15], v[23:24]
	flat_load_dwordx2 v[16:17], v[3:4]
	;; [unrolled: 1-line block ×4, first 2 shown]
	s_movk_i32 s10, 0x108
	v_mov_b32_e32 v3, 0x840
	v_mov_b32_e32 v13, 0x1080
	;; [unrolled: 1-line block ×3, first 2 shown]
	v_mul_u32_u24_e32 v6, 0x108, v7
	v_add_u32_e32 v10, 8, v7
	v_add_u32_e32 v11, 16, v7
	;; [unrolled: 1-line block ×3, first 2 shown]
	v_mad_u32_u24 v32, v7, s10, v8
	v_mad_u32_u24 v4, v7, s10, v3
	;; [unrolled: 1-line block ×4, first 2 shown]
	v_add_u32_e32 v18, v8, v4
	v_add_u32_e32 v33, v8, v3
	;; [unrolled: 1-line block ×3, first 2 shown]
	s_waitcnt vmcnt(0) lgkmcnt(0)
	ds_write_b64 v32, v[14:15]
	ds_write_b64 v18, v[16:17]
	;; [unrolled: 1-line block ×4, first 2 shown]
	s_cbranch_execz .LBB46_120
	s_branch .LBB46_137
.LBB46_99:
	v_cmp_eq_u32_e32 vcc, v10, v1
                                        ; implicit-def: $vgpr11
	s_and_saveexec_b64 s[16:17], vcc
; %bb.100:
	s_mov_b64 s[12:13], exec
	v_add_u32_e32 v11, v8, v6
; %bb.101:
	s_or_b64 exec, exec, s[16:17]
	s_and_b64 s[12:13], s[12:13], exec
	s_or_saveexec_b64 s[14:15], s[14:15]
	v_mov_b32_e32 v12, 0
	s_xor_b64 exec, exec, s[14:15]
	s_cbranch_execz .LBB46_39
.LBB46_102:
	s_movk_i32 s16, 0x108
	v_mad_u32_u24 v11, v10, s16, v8
	ds_read_b64 v[13:14], v11
	v_lshl_add_u32 v15, v5, 3, v9
	v_add_u32_e32 v11, 8, v15
	s_or_b64 s[12:13], s[12:13], exec
	s_waitcnt lgkmcnt(0)
	v_xor_b32_e32 v12, 0x80000000, v14
	ds_write_b32 v15, v13 offset:8
	s_or_b64 exec, exec, s[14:15]
	s_and_saveexec_b64 s[14:15], s[12:13]
	s_cbranch_execnz .LBB46_40
	s_branch .LBB46_41
.LBB46_103:
	v_cmp_eq_u32_e32 vcc, v11, v1
                                        ; implicit-def: $vgpr12
	s_and_saveexec_b64 s[20:21], vcc
; %bb.104:
	s_mov_b64 s[14:15], exec
	v_add_u32_e32 v12, v8, v6
; %bb.105:
	s_or_b64 exec, exec, s[20:21]
	s_and_b64 s[14:15], s[14:15], exec
	s_or_saveexec_b64 s[16:17], s[16:17]
	v_mov_b32_e32 v13, 0
	s_xor_b64 exec, exec, s[16:17]
	s_cbranch_execz .LBB46_43
.LBB46_106:
	s_movk_i32 s20, 0x108
	v_mad_u32_u24 v12, v11, s20, v8
	ds_read_b64 v[14:15], v12
	v_lshl_add_u32 v16, v5, 3, v9
	v_add_u32_e32 v12, 16, v16
	s_or_b64 s[14:15], s[14:15], exec
	s_waitcnt lgkmcnt(0)
	v_xor_b32_e32 v13, 0x80000000, v15
	ds_write_b32 v16, v14 offset:16
	s_or_b64 exec, exec, s[16:17]
	s_and_saveexec_b64 s[16:17], s[14:15]
	s_cbranch_execnz .LBB46_44
	s_branch .LBB46_45
.LBB46_107:
	v_cmp_eq_u32_e32 vcc, v12, v1
                                        ; implicit-def: $vgpr13
	s_and_saveexec_b64 s[36:37], vcc
; %bb.108:
	s_mov_b64 s[16:17], exec
	v_add_u32_e32 v13, v8, v6
; %bb.109:
	s_or_b64 exec, exec, s[36:37]
	s_and_b64 s[16:17], s[16:17], exec
                                        ; implicit-def: $vgpr9
	s_or_saveexec_b64 s[20:21], s[20:21]
	v_mov_b32_e32 v14, 0
	s_xor_b64 exec, exec, s[20:21]
	s_cbranch_execz .LBB46_47
.LBB46_110:
	s_movk_i32 s25, 0x108
	v_mad_u32_u24 v13, v12, s25, v8
	ds_read_b64 v[15:16], v13
	v_lshl_add_u32 v9, v5, 3, v9
	v_add_u32_e32 v13, 24, v9
	s_or_b64 s[16:17], s[16:17], exec
	s_waitcnt lgkmcnt(0)
	v_xor_b32_e32 v14, 0x80000000, v16
	ds_write_b32 v9, v15 offset:24
	s_or_b64 exec, exec, s[20:21]
	s_and_saveexec_b64 s[20:21], s[16:17]
	s_cbranch_execnz .LBB46_48
	s_branch .LBB46_49
.LBB46_111:
	v_cmp_eq_u32_e32 vcc, v11, v1
                                        ; implicit-def: $vgpr10
	s_and_saveexec_b64 s[12:13], vcc
; %bb.112:
	s_mov_b64 s[8:9], exec
	v_add_u32_e32 v10, v8, v6
; %bb.113:
	s_or_b64 exec, exec, s[12:13]
	s_and_b64 s[8:9], s[8:9], exec
	s_or_saveexec_b64 s[10:11], s[10:11]
	v_mov_b32_e32 v11, 0
	s_xor_b64 exec, exec, s[10:11]
	s_cbranch_execz .LBB46_89
.LBB46_114:
	ds_read_b64 v[15:16], v4 offset:264
	v_lshl_add_u32 v17, v5, 3, v26
	v_add_u32_e32 v10, 16, v17
	s_or_b64 s[8:9], s[8:9], exec
	s_waitcnt lgkmcnt(0)
	v_xor_b32_e32 v11, 0x80000000, v16
	ds_write_b32 v17, v15 offset:16
	s_or_b64 exec, exec, s[10:11]
	s_and_saveexec_b64 s[10:11], s[8:9]
	s_cbranch_execnz .LBB46_90
	s_branch .LBB46_91
.LBB46_115:
	v_cmp_eq_u32_e32 vcc, v12, v1
                                        ; implicit-def: $vgpr10
	s_and_saveexec_b64 s[12:13], vcc
; %bb.116:
	s_mov_b64 s[8:9], exec
	v_add_u32_e32 v10, v8, v6
; %bb.117:
	s_or_b64 exec, exec, s[12:13]
	s_and_b64 s[8:9], s[8:9], exec
	s_or_saveexec_b64 s[10:11], s[10:11]
	v_mov_b32_e32 v6, 0
	s_xor_b64 exec, exec, s[10:11]
	s_cbranch_execz .LBB46_93
.LBB46_118:
	ds_read_b64 v[11:12], v4 offset:528
	v_lshl_add_u32 v15, v5, 3, v26
	v_add_u32_e32 v10, 24, v15
	s_or_b64 s[8:9], s[8:9], exec
	s_waitcnt lgkmcnt(0)
	v_xor_b32_e32 v6, 0x80000000, v12
	ds_write_b32 v15, v11 offset:24
	s_or_b64 exec, exec, s[10:11]
	s_and_saveexec_b64 s[10:11], s[8:9]
	s_cbranch_execnz .LBB46_94
	s_branch .LBB46_95
.LBB46_119:
                                        ; implicit-def: $vgpr6
                                        ; implicit-def: $vgpr10
                                        ; implicit-def: $vgpr4
                                        ; implicit-def: $vgpr11
                                        ; implicit-def: $vgpr3
                                        ; implicit-def: $vgpr12
                                        ; implicit-def: $vgpr13
.LBB46_120:
	v_or_b32_e32 v1, 32, v1
	v_lshlrev_b32_e32 v3, 3, v1
	v_sub_co_u32_e32 v3, vcc, v23, v3
	s_ashr_i32 s25, s24, 31
	v_subbrev_co_u32_e32 v4, vcc, 0, v24, vcc
	s_lshl_b64 s[12:13], s[24:25], 3
	v_mov_b32_e32 v6, s13
	v_add_co_u32_e32 v3, vcc, s12, v3
	v_addc_co_u32_e32 v4, vcc, v4, v6, vcc
	v_add_co_u32_e32 v3, vcc, -8, v3
	v_addc_co_u32_e32 v4, vcc, -1, v4, vcc
	v_cmp_gt_i32_e64 s[10:11], s24, v1
	v_cndmask_b32_e64 v4, v4, v24, s[10:11]
	v_cndmask_b32_e64 v3, v3, v23, s[10:11]
	v_cmp_le_i32_e32 vcc, s24, v7
	v_mul_u32_u24_e32 v6, 0x108, v7
	s_and_saveexec_b64 s[14:15], vcc
	s_xor_b64 s[14:15], exec, s[14:15]
; %bb.121:
	v_mov_b32_e32 v10, 0
	v_add_u32_e32 v1, v8, v6
	v_mov_b32_e32 v11, v10
	ds_write_b64 v1, v[10:11]
; %bb.122:
	s_andn2_saveexec_b64 s[14:15], s[14:15]
	s_cbranch_execz .LBB46_124
; %bb.123:
	flat_load_dwordx2 v[10:11], v[3:4]
	v_add_u32_e32 v1, v8, v6
	s_waitcnt vmcnt(0) lgkmcnt(0)
	ds_write_b64 v1, v[10:11]
.LBB46_124:
	s_or_b64 exec, exec, s[14:15]
	v_add_u32_e32 v10, 8, v7
	v_cmp_le_i32_e32 vcc, s24, v10
	s_and_saveexec_b64 s[14:15], vcc
	s_xor_b64 s[14:15], exec, s[14:15]
; %bb.125:
	v_mov_b32_e32 v11, 0
	v_add_u32_e32 v1, v6, v8
	v_mov_b32_e32 v12, v11
	ds_write_b64 v1, v[11:12] offset:2112
; %bb.126:
	s_andn2_saveexec_b64 s[14:15], s[14:15]
	s_cbranch_execz .LBB46_128
; %bb.127:
	s_lshl_b32 s16, s28, 3
	s_ashr_i32 s17, s16, 31
	s_lshl_b64 s[16:17], s[16:17], 3
	v_mov_b32_e32 v1, s17
	v_add_co_u32_e32 v11, vcc, s16, v3
	v_addc_co_u32_e32 v12, vcc, v4, v1, vcc
	flat_load_dwordx2 v[11:12], v[11:12]
	v_add_u32_e32 v1, v6, v8
	s_waitcnt vmcnt(0) lgkmcnt(0)
	ds_write_b64 v1, v[11:12] offset:2112
.LBB46_128:
	s_or_b64 exec, exec, s[14:15]
	v_add_u32_e32 v11, 16, v7
	v_cmp_le_i32_e32 vcc, s24, v11
	s_and_saveexec_b64 s[14:15], vcc
	s_xor_b64 s[14:15], exec, s[14:15]
; %bb.129:
	v_mov_b32_e32 v12, 0
	v_add_u32_e32 v1, v6, v8
	v_mov_b32_e32 v13, v12
	ds_write_b64 v1, v[12:13] offset:4224
; %bb.130:
	s_andn2_saveexec_b64 s[14:15], s[14:15]
	s_cbranch_execz .LBB46_132
; %bb.131:
	s_lshl_b32 s16, s28, 4
	s_ashr_i32 s17, s16, 31
	s_lshl_b64 s[16:17], s[16:17], 3
	v_mov_b32_e32 v1, s17
	v_add_co_u32_e32 v12, vcc, s16, v3
	v_addc_co_u32_e32 v13, vcc, v4, v1, vcc
	flat_load_dwordx2 v[12:13], v[12:13]
	v_add_u32_e32 v1, v6, v8
	s_waitcnt vmcnt(0) lgkmcnt(0)
	ds_write_b64 v1, v[12:13] offset:4224
.LBB46_132:
	s_or_b64 exec, exec, s[14:15]
	v_add_u32_e32 v12, 24, v7
	v_cmp_le_i32_e32 vcc, s24, v12
                                        ; implicit-def: $vgpr13
	s_and_saveexec_b64 s[14:15], vcc
	s_xor_b64 s[14:15], exec, s[14:15]
; %bb.133:
	v_add_u32_e32 v13, 0x18c0, v6
	v_mov_b32_e32 v14, 0
	v_add_u32_e32 v1, v8, v13
	v_mov_b32_e32 v15, v14
	ds_write_b64 v1, v[14:15]
; %bb.134:
	s_andn2_saveexec_b64 s[14:15], s[14:15]
	s_cbranch_execz .LBB46_136
; %bb.135:
	s_mul_i32 s16, s28, 24
	s_ashr_i32 s17, s16, 31
	s_lshl_b64 s[16:17], s[16:17], 3
	v_mov_b32_e32 v1, s17
	v_add_co_u32_e32 v13, vcc, s16, v3
	v_addc_co_u32_e32 v14, vcc, v4, v1, vcc
	flat_load_dwordx2 v[14:15], v[13:14]
	v_add_u32_e32 v13, 0x18c0, v6
	v_add_u32_e32 v1, v8, v13
	s_waitcnt vmcnt(0) lgkmcnt(0)
	ds_write_b64 v1, v[14:15]
.LBB46_136:
	s_or_b64 exec, exec, s[14:15]
	v_add_co_u32_e32 v1, vcc, v3, v8
	v_addc_co_u32_e32 v3, vcc, 0, v4, vcc
	v_mov_b32_e32 v4, s13
	v_subrev_co_u32_e32 v1, vcc, s12, v1
	v_subb_co_u32_e32 v3, vcc, v3, v4, vcc
	v_add_co_u32_e32 v1, vcc, 0x108, v1
	v_addc_co_u32_e32 v3, vcc, 0, v3, vcc
	v_cndmask_b32_e64 v24, v3, v24, s[10:11]
	v_cndmask_b32_e64 v23, v1, v23, s[10:11]
	v_add_u32_e32 v4, 0x840, v6
	v_add_u32_e32 v3, 0x1080, v6
.LBB46_137:
	v_add_u32_e32 v1, v8, v6
	s_waitcnt lgkmcnt(0)
	s_barrier
	v_lshlrev_b32_e32 v6, 3, v7
	ds_read_b64 v[15:16], v1
	ds_read_b64 v[17:18], v6 offset:9088
	v_add_u32_e32 v1, v8, v4
	v_lshlrev_b32_e32 v4, 3, v10
	ds_read_b64 v[28:29], v1
	ds_read_b64 v[30:31], v4 offset:9088
	v_add_u32_e32 v3, v8, v3
	;; [unrolled: 4-line block ×3, first 2 shown]
	v_lshlrev_b32_e32 v6, 3, v12
	ds_read2_b32 v[40:41], v3 offset1:1
	ds_read_b64 v[42:43], v6 offset:9088
	s_waitcnt lgkmcnt(6)
	v_mul_f32_e32 v1, v18, v16
	v_fma_f32 v1, v17, v15, -v1
	s_waitcnt lgkmcnt(4)
	v_mul_f32_e32 v4, v31, v29
	v_add_f32_e32 v1, 0, v1
	v_fma_f32 v4, v30, v28, -v4
	s_waitcnt lgkmcnt(2)
	v_mul_f32_e32 v3, v39, v33
	v_add_f32_e32 v1, v1, v4
	v_fma_f32 v3, v38, v32, -v3
	v_add_f32_e32 v1, v1, v3
	s_waitcnt lgkmcnt(0)
	v_mul_f32_e32 v3, v43, v41
	v_fma_f32 v3, v42, v40, -v3
	v_mul_f32_e32 v34, v17, v16
	v_add_f32_e32 v44, v1, v3
	v_lshl_add_u32 v1, v5, 3, v26
	v_fmac_f32_e32 v34, v18, v15
	v_mul_f32_e32 v29, v30, v29
	ds_read_b128 v[11:14], v9 offset:256
	ds_read_b128 v[3:6], v9 offset:272
	ds_read2_b64 v[15:18], v1 offset1:1
	ds_read2_b64 v[7:10], v1 offset0:2 offset1:3
	v_add_f32_e32 v1, 0, v34
	v_fmac_f32_e32 v29, v31, v28
	v_mul_f32_e32 v28, v38, v33
	v_add_f32_e32 v1, v1, v29
	v_fmac_f32_e32 v28, v39, v32
	v_add_f32_e32 v1, v1, v28
	v_mul_f32_e32 v28, v42, v41
	v_fmac_f32_e32 v28, v43, v40
	v_add_f32_e32 v45, v1, v28
	s_waitcnt lgkmcnt(0)
	s_barrier
	ds_write_b64 v27, v[44:45]
	s_waitcnt lgkmcnt(0)
	s_barrier
	s_and_saveexec_b64 s[10:11], s[8:9]
	s_cbranch_execz .LBB46_139
; %bb.138:
	ds_read2_b64 v[28:31], v26 offset1:1
	ds_read2_b64 v[38:41], v26 offset0:2 offset1:3
	ds_read2_b64 v[42:45], v26 offset0:4 offset1:5
	s_waitcnt lgkmcnt(2)
	v_add_f32_e32 v1, v36, v28
	v_add_f32_e32 v28, v37, v29
	;; [unrolled: 1-line block ×3, first 2 shown]
	s_waitcnt lgkmcnt(1)
	v_add_f32_e32 v28, v28, v39
	v_add_f32_e32 v1, v1, v30
	;; [unrolled: 1-line block ×3, first 2 shown]
	ds_read2_b64 v[28:31], v26 offset0:6 offset1:7
	v_add_f32_e32 v1, v1, v38
	v_add_f32_e32 v1, v1, v40
	s_waitcnt lgkmcnt(1)
	v_add_f32_e32 v1, v1, v42
	v_add_f32_e32 v32, v32, v43
	;; [unrolled: 1-line block ×4, first 2 shown]
	s_waitcnt lgkmcnt(0)
	v_add_f32_e32 v1, v1, v28
	v_add_f32_e32 v28, v32, v29
	;; [unrolled: 1-line block ×4, first 2 shown]
.LBB46_139:
	s_or_b64 exec, exec, s[10:11]
	v_mul_f32_e32 v1, v16, v12
	v_fmac_f32_e32 v1, v15, v11
	v_mul_f32_e32 v11, v16, v11
	v_fma_f32 v11, v15, v12, -v11
	v_mul_f32_e32 v12, v18, v14
	v_add_f32_e32 v1, 0, v1
	v_fmac_f32_e32 v12, v17, v13
	v_mul_f32_e32 v13, v18, v13
	v_add_f32_e32 v1, v1, v12
	v_mul_f32_e32 v12, v8, v4
	v_add_f32_e32 v11, 0, v11
	v_fma_f32 v13, v17, v14, -v13
	v_fmac_f32_e32 v12, v7, v3
	v_mul_f32_e32 v3, v8, v3
	v_add_f32_e32 v11, v11, v13
	v_fma_f32 v3, v7, v4, -v3
	v_add_f32_e32 v4, v11, v3
	v_mul_f32_e32 v3, v10, v6
	v_fmac_f32_e32 v3, v9, v5
	v_mul_f32_e32 v5, v10, v5
	v_add_f32_e32 v1, v1, v12
	v_fma_f32 v5, v9, v6, -v5
	v_add_f32_e32 v3, v1, v3
	v_add_f32_e32 v4, v4, v5
	s_barrier
	ds_write_b64 v27, v[3:4]
	s_waitcnt lgkmcnt(0)
	s_barrier
	s_and_saveexec_b64 s[8:9], s[20:21]
	s_cbranch_execz .LBB46_141
; %bb.140:
	ds_read2_b64 v[3:6], v26 offset1:1
	ds_read2_b64 v[7:10], v26 offset0:2 offset1:3
	ds_read2_b64 v[11:14], v26 offset0:4 offset1:5
	s_waitcnt lgkmcnt(2)
	v_add_f32_e32 v1, v36, v3
	v_add_f32_e32 v3, v37, v4
	v_add_f32_e32 v3, v3, v6
	v_add_f32_e32 v1, v1, v5
	s_waitcnt lgkmcnt(1)
	v_add_f32_e32 v3, v3, v8
	v_add_f32_e32 v1, v1, v7
	v_add_f32_e32 v7, v3, v10
	ds_read2_b64 v[3:6], v26 offset0:6 offset1:7
	v_add_f32_e32 v1, v1, v9
	s_waitcnt lgkmcnt(1)
	v_add_f32_e32 v1, v1, v11
	v_add_f32_e32 v7, v7, v12
	;; [unrolled: 1-line block ×4, first 2 shown]
	s_waitcnt lgkmcnt(0)
	v_add_f32_e32 v1, v1, v3
	v_add_f32_e32 v3, v7, v4
	;; [unrolled: 1-line block ×4, first 2 shown]
.LBB46_141:
	s_or_b64 exec, exec, s[8:9]
	s_load_dwordx2 s[4:5], s[4:5], 0x68
	s_mul_hi_u32 s8, s23, s22
	s_mul_i32 s42, s42, s22
	s_add_i32 s8, s8, s42
	s_mul_i32 s10, s23, s22
	s_mul_i32 s8, s8, s33
	s_mul_hi_u32 s9, s10, s33
	s_add_i32 s9, s9, s8
	s_mul_i32 s8, s10, s33
	s_lshl_b64 s[8:9], s[8:9], 3
	s_waitcnt lgkmcnt(0)
	s_add_u32 s8, s4, s8
	s_mul_i32 s4, s23, s6
	s_addc_u32 s9, s5, s9
	s_ashr_i32 s5, s4, 31
	s_lshl_b64 s[4:5], s[4:5], 3
	s_add_u32 s16, s8, s4
	v_cmp_le_i32_e32 vcc, s24, v0
	s_addc_u32 s17, s9, s5
	s_and_b64 s[4:5], s[34:35], vcc
	s_cmp_lt_i32 s6, 1
	v_lshlrev_b32_e32 v72, 3, v0
	s_barrier
	s_cbranch_scc1 .LBB46_148
; %bb.142:
	s_mul_i32 s8, s7, s26
	s_ashr_i32 s9, s8, 31
	s_lshl_b64 s[8:9], s[8:9], 3
	v_mov_b32_e32 v1, s9
	v_subrev_co_u32_e32 v73, vcc, s8, v19
	v_subb_co_u32_e32 v74, vcc, v20, v1, vcc
	v_mov_b32_e32 v1, s31
	v_subrev_co_u32_e32 v3, vcc, s30, v23
	v_mul_lo_u32 v4, v2, s28
	v_subb_co_u32_e32 v1, vcc, v24, v1, vcc
	v_add_co_u32_e32 v3, vcc, 0xffffff00, v3
	v_addc_co_u32_e32 v1, vcc, -1, v1, vcc
	v_sub_co_u32_e32 v7, vcc, v3, v21
	v_lshl_add_u32 v3, v4, 2, v0
	v_ashrrev_i32_e32 v4, 31, v3
	v_lshlrev_b64 v[3:4], 3, v[3:4]
	v_subb_co_u32_e32 v1, vcc, v1, v22, vcc
	v_add_co_u32_e32 v3, vcc, v7, v3
	v_addc_co_u32_e32 v4, vcc, v1, v4, vcc
	v_sub_co_u32_e32 v7, vcc, v3, v72
	s_ashr_i32 s25, s24, 31
	v_subbrev_co_u32_e32 v8, vcc, 0, v4, vcc
	s_lshl_b64 s[8:9], s[24:25], 3
	v_mov_b32_e32 v9, s9
	v_add_co_u32_e32 v7, vcc, s8, v7
	v_addc_co_u32_e32 v8, vcc, v8, v9, vcc
	v_add_co_u32_e32 v7, vcc, -8, v7
	v_lshrrev_b32_e32 v5, 4, v25
	v_cndmask_b32_e64 v3, v3, v7, s[4:5]
	v_mov_b32_e32 v7, 0x2180
	s_movk_i32 s8, 0x860
	v_and_b32_e32 v6, 15, v0
	v_lshl_add_u32 v76, v2, 5, v7
	v_mad_u32_u24 v78, v2, s8, v72
	v_lshlrev_b32_e32 v7, 5, v5
	s_movk_i32 s8, 0x218
	v_mad_u32_u24 v79, v6, s8, v7
	v_and_b32_e32 v7, 48, v0
	v_lshlrev_b32_e32 v7, 3, v7
	v_mad_u32_u24 v80, v6, s8, v7
	v_or_b32_e32 v7, 0x78, v72
	s_ashr_i32 s29, s28, 31
	v_addc_co_u32_e32 v8, vcc, -1, v8, vcc
	v_mul_i32_i24_e32 v5, 0xffffffe8, v5
	v_mad_u32_u24 v81, v6, s8, v7
	s_lshl_b64 s[10:11], s[28:29], 3
	s_mul_hi_i32 s8, s28, 0x68
	v_mov_b32_e32 v1, 0
	v_cndmask_b32_e64 v4, v4, v8, s[4:5]
	s_lshl_b32 s7, s7, 6
	v_add_u32_e32 v75, 0x2180, v72
	v_add_u32_e32 v77, 0x2380, v72
	v_cmp_gt_u32_e32 vcc, 64, v25
	s_mul_i32 s18, s28, 0x68
	s_mov_b32 s12, 0
	v_mov_b32_e32 v82, s11
	v_mov_b32_e32 v83, s8
	v_add_u32_e32 v84, v79, v5
	s_branch .LBB46_144
.LBB46_143:                             ;   in Loop: Header=BB46_144 Depth=1
	s_or_b64 exec, exec, s[14:15]
	v_mul_f32_e32 v85, v39, v8
	v_fma_f32 v85, v38, v7, -v85
	v_mul_f32_e32 v8, v38, v8
	v_mul_f32_e32 v38, v41, v10
	v_add_f32_e32 v36, v36, v85
	v_fma_f32 v38, v40, v9, -v38
	v_mul_f32_e32 v10, v40, v10
	v_add_f32_e32 v36, v36, v38
	v_mul_f32_e32 v38, v43, v4
	v_fmac_f32_e32 v8, v39, v7
	v_fma_f32 v38, v42, v3, -v38
	v_mul_f32_e32 v4, v42, v4
	v_add_f32_e32 v7, v37, v8
	v_fmac_f32_e32 v10, v41, v9
	v_add_f32_e32 v36, v36, v38
	v_mul_f32_e32 v38, v45, v6
	v_mul_f32_e32 v6, v44, v6
	v_add_f32_e32 v7, v7, v10
	v_fmac_f32_e32 v4, v43, v3
	v_fma_f32 v38, v44, v5, -v38
	v_add_f32_e32 v3, v7, v4
	v_fmac_f32_e32 v6, v45, v5
	v_mul_f32_e32 v4, v47, v16
	v_add_f32_e32 v36, v36, v38
	v_add_f32_e32 v3, v3, v6
	v_fma_f32 v4, v46, v15, -v4
	v_mul_f32_e32 v6, v51, v18
	v_add_f32_e32 v4, v36, v4
	v_fma_f32 v6, v50, v17, -v6
	v_add_f32_e32 v4, v4, v6
	v_mul_f32_e32 v6, v49, v12
	v_mul_f32_e32 v5, v46, v16
	v_fma_f32 v6, v48, v11, -v6
	v_add_f32_e32 v4, v4, v6
	v_mul_f32_e32 v6, v53, v14
	v_fmac_f32_e32 v5, v47, v15
	v_fma_f32 v6, v52, v13, -v6
	v_add_f32_e32 v3, v3, v5
	v_mul_f32_e32 v5, v59, v24
	v_add_f32_e32 v4, v4, v6
	v_fma_f32 v5, v58, v23, -v5
	v_add_f32_e32 v4, v4, v5
	v_mul_f32_e32 v5, v55, v26
	v_mul_f32_e32 v7, v50, v18
	v_fma_f32 v5, v54, v25, -v5
	v_mul_f32_e32 v8, v48, v12
	v_fmac_f32_e32 v7, v51, v17
	v_add_f32_e32 v4, v4, v5
	v_mul_f32_e32 v5, v57, v20
	v_mul_f32_e32 v9, v52, v14
	v_add_f32_e32 v3, v3, v7
	v_fmac_f32_e32 v8, v49, v11
	v_fma_f32 v5, v56, v19, -v5
	v_add_f32_e32 v3, v3, v8
	v_fmac_f32_e32 v9, v53, v13
	v_mul_f32_e32 v6, v58, v24
	v_add_f32_e32 v4, v4, v5
	v_mul_f32_e32 v5, v61, v22
	v_add_f32_e32 v3, v3, v9
	v_mul_f32_e32 v7, v54, v26
	v_fma_f32 v5, v60, v21, -v5
	v_fmac_f32_e32 v6, v59, v23
	v_mul_f32_e32 v8, v56, v20
	v_add_f32_e32 v4, v4, v5
	v_add_f32_e32 v3, v3, v6
	v_fmac_f32_e32 v7, v55, v25
	v_mul_f32_e32 v5, v67, v32
	v_mul_f32_e32 v9, v60, v22
	v_add_f32_e32 v3, v3, v7
	v_fmac_f32_e32 v8, v57, v19
	v_fma_f32 v5, v66, v31, -v5
	v_add_f32_e32 v3, v3, v8
	v_fmac_f32_e32 v9, v61, v21
	v_mul_f32_e32 v6, v66, v32
	v_add_f32_e32 v4, v4, v5
	v_mul_f32_e32 v5, v65, v34
	v_add_f32_e32 v3, v3, v9
	v_fma_f32 v5, v64, v33, -v5
	v_mul_f32_e32 v7, v64, v34
	v_fmac_f32_e32 v6, v67, v31
	v_add_f32_e32 v4, v4, v5
	v_mul_f32_e32 v5, v69, v28
	v_mul_f32_e32 v8, v68, v28
	v_fmac_f32_e32 v7, v65, v33
	v_add_f32_e32 v3, v3, v6
	v_fma_f32 v5, v68, v27, -v5
	v_mul_f32_e32 v9, v70, v30
	v_fmac_f32_e32 v8, v69, v27
	v_add_f32_e32 v3, v3, v7
	v_add_f32_e32 v4, v4, v5
	v_mul_f32_e32 v5, v71, v30
	v_fmac_f32_e32 v9, v71, v29
	v_add_f32_e32 v3, v3, v8
	v_fma_f32 v5, v70, v29, -v5
	v_add_f32_e32 v37, v3, v9
	s_add_i32 s6, s6, -1
	s_add_i32 s12, s12, s7
	v_add_co_u32_e64 v3, s[8:9], s18, v62
	v_add_f32_e32 v36, v4, v5
	v_add_u32_e32 v0, 64, v0
	s_cmp_eq_u32 s6, 0
	v_addc_co_u32_e64 v4, s[8:9], v63, v83, s[8:9]
	s_waitcnt vmcnt(0)
	s_barrier
	s_cbranch_scc1 .LBB46_148
.LBB46_144:                             ; =>This Inner Loop Header: Depth=1
	s_and_saveexec_b64 s[14:15], s[2:3]
	s_cbranch_execz .LBB46_146
; %bb.145:                              ;   in Loop: Header=BB46_144 Depth=1
	s_ashr_i32 s13, s12, 31
	s_lshl_b64 s[8:9], s[12:13], 3
	v_mov_b32_e32 v6, s9
	v_add_co_u32_e64 v5, s[8:9], s8, v73
	v_addc_co_u32_e64 v6, s[8:9], v74, v6, s[8:9]
	flat_load_dwordx2 v[5:6], v[5:6]
	s_waitcnt vmcnt(0) lgkmcnt(0)
	ds_write_b64 v75, v[5:6]
.LBB46_146:                             ;   in Loop: Header=BB46_144 Depth=1
	s_or_b64 exec, exec, s[14:15]
	s_waitcnt lgkmcnt(0)
	s_barrier
	flat_load_dwordx2 v[38:39], v[3:4]
	v_add_co_u32_e64 v3, s[8:9], s10, v3
	v_addc_co_u32_e64 v4, s[8:9], v4, v82, s[8:9]
	flat_load_dwordx2 v[40:41], v[3:4]
	v_add_co_u32_e64 v3, s[8:9], s10, v3
	v_addc_co_u32_e64 v4, s[8:9], v4, v82, s[8:9]
	v_add_co_u32_e64 v11, s[8:9], s10, v3
	v_addc_co_u32_e64 v12, s[8:9], v4, v82, s[8:9]
	flat_load_dwordx2 v[42:43], v[3:4]
	flat_load_dwordx2 v[44:45], v[11:12]
	ds_read_b64 v[13:14], v77
	ds_read_b128 v[7:10], v76
	ds_read_b128 v[3:6], v76 offset:16
	v_add_co_u32_e64 v11, s[8:9], s18, v11
	v_addc_co_u32_e64 v12, s[8:9], v12, v83, s[8:9]
	v_add_co_u32_e64 v15, s[8:9], s10, v11
	v_addc_co_u32_e64 v16, s[8:9], v12, v82, s[8:9]
	;; [unrolled: 2-line block ×3, first 2 shown]
	s_waitcnt vmcnt(0) lgkmcnt(0)
	v_mul_f32_e32 v19, v39, v14
	v_mul_f32_e32 v20, v39, v13
	v_fmac_f32_e32 v19, v38, v13
	v_fma_f32 v20, v38, v14, -v20
	v_mul_f32_e32 v21, v41, v14
	v_mul_f32_e32 v22, v41, v13
	v_fmac_f32_e32 v21, v40, v13
	v_fma_f32 v22, v40, v14, -v22
	ds_write2_b64 v78, v[19:20], v[21:22] offset1:67
	v_mul_f32_e32 v23, v43, v14
	v_mul_f32_e32 v24, v43, v13
	v_mul_f32_e32 v19, v45, v14
	v_mul_f32_e32 v20, v45, v13
	v_fmac_f32_e32 v23, v42, v13
	v_fma_f32 v24, v42, v14, -v24
	v_fmac_f32_e32 v19, v44, v13
	v_fma_f32 v20, v44, v14, -v20
	ds_write2_b64 v78, v[23:24], v[19:20] offset0:134 offset1:201
	s_waitcnt lgkmcnt(0)
	s_barrier
	ds_read2_b64 v[27:30], v79 offset1:1
	ds_read2_b64 v[31:34], v79 offset0:2 offset1:3
	s_waitcnt lgkmcnt(0)
	s_barrier
	flat_load_dwordx2 v[46:47], v[11:12]
	flat_load_dwordx2 v[50:51], v[15:16]
	;; [unrolled: 1-line block ×3, first 2 shown]
	v_add_co_u32_e64 v11, s[8:9], s10, v17
	v_addc_co_u32_e64 v12, s[8:9], v18, v82, s[8:9]
	flat_load_dwordx2 v[52:53], v[11:12]
	ds_read_b64 v[23:24], v77
	v_add_co_u32_e64 v19, s[8:9], s18, v11
	v_addc_co_u32_e64 v20, s[8:9], v12, v83, s[8:9]
	v_add_co_u32_e64 v21, s[8:9], s10, v19
	v_addc_co_u32_e64 v22, s[8:9], v20, v82, s[8:9]
	;; [unrolled: 2-line block ×3, first 2 shown]
	ds_read_b128 v[15:18], v76 offset:128
	ds_read_b128 v[11:14], v76 offset:144
	v_add_f32_e32 v27, 0, v27
	v_add_f32_e32 v28, 0, v28
	;; [unrolled: 1-line block ×6, first 2 shown]
	s_waitcnt vmcnt(0) lgkmcnt(0)
	v_mul_f32_e32 v54, v47, v24
	v_mul_f32_e32 v55, v47, v23
	;; [unrolled: 1-line block ×6, first 2 shown]
	v_fma_f32 v55, v46, v24, -v55
	v_mul_f32_e32 v61, v53, v23
	v_mul_f32_e32 v60, v53, v24
	v_fma_f32 v57, v50, v24, -v57
	v_fma_f32 v59, v48, v24, -v59
	v_fmac_f32_e32 v54, v46, v23
	v_fmac_f32_e32 v56, v50, v23
	;; [unrolled: 1-line block ×3, first 2 shown]
	v_fma_f32 v61, v52, v24, -v61
	v_fmac_f32_e32 v60, v52, v23
	ds_write2_b64 v78, v[54:55], v[56:57] offset1:67
	ds_write2_b64 v78, v[58:59], v[60:61] offset0:134 offset1:201
	s_waitcnt lgkmcnt(0)
	s_barrier
	ds_read2_b64 v[85:88], v79 offset1:1
	ds_read2_b64 v[89:92], v79 offset0:2 offset1:3
	s_waitcnt lgkmcnt(0)
	s_barrier
	flat_load_dwordx2 v[58:59], v[19:20]
	flat_load_dwordx2 v[54:55], v[21:22]
	;; [unrolled: 1-line block ×3, first 2 shown]
	v_add_co_u32_e64 v19, s[8:9], s10, v25
	v_addc_co_u32_e64 v20, s[8:9], v26, v82, s[8:9]
	flat_load_dwordx2 v[60:61], v[19:20]
	ds_read_b64 v[64:65], v77
	v_add_co_u32_e64 v62, s[8:9], s18, v19
	v_addc_co_u32_e64 v63, s[8:9], v20, v83, s[8:9]
	v_add_co_u32_e64 v70, s[8:9], s10, v62
	v_addc_co_u32_e64 v71, s[8:9], v63, v82, s[8:9]
	;; [unrolled: 2-line block ×3, first 2 shown]
	ds_read_b128 v[23:26], v76 offset:256
	ds_read_b128 v[19:22], v76 offset:272
	s_waitcnt vmcnt(0) lgkmcnt(0)
	v_mul_f32_e32 v67, v59, v64
	v_mul_f32_e32 v66, v59, v65
	;; [unrolled: 1-line block ×6, first 2 shown]
	v_fma_f32 v67, v58, v65, -v67
	v_mul_f32_e32 v96, v61, v64
	v_mul_f32_e32 v95, v61, v65
	v_fma_f32 v69, v54, v65, -v69
	v_fma_f32 v94, v56, v65, -v94
	;; [unrolled: 1-line block ×3, first 2 shown]
	v_fmac_f32_e32 v66, v58, v64
	v_fmac_f32_e32 v68, v54, v64
	;; [unrolled: 1-line block ×4, first 2 shown]
	ds_write2_b64 v78, v[66:67], v[68:69] offset1:67
	ds_write2_b64 v78, v[93:94], v[95:96] offset0:134 offset1:201
	s_waitcnt lgkmcnt(0)
	s_barrier
	ds_read2_b64 v[93:96], v79 offset1:1
	ds_read2_b64 v[97:100], v79 offset0:2 offset1:3
	s_waitcnt lgkmcnt(0)
	s_barrier
	flat_load_dwordx2 v[66:67], v[62:63]
	flat_load_dwordx2 v[64:65], v[70:71]
	;; [unrolled: 1-line block ×3, first 2 shown]
	v_add_co_u32_e64 v62, s[8:9], s10, v101
	v_addc_co_u32_e64 v63, s[8:9], v102, v82, s[8:9]
	flat_load_dwordx2 v[70:71], v[62:63]
	v_add_f32_e32 v101, v27, v33
	v_add_f32_e32 v102, v28, v34
	;; [unrolled: 1-line block ×10, first 2 shown]
	ds_read_b64 v[85:86], v77
	ds_read_b128 v[31:34], v76 offset:384
	ds_read_b128 v[27:30], v76 offset:400
	v_add_f32_e32 v87, 0, v93
	v_add_f32_e32 v88, 0, v94
	;; [unrolled: 1-line block ×8, first 2 shown]
	s_waitcnt vmcnt(0) lgkmcnt(0)
	v_mul_f32_e32 v88, v67, v85
	v_mul_f32_e32 v87, v67, v86
	;; [unrolled: 1-line block ×6, first 2 shown]
	v_fma_f32 v88, v66, v86, -v88
	v_mul_f32_e32 v96, v71, v85
	v_mul_f32_e32 v95, v71, v86
	v_fma_f32 v90, v64, v86, -v90
	v_fmac_f32_e32 v87, v66, v85
	v_fmac_f32_e32 v89, v64, v85
	v_fma_f32 v92, v68, v86, -v92
	v_fmac_f32_e32 v91, v68, v85
	v_fma_f32 v96, v70, v86, -v96
	v_fmac_f32_e32 v95, v70, v85
	ds_write2_b64 v78, v[87:88], v[89:90] offset1:67
	ds_write2_b64 v78, v[91:92], v[95:96] offset0:134 offset1:201
	s_waitcnt lgkmcnt(0)
	s_barrier
	ds_read2_b64 v[85:88], v79 offset1:1
	ds_read2_b64 v[89:92], v79 offset0:2 offset1:3
	s_waitcnt lgkmcnt(0)
	s_barrier
	v_add_f32_e32 v85, 0, v85
	v_add_f32_e32 v86, 0, v86
	;; [unrolled: 1-line block ×8, first 2 shown]
	ds_write2_b64 v84, v[101:102], v[103:104] offset1:16
	ds_write2_b64 v84, v[93:94], v[85:86] offset0:32 offset1:48
	s_waitcnt lgkmcnt(0)
	s_barrier
	s_and_saveexec_b64 s[14:15], vcc
	s_cbranch_execz .LBB46_143
; %bb.147:                              ;   in Loop: Header=BB46_144 Depth=1
	ds_read_b64 v[93:94], v80
	ds_read2_b64 v[85:88], v80 offset0:1 offset1:2
	ds_read2_b64 v[89:92], v80 offset0:3 offset1:4
	s_waitcnt lgkmcnt(1)
	v_add_f32_e32 v85, v85, v93
	v_add_f32_e32 v86, v86, v94
	;; [unrolled: 1-line block ×4, first 2 shown]
	ds_read2_b64 v[85:88], v80 offset0:5 offset1:6
	s_waitcnt lgkmcnt(1)
	v_add_f32_e32 v89, v93, v89
	v_add_f32_e32 v90, v94, v90
	;; [unrolled: 1-line block ×4, first 2 shown]
	s_waitcnt lgkmcnt(0)
	v_add_f32_e32 v85, v89, v85
	ds_read2_b64 v[89:92], v80 offset0:7 offset1:8
	v_add_f32_e32 v86, v93, v86
	v_add_f32_e32 v93, v85, v87
	;; [unrolled: 1-line block ×3, first 2 shown]
	ds_read2_b64 v[85:88], v80 offset0:9 offset1:10
	s_waitcnt lgkmcnt(1)
	v_add_f32_e32 v89, v93, v89
	v_add_f32_e32 v90, v94, v90
	;; [unrolled: 1-line block ×4, first 2 shown]
	s_waitcnt lgkmcnt(0)
	v_add_f32_e32 v85, v89, v85
	ds_read2_b64 v[89:92], v80 offset0:11 offset1:12
	v_add_f32_e32 v86, v93, v86
	v_add_f32_e32 v93, v85, v87
	;; [unrolled: 1-line block ×3, first 2 shown]
	ds_read2_b64 v[85:88], v80 offset0:13 offset1:14
	s_waitcnt lgkmcnt(1)
	v_add_f32_e32 v89, v93, v89
	v_add_f32_e32 v90, v94, v90
	v_add_f32_e32 v91, v89, v91
	v_add_f32_e32 v92, v90, v92
	ds_read_b64 v[89:90], v81
	s_waitcnt lgkmcnt(1)
	v_add_f32_e32 v85, v91, v85
	v_add_f32_e32 v86, v92, v86
	;; [unrolled: 1-line block ×4, first 2 shown]
	v_lshlrev_b64 v[87:88], 3, v[0:1]
	s_waitcnt lgkmcnt(0)
	v_add_f32_e32 v85, v85, v89
	v_mov_b32_e32 v89, s17
	v_add_co_u32_e64 v87, s[8:9], s16, v87
	v_add_f32_e32 v86, v86, v90
	v_addc_co_u32_e64 v88, s[8:9], v89, v88, s[8:9]
	global_store_dwordx2 v[87:88], v[85:86], off
	s_branch .LBB46_143
.LBB46_148:
	s_movk_i32 s2, 0x218
	v_mad_u32_u24 v0, v2, s2, v72
	s_nor_b64 s[0:1], s[0:1], s[4:5]
	ds_write_b64 v0, v[36:37]
	s_waitcnt lgkmcnt(0)
	s_barrier
	s_and_saveexec_b64 s[2:3], s[0:1]
	s_cbranch_execz .LBB46_150
; %bb.149:
	ds_read2_b64 v[0:3], v72 offset1:67
	ds_read2_b64 v[4:7], v72 offset0:134 offset1:201
	v_ashrrev_i32_e32 v36, 31, v35
	s_waitcnt lgkmcnt(1)
	v_add_f32_e32 v0, v2, v0
	v_add_f32_e32 v1, v3, v1
	v_lshlrev_b64 v[2:3], 3, v[35:36]
	s_waitcnt lgkmcnt(0)
	v_add_f32_e32 v0, v4, v0
	v_add_f32_e32 v1, v5, v1
	v_mov_b32_e32 v4, s17
	v_add_co_u32_e32 v2, vcc, s16, v2
	v_add_f32_e32 v0, v0, v6
	v_add_f32_e32 v1, v1, v7
	v_addc_co_u32_e32 v3, vcc, v4, v3, vcc
	global_store_dwordx2 v[2:3], v[0:1], off
.LBB46_150:
	s_endpgm
	.section	.rodata,"a",@progbits
	.p2align	6, 0x0
	.amdhsa_kernel _ZL26rocblas_hemvn_kernel_lowerILb1ELi64ELi4ELi33ELi32ELi16Ei19rocblas_complex_numIfEPKPKS1_PS1_EviT6_lT7_lT5_lS8_lS9_lS7_lT8_i
		.amdhsa_group_segment_fixed_size 9600
		.amdhsa_private_segment_fixed_size 0
		.amdhsa_kernarg_size 376
		.amdhsa_user_sgpr_count 6
		.amdhsa_user_sgpr_private_segment_buffer 1
		.amdhsa_user_sgpr_dispatch_ptr 0
		.amdhsa_user_sgpr_queue_ptr 0
		.amdhsa_user_sgpr_kernarg_segment_ptr 1
		.amdhsa_user_sgpr_dispatch_id 0
		.amdhsa_user_sgpr_flat_scratch_init 0
		.amdhsa_user_sgpr_private_segment_size 0
		.amdhsa_uses_dynamic_stack 0
		.amdhsa_system_sgpr_private_segment_wavefront_offset 0
		.amdhsa_system_sgpr_workgroup_id_x 1
		.amdhsa_system_sgpr_workgroup_id_y 0
		.amdhsa_system_sgpr_workgroup_id_z 1
		.amdhsa_system_sgpr_workgroup_info 0
		.amdhsa_system_vgpr_workitem_id 1
		.amdhsa_next_free_vgpr 105
		.amdhsa_next_free_sgpr 93
		.amdhsa_reserve_vcc 1
		.amdhsa_reserve_flat_scratch 0
		.amdhsa_float_round_mode_32 0
		.amdhsa_float_round_mode_16_64 0
		.amdhsa_float_denorm_mode_32 3
		.amdhsa_float_denorm_mode_16_64 3
		.amdhsa_dx10_clamp 1
		.amdhsa_ieee_mode 1
		.amdhsa_fp16_overflow 0
		.amdhsa_exception_fp_ieee_invalid_op 0
		.amdhsa_exception_fp_denorm_src 0
		.amdhsa_exception_fp_ieee_div_zero 0
		.amdhsa_exception_fp_ieee_overflow 0
		.amdhsa_exception_fp_ieee_underflow 0
		.amdhsa_exception_fp_ieee_inexact 0
		.amdhsa_exception_int_div_zero 0
	.end_amdhsa_kernel
	.section	.text._ZL26rocblas_hemvn_kernel_lowerILb1ELi64ELi4ELi33ELi32ELi16Ei19rocblas_complex_numIfEPKPKS1_PS1_EviT6_lT7_lT5_lS8_lS9_lS7_lT8_i,"axG",@progbits,_ZL26rocblas_hemvn_kernel_lowerILb1ELi64ELi4ELi33ELi32ELi16Ei19rocblas_complex_numIfEPKPKS1_PS1_EviT6_lT7_lT5_lS8_lS9_lS7_lT8_i,comdat
.Lfunc_end46:
	.size	_ZL26rocblas_hemvn_kernel_lowerILb1ELi64ELi4ELi33ELi32ELi16Ei19rocblas_complex_numIfEPKPKS1_PS1_EviT6_lT7_lT5_lS8_lS9_lS7_lT8_i, .Lfunc_end46-_ZL26rocblas_hemvn_kernel_lowerILb1ELi64ELi4ELi33ELi32ELi16Ei19rocblas_complex_numIfEPKPKS1_PS1_EviT6_lT7_lT5_lS8_lS9_lS7_lT8_i
                                        ; -- End function
	.set _ZL26rocblas_hemvn_kernel_lowerILb1ELi64ELi4ELi33ELi32ELi16Ei19rocblas_complex_numIfEPKPKS1_PS1_EviT6_lT7_lT5_lS8_lS9_lS7_lT8_i.num_vgpr, 105
	.set _ZL26rocblas_hemvn_kernel_lowerILb1ELi64ELi4ELi33ELi32ELi16Ei19rocblas_complex_numIfEPKPKS1_PS1_EviT6_lT7_lT5_lS8_lS9_lS7_lT8_i.num_agpr, 0
	.set _ZL26rocblas_hemvn_kernel_lowerILb1ELi64ELi4ELi33ELi32ELi16Ei19rocblas_complex_numIfEPKPKS1_PS1_EviT6_lT7_lT5_lS8_lS9_lS7_lT8_i.numbered_sgpr, 46
	.set _ZL26rocblas_hemvn_kernel_lowerILb1ELi64ELi4ELi33ELi32ELi16Ei19rocblas_complex_numIfEPKPKS1_PS1_EviT6_lT7_lT5_lS8_lS9_lS7_lT8_i.num_named_barrier, 0
	.set _ZL26rocblas_hemvn_kernel_lowerILb1ELi64ELi4ELi33ELi32ELi16Ei19rocblas_complex_numIfEPKPKS1_PS1_EviT6_lT7_lT5_lS8_lS9_lS7_lT8_i.private_seg_size, 0
	.set _ZL26rocblas_hemvn_kernel_lowerILb1ELi64ELi4ELi33ELi32ELi16Ei19rocblas_complex_numIfEPKPKS1_PS1_EviT6_lT7_lT5_lS8_lS9_lS7_lT8_i.uses_vcc, 1
	.set _ZL26rocblas_hemvn_kernel_lowerILb1ELi64ELi4ELi33ELi32ELi16Ei19rocblas_complex_numIfEPKPKS1_PS1_EviT6_lT7_lT5_lS8_lS9_lS7_lT8_i.uses_flat_scratch, 0
	.set _ZL26rocblas_hemvn_kernel_lowerILb1ELi64ELi4ELi33ELi32ELi16Ei19rocblas_complex_numIfEPKPKS1_PS1_EviT6_lT7_lT5_lS8_lS9_lS7_lT8_i.has_dyn_sized_stack, 0
	.set _ZL26rocblas_hemvn_kernel_lowerILb1ELi64ELi4ELi33ELi32ELi16Ei19rocblas_complex_numIfEPKPKS1_PS1_EviT6_lT7_lT5_lS8_lS9_lS7_lT8_i.has_recursion, 0
	.set _ZL26rocblas_hemvn_kernel_lowerILb1ELi64ELi4ELi33ELi32ELi16Ei19rocblas_complex_numIfEPKPKS1_PS1_EviT6_lT7_lT5_lS8_lS9_lS7_lT8_i.has_indirect_call, 0
	.section	.AMDGPU.csdata,"",@progbits
; Kernel info:
; codeLenInByte = 7832
; TotalNumSgprs: 50
; NumVgprs: 105
; ScratchSize: 0
; MemoryBound: 1
; FloatMode: 240
; IeeeMode: 1
; LDSByteSize: 9600 bytes/workgroup (compile time only)
; SGPRBlocks: 12
; VGPRBlocks: 26
; NumSGPRsForWavesPerEU: 97
; NumVGPRsForWavesPerEU: 105
; Occupancy: 2
; WaveLimiterHint : 1
; COMPUTE_PGM_RSRC2:SCRATCH_EN: 0
; COMPUTE_PGM_RSRC2:USER_SGPR: 6
; COMPUTE_PGM_RSRC2:TRAP_HANDLER: 0
; COMPUTE_PGM_RSRC2:TGID_X_EN: 1
; COMPUTE_PGM_RSRC2:TGID_Y_EN: 0
; COMPUTE_PGM_RSRC2:TGID_Z_EN: 1
; COMPUTE_PGM_RSRC2:TIDIG_COMP_CNT: 1
	.section	.text._ZL36rocblas_hemvn_kernel_lower_block_sumILi64Ei19rocblas_complex_numIfEPKPS1_S1_EviT1_lS5_lT2_lT0_lPT3_i,"axG",@progbits,_ZL36rocblas_hemvn_kernel_lower_block_sumILi64Ei19rocblas_complex_numIfEPKPS1_S1_EviT1_lS5_lT2_lT0_lPT3_i,comdat
	.globl	_ZL36rocblas_hemvn_kernel_lower_block_sumILi64Ei19rocblas_complex_numIfEPKPS1_S1_EviT1_lS5_lT2_lT0_lPT3_i ; -- Begin function _ZL36rocblas_hemvn_kernel_lower_block_sumILi64Ei19rocblas_complex_numIfEPKPS1_S1_EviT1_lS5_lT2_lT0_lPT3_i
	.p2align	8
	.type	_ZL36rocblas_hemvn_kernel_lower_block_sumILi64Ei19rocblas_complex_numIfEPKPS1_S1_EviT1_lS5_lT2_lT0_lPT3_i,@function
_ZL36rocblas_hemvn_kernel_lower_block_sumILi64Ei19rocblas_complex_numIfEPKPS1_S1_EviT1_lS5_lT2_lT0_lPT3_i: ; @_ZL36rocblas_hemvn_kernel_lower_block_sumILi64Ei19rocblas_complex_numIfEPKPS1_S1_EviT1_lS5_lT2_lT0_lPT3_i
; %bb.0:
	s_load_dwordx4 s[8:11], s[4:5], 0x0
	s_load_dwordx2 s[2:3], s[4:5], 0x18
	s_mov_b32 s12, s7
	s_mov_b64 s[14:15], -1
	s_waitcnt lgkmcnt(0)
	s_or_b32 s0, s9, s10
	s_and_b32 s7, s0, 0x7fffffff
	s_cmp_eq_u32 s7, 0
	s_cselect_b64 s[0:1], -1, 0
	s_cmp_lg_u32 s7, 0
	s_cbranch_scc1 .LBB47_2
; %bb.1:
	v_cmp_neq_f32_e64 s[14:15], s2, 1.0
	v_cmp_neq_f32_e64 s[16:17], s3, 0
	s_or_b64 s[14:15], s[14:15], s[16:17]
.LBB47_2:
	s_andn2_b64 vcc, exec, s[14:15]
	s_cbranch_vccnz .LBB47_19
; %bb.3:
	s_load_dwordx4 s[20:23], s[4:5], 0x28
	s_load_dword s16, s[4:5], 0x38
	s_mov_b32 s13, 0
	s_lshl_b64 s[14:15], s[12:13], 3
	v_lshl_or_b32 v4, s6, 6, v0
	s_waitcnt lgkmcnt(0)
	s_add_u32 s14, s20, s14
	s_addc_u32 s15, s21, s15
	s_load_dwordx2 s[18:19], s[14:15], 0x0
	s_lshl_b64 s[20:21], s[22:23], 3
	s_mov_b64 s[14:15], -1
	s_waitcnt lgkmcnt(0)
	s_add_u32 s7, s18, s20
	s_addc_u32 s11, s19, s21
	s_andn2_b64 vcc, exec, s[0:1]
	v_cmp_gt_i32_e64 s[0:1], s8, v4
	s_cbranch_vccnz .LBB47_9
; %bb.4:
	s_and_saveexec_b64 s[14:15], s[0:1]
	s_cbranch_execz .LBB47_8
; %bb.5:
	v_mul_lo_u32 v1, s16, v4
	v_cmp_neq_f32_e64 s[0:1], s2, 0
	v_cmp_neq_f32_e64 s[18:19], s3, 0
	s_or_b64 s[0:1], s[0:1], s[18:19]
	v_ashrrev_i32_e32 v2, 31, v1
	v_lshlrev_b64 v[2:3], 3, v[1:2]
	v_mov_b32_e32 v0, 0
	s_andn2_b64 vcc, exec, s[0:1]
	v_mov_b32_e32 v1, 0
	s_cbranch_vccnz .LBB47_7
; %bb.6:
	v_mov_b32_e32 v1, s11
	v_add_co_u32_e32 v0, vcc, s7, v2
	v_addc_co_u32_e32 v1, vcc, v1, v3, vcc
	flat_load_dwordx2 v[5:6], v[0:1]
	s_waitcnt vmcnt(0) lgkmcnt(0)
	v_mul_f32_e32 v0, s3, v6
	v_mul_f32_e32 v1, s2, v6
	v_fma_f32 v0, v5, s2, -v0
	v_fmac_f32_e32 v1, s3, v5
.LBB47_7:
	v_mov_b32_e32 v5, s11
	v_add_co_u32_e32 v2, vcc, s7, v2
	v_addc_co_u32_e32 v3, vcc, v5, v3, vcc
	flat_store_dwordx2 v[2:3], v[0:1]
.LBB47_8:
	s_or_b64 exec, exec, s[14:15]
	s_mov_b64 s[14:15], 0
.LBB47_9:
	s_andn2_b64 vcc, exec, s[14:15]
	s_cbranch_vccnz .LBB47_19
; %bb.10:
	v_cmp_gt_i32_e32 vcc, s8, v4
	s_and_saveexec_b64 s[0:1], vcc
	s_cbranch_execz .LBB47_19
; %bb.11:
	s_load_dword s13, s[4:5], 0x58
	v_mov_b32_e32 v3, 0
	v_mov_b32_e32 v5, 0
	s_waitcnt lgkmcnt(0)
	s_cmp_ge_i32 s6, s13
	s_cbranch_scc1 .LBB47_14
; %bb.12:
	s_load_dwordx2 s[0:1], s[4:5], 0x48
	s_ashr_i32 s5, s8, 31
	s_mul_i32 s14, s8, s6
	v_add_u32_e32 v0, s14, v4
	s_mul_hi_u32 s14, s8, s12
	s_mul_i32 s15, s5, s12
	s_mov_b32 s4, s8
	s_add_i32 s14, s14, s15
	s_mul_i32 s8, s8, s12
	s_mul_i32 s14, s14, s13
	s_mul_hi_u32 s12, s8, s13
	s_add_i32 s15, s12, s14
	s_mul_i32 s14, s8, s13
	v_ashrrev_i32_e32 v1, 31, v0
	s_lshl_b64 s[14:15], s[14:15], 3
	v_lshlrev_b64 v[0:1], 3, v[0:1]
	s_waitcnt lgkmcnt(0)
	s_add_u32 s0, s0, s14
	s_addc_u32 s1, s1, s15
	v_mov_b32_e32 v2, s1
	v_add_co_u32_e32 v0, vcc, s0, v0
	v_addc_co_u32_e32 v1, vcc, v2, v1, vcc
	v_add_co_u32_e32 v0, vcc, 4, v0
	s_lshl_b64 s[0:1], s[4:5], 3
	v_addc_co_u32_e32 v1, vcc, 0, v1, vcc
	v_mov_b32_e32 v3, 0
	v_mov_b32_e32 v2, s1
	;; [unrolled: 1-line block ×3, first 2 shown]
.LBB47_13:                              ; =>This Inner Loop Header: Depth=1
	global_load_dwordx2 v[6:7], v[0:1], off offset:-4
	s_add_i32 s6, s6, 1
	v_add_co_u32_e32 v0, vcc, s0, v0
	v_addc_co_u32_e32 v1, vcc, v1, v2, vcc
	s_cmp_ge_i32 s6, s13
	s_waitcnt vmcnt(0)
	v_add_f32_e32 v5, v5, v6
	v_add_f32_e32 v3, v3, v7
	s_cbranch_scc0 .LBB47_13
.LBB47_14:
	v_mul_lo_u32 v2, s16, v4
	v_cmp_neq_f32_e64 s[0:1], s2, 0
	v_cmp_neq_f32_e64 s[4:5], s3, 0
	s_or_b64 s[0:1], s[0:1], s[4:5]
	v_mul_f32_e32 v0, s10, v3
	v_mul_f32_e32 v1, s9, v3
	s_andn2_b64 vcc, exec, s[0:1]
	v_fma_f32 v0, v5, s9, -v0
	v_fmac_f32_e32 v1, s10, v5
	v_ashrrev_i32_e32 v3, 31, v2
	s_cbranch_vccz .LBB47_16
; %bb.15:
	s_cbranch_execz .LBB47_17
	s_branch .LBB47_18
.LBB47_16:
.LBB47_17:
	v_lshlrev_b64 v[4:5], 3, v[2:3]
	v_mov_b32_e32 v6, s11
	v_add_co_u32_e32 v4, vcc, s7, v4
	v_addc_co_u32_e32 v5, vcc, v6, v5, vcc
	flat_load_dwordx2 v[4:5], v[4:5]
	s_waitcnt vmcnt(0) lgkmcnt(0)
	v_mul_f32_e32 v6, s3, v5
	v_mul_f32_e32 v5, s2, v5
	v_fma_f32 v6, v4, s2, -v6
	v_fmac_f32_e32 v5, s3, v4
	v_add_f32_e32 v0, v0, v6
	v_add_f32_e32 v1, v1, v5
.LBB47_18:
	v_lshlrev_b64 v[2:3], 3, v[2:3]
	v_mov_b32_e32 v4, s11
	v_add_co_u32_e32 v2, vcc, s7, v2
	v_addc_co_u32_e32 v3, vcc, v4, v3, vcc
	flat_store_dwordx2 v[2:3], v[0:1]
.LBB47_19:
	s_endpgm
	.section	.rodata,"a",@progbits
	.p2align	6, 0x0
	.amdhsa_kernel _ZL36rocblas_hemvn_kernel_lower_block_sumILi64Ei19rocblas_complex_numIfEPKPS1_S1_EviT1_lS5_lT2_lT0_lPT3_i
		.amdhsa_group_segment_fixed_size 0
		.amdhsa_private_segment_fixed_size 0
		.amdhsa_kernarg_size 344
		.amdhsa_user_sgpr_count 6
		.amdhsa_user_sgpr_private_segment_buffer 1
		.amdhsa_user_sgpr_dispatch_ptr 0
		.amdhsa_user_sgpr_queue_ptr 0
		.amdhsa_user_sgpr_kernarg_segment_ptr 1
		.amdhsa_user_sgpr_dispatch_id 0
		.amdhsa_user_sgpr_flat_scratch_init 0
		.amdhsa_user_sgpr_private_segment_size 0
		.amdhsa_uses_dynamic_stack 0
		.amdhsa_system_sgpr_private_segment_wavefront_offset 0
		.amdhsa_system_sgpr_workgroup_id_x 1
		.amdhsa_system_sgpr_workgroup_id_y 0
		.amdhsa_system_sgpr_workgroup_id_z 1
		.amdhsa_system_sgpr_workgroup_info 0
		.amdhsa_system_vgpr_workitem_id 0
		.amdhsa_next_free_vgpr 8
		.amdhsa_next_free_sgpr 24
		.amdhsa_reserve_vcc 1
		.amdhsa_reserve_flat_scratch 0
		.amdhsa_float_round_mode_32 0
		.amdhsa_float_round_mode_16_64 0
		.amdhsa_float_denorm_mode_32 3
		.amdhsa_float_denorm_mode_16_64 3
		.amdhsa_dx10_clamp 1
		.amdhsa_ieee_mode 1
		.amdhsa_fp16_overflow 0
		.amdhsa_exception_fp_ieee_invalid_op 0
		.amdhsa_exception_fp_denorm_src 0
		.amdhsa_exception_fp_ieee_div_zero 0
		.amdhsa_exception_fp_ieee_overflow 0
		.amdhsa_exception_fp_ieee_underflow 0
		.amdhsa_exception_fp_ieee_inexact 0
		.amdhsa_exception_int_div_zero 0
	.end_amdhsa_kernel
	.section	.text._ZL36rocblas_hemvn_kernel_lower_block_sumILi64Ei19rocblas_complex_numIfEPKPS1_S1_EviT1_lS5_lT2_lT0_lPT3_i,"axG",@progbits,_ZL36rocblas_hemvn_kernel_lower_block_sumILi64Ei19rocblas_complex_numIfEPKPS1_S1_EviT1_lS5_lT2_lT0_lPT3_i,comdat
.Lfunc_end47:
	.size	_ZL36rocblas_hemvn_kernel_lower_block_sumILi64Ei19rocblas_complex_numIfEPKPS1_S1_EviT1_lS5_lT2_lT0_lPT3_i, .Lfunc_end47-_ZL36rocblas_hemvn_kernel_lower_block_sumILi64Ei19rocblas_complex_numIfEPKPS1_S1_EviT1_lS5_lT2_lT0_lPT3_i
                                        ; -- End function
	.set _ZL36rocblas_hemvn_kernel_lower_block_sumILi64Ei19rocblas_complex_numIfEPKPS1_S1_EviT1_lS5_lT2_lT0_lPT3_i.num_vgpr, 8
	.set _ZL36rocblas_hemvn_kernel_lower_block_sumILi64Ei19rocblas_complex_numIfEPKPS1_S1_EviT1_lS5_lT2_lT0_lPT3_i.num_agpr, 0
	.set _ZL36rocblas_hemvn_kernel_lower_block_sumILi64Ei19rocblas_complex_numIfEPKPS1_S1_EviT1_lS5_lT2_lT0_lPT3_i.numbered_sgpr, 24
	.set _ZL36rocblas_hemvn_kernel_lower_block_sumILi64Ei19rocblas_complex_numIfEPKPS1_S1_EviT1_lS5_lT2_lT0_lPT3_i.num_named_barrier, 0
	.set _ZL36rocblas_hemvn_kernel_lower_block_sumILi64Ei19rocblas_complex_numIfEPKPS1_S1_EviT1_lS5_lT2_lT0_lPT3_i.private_seg_size, 0
	.set _ZL36rocblas_hemvn_kernel_lower_block_sumILi64Ei19rocblas_complex_numIfEPKPS1_S1_EviT1_lS5_lT2_lT0_lPT3_i.uses_vcc, 1
	.set _ZL36rocblas_hemvn_kernel_lower_block_sumILi64Ei19rocblas_complex_numIfEPKPS1_S1_EviT1_lS5_lT2_lT0_lPT3_i.uses_flat_scratch, 0
	.set _ZL36rocblas_hemvn_kernel_lower_block_sumILi64Ei19rocblas_complex_numIfEPKPS1_S1_EviT1_lS5_lT2_lT0_lPT3_i.has_dyn_sized_stack, 0
	.set _ZL36rocblas_hemvn_kernel_lower_block_sumILi64Ei19rocblas_complex_numIfEPKPS1_S1_EviT1_lS5_lT2_lT0_lPT3_i.has_recursion, 0
	.set _ZL36rocblas_hemvn_kernel_lower_block_sumILi64Ei19rocblas_complex_numIfEPKPS1_S1_EviT1_lS5_lT2_lT0_lPT3_i.has_indirect_call, 0
	.section	.AMDGPU.csdata,"",@progbits
; Kernel info:
; codeLenInByte = 676
; TotalNumSgprs: 28
; NumVgprs: 8
; ScratchSize: 0
; MemoryBound: 0
; FloatMode: 240
; IeeeMode: 1
; LDSByteSize: 0 bytes/workgroup (compile time only)
; SGPRBlocks: 3
; VGPRBlocks: 1
; NumSGPRsForWavesPerEU: 28
; NumVGPRsForWavesPerEU: 8
; Occupancy: 10
; WaveLimiterHint : 1
; COMPUTE_PGM_RSRC2:SCRATCH_EN: 0
; COMPUTE_PGM_RSRC2:USER_SGPR: 6
; COMPUTE_PGM_RSRC2:TRAP_HANDLER: 0
; COMPUTE_PGM_RSRC2:TGID_X_EN: 1
; COMPUTE_PGM_RSRC2:TGID_Y_EN: 0
; COMPUTE_PGM_RSRC2:TGID_Z_EN: 1
; COMPUTE_PGM_RSRC2:TIDIG_COMP_CNT: 0
	.section	.text._ZL26rocblas_hemvn_kernel_upperILb1ELi64ELi4ELi33ELi32ELi16ElPK19rocblas_complex_numIdEPKS3_PS1_EviT6_lT7_lT5_lS8_lS9_lS7_lT8_i,"axG",@progbits,_ZL26rocblas_hemvn_kernel_upperILb1ELi64ELi4ELi33ELi32ELi16ElPK19rocblas_complex_numIdEPKS3_PS1_EviT6_lT7_lT5_lS8_lS9_lS7_lT8_i,comdat
	.globl	_ZL26rocblas_hemvn_kernel_upperILb1ELi64ELi4ELi33ELi32ELi16ElPK19rocblas_complex_numIdEPKS3_PS1_EviT6_lT7_lT5_lS8_lS9_lS7_lT8_i ; -- Begin function _ZL26rocblas_hemvn_kernel_upperILb1ELi64ELi4ELi33ELi32ELi16ElPK19rocblas_complex_numIdEPKS3_PS1_EviT6_lT7_lT5_lS8_lS9_lS7_lT8_i
	.p2align	8
	.type	_ZL26rocblas_hemvn_kernel_upperILb1ELi64ELi4ELi33ELi32ELi16ElPK19rocblas_complex_numIdEPKS3_PS1_EviT6_lT7_lT5_lS8_lS9_lS7_lT8_i,@function
_ZL26rocblas_hemvn_kernel_upperILb1ELi64ELi4ELi33ELi32ELi16ElPK19rocblas_complex_numIdEPKS3_PS1_EviT6_lT7_lT5_lS8_lS9_lS7_lT8_i: ; @_ZL26rocblas_hemvn_kernel_upperILb1ELi64ELi4ELi33ELi32ELi16ElPK19rocblas_complex_numIdEPKS3_PS1_EviT6_lT7_lT5_lS8_lS9_lS7_lT8_i
; %bb.0:
	s_load_dwordx2 s[0:1], s[4:5], 0x84
	s_add_u32 s18, s4, 0x78
	s_addc_u32 s19, s5, 0
	s_waitcnt lgkmcnt(0)
	s_lshr_b32 s2, s0, 16
	s_and_b32 s0, s0, 0xffff
	s_and_b32 s1, s1, 0xffff
	s_mul_i32 s0, s2, s0
	s_mul_i32 s0, s0, s1
	s_cmpk_lg_i32 s0, 0x100
	s_cbranch_scc1 .LBB48_201
; %bb.1:
	s_load_dwordx8 s[8:15], s[4:5], 0x8
	s_mov_b32 s24, s7
	s_mov_b32 s25, 0
	s_waitcnt lgkmcnt(0)
	s_mul_i32 s1, s11, s7
	s_mul_hi_u32 s2, s10, s7
	s_mul_i32 s0, s10, s7
	s_add_i32 s1, s2, s1
	s_lshl_b64 s[0:1], s[0:1], 4
	s_add_u32 s8, s8, s0
	s_addc_u32 s9, s9, s1
	s_load_dwordx4 s[0:3], s[8:9], 0x0
	s_waitcnt lgkmcnt(0)
	v_cmp_neq_f64_e64 s[8:9], s[0:1], 0
	v_cmp_neq_f64_e64 s[10:11], s[2:3], 0
	s_load_dwordx2 s[26:27], s[4:5], 0x68
	s_load_dwordx4 s[0:3], s[4:5], 0x58
	s_or_b64 s[10:11], s[8:9], s[10:11]
	s_mov_b64 s[8:9], -1
	s_and_b64 vcc, exec, s[10:11]
	s_cbranch_vccnz .LBB48_3
; %bb.2:
	s_waitcnt lgkmcnt(0)
	s_mul_i32 s3, s3, s24
	s_mul_hi_u32 s7, s2, s24
	s_add_i32 s3, s7, s3
	s_mul_i32 s2, s2, s24
	s_lshl_b64 s[2:3], s[2:3], 4
	s_add_u32 s8, s0, s2
	s_addc_u32 s9, s1, s3
	s_load_dwordx4 s[0:3], s[8:9], 0x0
	s_mov_b64 s[8:9], 0
	s_waitcnt lgkmcnt(0)
	v_cmp_eq_f64_e64 s[0:1], s[0:1], 1.0
	v_cmp_eq_f64_e64 s[2:3], s[2:3], 0
	s_and_b64 s[0:1], s[0:1], s[2:3]
	s_andn2_b64 vcc, exec, s[0:1]
.LBB48_3:
	s_andn2_b64 vcc, exec, s[8:9]
	s_cbranch_vccnz .LBB48_201
; %bb.4:
	s_load_dword s7, s[18:19], 0x0
	s_load_dwordx4 s[8:11], s[4:5], 0x38
	s_load_dwordx2 s[16:17], s[4:5], 0x48
	s_waitcnt lgkmcnt(0)
	s_lshl_b64 s[0:1], s[24:25], 3
	s_add_u32 s12, s12, s0
	s_addc_u32 s13, s13, s1
	s_add_u32 s0, s8, s0
	s_addc_u32 s1, s9, s1
	s_load_dwordx2 s[8:9], s[0:1], 0x0
	s_load_dwordx2 s[22:23], s[4:5], 0x28
	s_load_dword s33, s[4:5], 0x0
	s_load_dwordx2 s[2:3], s[12:13], 0x0
	s_lshl_b64 s[0:1], s[10:11], 4
	s_waitcnt lgkmcnt(0)
	s_add_u32 s4, s8, s0
	s_addc_u32 s5, s9, s1
	s_lshl_b32 s28, s6, 6
	s_ashr_i32 s38, s33, 31
	s_lshr_b32 s0, s38, 26
	v_add_u32_e32 v175, s28, v0
	s_add_i32 s0, s33, s0
	v_ashrrev_i32_e32 v176, 31, v175
	s_and_b32 s9, s0, 0xffffffc0
	v_mul_lo_u32 v4, s16, v176
	v_mul_lo_u32 v5, s17, v175
	v_mad_u64_u32 v[2:3], s[0:1], s16, v175, 0
	s_add_i32 s8, s7, -1
	s_sub_i32 s25, s33, s9
	v_add3_u32 v3, v3, v4, v5
	v_lshlrev_b64 v[2:3], 4, v[2:3]
	s_cmp_eq_u32 s6, s8
	v_mov_b32_e32 v4, s5
	v_add_co_u32_e32 v40, vcc, s4, v2
	s_cselect_b32 s18, s25, 0
	v_addc_co_u32_e32 v41, vcc, v4, v3, vcc
	v_cmp_eq_u32_e64 s[0:1], 0, v1
	s_and_saveexec_b64 s[4:5], s[0:1]
	s_cbranch_execz .LBB48_9
; %bb.5:
	s_cmp_lg_u32 s18, 0
	s_cselect_b64 s[8:9], -1, 0
	v_cmp_le_i32_e32 vcc, s18, v0
	v_mov_b32_e32 v2, 0x4700
	s_and_b64 s[8:9], s[8:9], vcc
	v_lshl_add_u32 v2, v0, 4, v2
	s_and_saveexec_b64 s[10:11], s[8:9]
	s_xor_b64 s[8:9], exec, s[10:11]
; %bb.6:
	v_mov_b32_e32 v3, 0
	v_mov_b32_e32 v4, v3
	;; [unrolled: 1-line block ×4, first 2 shown]
	ds_write_b128 v2, v[3:6]
                                        ; implicit-def: $vgpr2
; %bb.7:
	s_andn2_saveexec_b64 s[8:9], s[8:9]
	s_cbranch_execz .LBB48_9
; %bb.8:
	flat_load_dwordx4 v[3:6], v[40:41]
	s_waitcnt vmcnt(0) lgkmcnt(0)
	ds_write2_b64 v2, v[3:4], v[5:6] offset1:1
.LBB48_9:
	s_or_b64 exec, exec, s[4:5]
	v_lshl_add_u32 v44, v1, 6, v0
	v_and_b32_e32 v10, 31, v0
	v_lshrrev_b32_e32 v13, 5, v44
	v_mov_b32_e32 v11, 0
	v_mad_u64_u32 v[2:3], s[8:9], s22, v13, v[10:11]
	s_lshl_b64 s[4:5], s[14:15], 4
	s_add_u32 s4, s2, s4
	s_addc_u32 s5, s3, s5
	v_mad_u64_u32 v[3:4], s[2:3], s23, v13, v[3:4]
	s_ashr_i32 s29, s28, 31
	s_lshl_b64 s[2:3], s[28:29], 4
	s_add_u32 s2, s4, s2
	v_lshlrev_b64 v[38:39], 4, v[2:3]
	s_addc_u32 s3, s5, s3
	v_mov_b32_e32 v2, s3
	v_add_co_u32_e32 v3, vcc, s2, v38
	s_mul_hi_u32 s2, s22, s28
	s_mul_i32 s3, s22, s29
	s_add_i32 s2, s2, s3
	s_mul_i32 s3, s23, s28
	s_add_i32 s3, s2, s3
	s_mul_i32 s2, s22, s28
	s_lshl_b64 s[2:3], s[2:3], 4
	v_addc_co_u32_e32 v4, vcc, v2, v39, vcc
	s_cmp_eq_u32 s18, 0
	v_mov_b32_e32 v5, s3
	v_add_co_u32_e32 v2, vcc, s2, v3
	s_cselect_b64 s[20:21], -1, 0
	s_cmp_lg_u32 s18, 0
	v_addc_co_u32_e32 v3, vcc, v4, v5, vcc
	s_cselect_b64 s[30:31], -1, 0
	s_and_b64 vcc, exec, s[30:31]
	v_cmp_gt_i32_e64 s[2:3], s18, v10
	v_lshlrev_b32_e32 v15, 4, v10
	v_lshlrev_b32_e32 v14, 4, v10
	s_cbranch_vccz .LBB48_27
; %bb.10:
	v_sub_co_u32_e32 v4, vcc, v2, v15
	s_ashr_i32 s19, s18, 31
	v_subbrev_co_u32_e32 v5, vcc, 0, v3, vcc
	s_lshl_b64 s[4:5], s[18:19], 4
	v_mov_b32_e32 v6, s5
	v_add_co_u32_e32 v4, vcc, s4, v4
	v_addc_co_u32_e32 v5, vcc, v5, v6, vcc
	v_add_co_u32_e32 v4, vcc, -16, v4
	v_addc_co_u32_e32 v5, vcc, -1, v5, vcc
	s_movk_i32 s8, 0x210
	v_cndmask_b32_e64 v5, v5, v3, s[2:3]
	v_cndmask_b32_e64 v4, v4, v2, s[2:3]
	v_cmp_le_i32_e32 vcc, s18, v13
	v_mad_u32_u24 v7, v13, s8, v14
	s_and_saveexec_b64 s[8:9], vcc
	s_xor_b64 s[8:9], exec, s[8:9]
; %bb.11:
	v_mov_b32_e32 v16, 0
	v_mov_b32_e32 v17, v16
	;; [unrolled: 1-line block ×4, first 2 shown]
	ds_write_b128 v7, v[16:19]
                                        ; implicit-def: $vgpr7
; %bb.12:
	s_or_saveexec_b64 s[8:9], s[8:9]
	v_mul_u32_u24_e32 v6, 0x210, v13
	s_xor_b64 exec, exec, s[8:9]
	s_cbranch_execz .LBB48_14
; %bb.13:
	flat_load_dwordx4 v[16:19], v[4:5]
	s_waitcnt vmcnt(0) lgkmcnt(0)
	ds_write2_b64 v7, v[16:17], v[18:19] offset1:1
.LBB48_14:
	s_or_b64 exec, exec, s[8:9]
	v_add_u32_e32 v7, 8, v13
	v_cmp_le_i32_e32 vcc, s18, v7
	v_add_u32_e32 v7, v6, v14
	s_and_saveexec_b64 s[8:9], vcc
	s_xor_b64 s[8:9], exec, s[8:9]
; %bb.15:
	v_mov_b32_e32 v16, 0
	v_mov_b32_e32 v17, v16
	;; [unrolled: 1-line block ×4, first 2 shown]
	ds_write_b128 v7, v[16:19] offset:4224
; %bb.16:
	s_andn2_saveexec_b64 s[8:9], s[8:9]
	s_cbranch_execz .LBB48_18
; %bb.17:
	s_lshl_b64 s[10:11], s[22:23], 7
	v_mov_b32_e32 v9, s11
	v_add_co_u32_e32 v8, vcc, s10, v4
	v_addc_co_u32_e32 v9, vcc, v5, v9, vcc
	flat_load_dwordx4 v[16:19], v[8:9]
	s_movk_i32 s10, 0x1080
	v_add3_u32 v8, v6, v14, s10
	s_waitcnt vmcnt(0) lgkmcnt(0)
	ds_write2_b64 v8, v[16:17], v[18:19] offset1:1
.LBB48_18:
	s_or_b64 exec, exec, s[8:9]
	v_add_u32_e32 v8, 16, v13
	v_cmp_le_i32_e32 vcc, s18, v8
	s_and_saveexec_b64 s[8:9], vcc
	s_xor_b64 s[8:9], exec, s[8:9]
; %bb.19:
	v_mov_b32_e32 v16, 0
	v_mov_b32_e32 v17, v16
	;; [unrolled: 1-line block ×4, first 2 shown]
	ds_write_b128 v7, v[16:19] offset:8448
; %bb.20:
	s_andn2_saveexec_b64 s[8:9], s[8:9]
	s_cbranch_execz .LBB48_22
; %bb.21:
	s_lshl_b64 s[10:11], s[22:23], 8
	v_mov_b32_e32 v9, s11
	v_add_co_u32_e32 v8, vcc, s10, v4
	v_addc_co_u32_e32 v9, vcc, v5, v9, vcc
	flat_load_dwordx4 v[16:19], v[8:9]
	s_movk_i32 s10, 0x2100
	v_add3_u32 v8, v6, v14, s10
	s_waitcnt vmcnt(0) lgkmcnt(0)
	ds_write2_b64 v8, v[16:17], v[18:19] offset1:1
.LBB48_22:
	s_or_b64 exec, exec, s[8:9]
	v_add_u32_e32 v8, 24, v13
	v_cmp_le_i32_e32 vcc, s18, v8
	s_and_saveexec_b64 s[8:9], vcc
	s_xor_b64 s[8:9], exec, s[8:9]
; %bb.23:
	v_mov_b32_e32 v16, 0
	v_mov_b32_e32 v17, v16
	v_mov_b32_e32 v18, v16
	v_mov_b32_e32 v19, v16
	ds_write_b128 v7, v[16:19] offset:12672
                                        ; implicit-def: $vgpr6
; %bb.24:
	s_andn2_saveexec_b64 s[8:9], s[8:9]
	s_cbranch_execz .LBB48_26
; %bb.25:
	v_mov_b32_e32 v7, 0x180
	v_mad_u64_u32 v[7:8], s[10:11], s22, v7, v[4:5]
	s_mul_i32 s10, s23, 0x180
	v_add_u32_e32 v8, s10, v8
	flat_load_dwordx4 v[16:19], v[7:8]
	s_movk_i32 s10, 0x3180
	v_add3_u32 v6, v6, v14, s10
	s_waitcnt vmcnt(0) lgkmcnt(0)
	ds_write2_b64 v6, v[16:17], v[18:19] offset1:1
.LBB48_26:
	s_or_b64 exec, exec, s[8:9]
	v_add_co_u32_e32 v4, vcc, v4, v15
	v_addc_co_u32_e32 v5, vcc, 0, v5, vcc
	v_mov_b32_e32 v6, s5
	v_subrev_co_u32_e32 v4, vcc, s4, v4
	v_subb_co_u32_e32 v5, vcc, v5, v6, vcc
	v_add_co_u32_e32 v4, vcc, 16, v4
	v_addc_co_u32_e32 v5, vcc, 0, v5, vcc
	v_cndmask_b32_e64 v7, v5, v3, s[2:3]
	v_cndmask_b32_e64 v6, v4, v2, s[2:3]
	s_branch .LBB48_29
.LBB48_27:
                                        ; implicit-def: $vgpr6_vgpr7
	s_cbranch_execz .LBB48_29
; %bb.28:
	flat_load_dwordx4 v[4:7], v[2:3]
	v_mul_u32_u24_e32 v8, 0x210, v13
	s_lshl_b64 s[2:3], s[22:23], 7
	v_lshl_add_u32 v11, v10, 4, v8
	v_mov_b32_e32 v12, s3
	v_add_co_u32_e32 v8, vcc, s2, v2
	v_addc_co_u32_e32 v9, vcc, v3, v12, vcc
	v_add_u32_e32 v16, 0x1080, v11
	s_waitcnt vmcnt(0) lgkmcnt(0)
	ds_write2_b64 v11, v[4:5], v[6:7] offset1:1
	flat_load_dwordx4 v[4:7], v[8:9]
	v_add_co_u32_e32 v8, vcc, s2, v8
	v_addc_co_u32_e32 v9, vcc, v9, v12, vcc
	s_waitcnt vmcnt(0) lgkmcnt(0)
	ds_write2_b64 v16, v[4:5], v[6:7] offset1:1
	flat_load_dwordx4 v[4:7], v[8:9]
	v_add_u32_e32 v16, 0x2100, v11
	v_add_co_u32_e32 v8, vcc, s2, v8
	v_addc_co_u32_e32 v9, vcc, v9, v12, vcc
	s_waitcnt vmcnt(0) lgkmcnt(0)
	ds_write2_b64 v16, v[4:5], v[6:7] offset1:1
	flat_load_dwordx4 v[4:7], v[8:9]
	v_add_u32_e32 v8, 0x3180, v11
	s_waitcnt vmcnt(0) lgkmcnt(0)
	ds_write2_b64 v8, v[4:5], v[6:7] offset1:1
	v_mov_b32_e32 v7, v3
	v_mov_b32_e32 v6, v2
.LBB48_29:
	v_lshlrev_b32_e32 v18, 2, v13
	v_mul_u32_u24_e32 v16, 0x210, v10
	v_cmp_le_u32_e64 s[4:5], v18, v10
	s_mov_b64 s[2:3], 0
	s_waitcnt lgkmcnt(0)
	s_barrier
                                        ; implicit-def: $vgpr2
	s_and_saveexec_b64 s[8:9], s[4:5]
	s_xor_b64 s[8:9], exec, s[8:9]
	s_cbranch_execz .LBB48_33
; %bb.30:
	v_cmp_eq_u32_e32 vcc, v18, v10
                                        ; implicit-def: $vgpr2
	s_and_saveexec_b64 s[10:11], vcc
	s_xor_b64 s[10:11], exec, s[10:11]
; %bb.31:
	s_mov_b64 s[2:3], exec
	v_add_u32_e32 v2, v14, v16
; %bb.32:
	s_or_b64 exec, exec, s[10:11]
	s_and_b64 s[2:3], s[2:3], exec
.LBB48_33:
	s_or_saveexec_b64 s[8:9], s[8:9]
	v_lshl_or_b32 v3, v10, 9, v14
	v_mov_b32_e32 v4, 0
	v_mov_b32_e32 v5, 0
	v_lshl_add_u32 v8, v18, 4, v3
	s_xor_b64 exec, exec, s[8:9]
	s_cbranch_execz .LBB48_35
; %bb.34:
	s_movk_i32 s10, 0x840
	v_mad_u32_u24 v2, v13, s10, v14
	ds_read_b128 v[2:5], v2
	s_or_b64 s[2:3], s[2:3], exec
	s_waitcnt lgkmcnt(0)
	v_xor_b32_e32 v5, 0x80000000, v5
	ds_write_b64 v8, v[2:3]
	v_mov_b32_e32 v2, v8
.LBB48_35:
	s_or_b64 exec, exec, s[8:9]
	s_and_saveexec_b64 s[8:9], s[2:3]
; %bb.36:
	ds_write_b64 v2, v[4:5] offset:8
; %bb.37:
	s_or_b64 exec, exec, s[8:9]
	v_or_b32_e32 v19, 1, v18
	v_cmp_ge_u32_e64 s[14:15], v18, v10
	s_mov_b64 s[2:3], 0
                                        ; implicit-def: $vgpr4_vgpr5
                                        ; implicit-def: $vgpr9
	s_and_saveexec_b64 s[8:9], s[14:15]
	s_xor_b64 s[8:9], exec, s[8:9]
	s_cbranch_execz .LBB48_77
; %bb.38:
	s_movk_i32 s10, 0x210
	v_mad_u32_u24 v2, v19, s10, v14
	ds_read_b128 v[2:5], v2
	s_mov_b64 s[2:3], exec
	v_add_u32_e32 v9, 16, v8
	s_waitcnt lgkmcnt(0)
	v_xor_b32_e32 v5, 0x80000000, v5
	ds_write_b64 v8, v[2:3] offset:16
	s_andn2_saveexec_b64 s[8:9], s[8:9]
	s_cbranch_execnz .LBB48_78
.LBB48_39:
	s_or_b64 exec, exec, s[8:9]
	s_and_saveexec_b64 s[8:9], s[2:3]
.LBB48_40:
	ds_write_b64 v9, v[4:5] offset:8
.LBB48_41:
	s_or_b64 exec, exec, s[8:9]
	v_or_b32_e32 v20, 2, v18
	v_cmp_le_u32_e64 s[8:9], v20, v10
	s_mov_b64 s[2:3], 0
                                        ; implicit-def: $vgpr9
	s_and_saveexec_b64 s[10:11], s[8:9]
	s_xor_b64 s[10:11], exec, s[10:11]
	s_cbranch_execz .LBB48_45
; %bb.42:
	v_cmp_eq_u32_e32 vcc, v20, v10
                                        ; implicit-def: $vgpr9
	s_and_saveexec_b64 s[12:13], vcc
; %bb.43:
	s_mov_b64 s[2:3], exec
	v_add_u32_e32 v9, v14, v16
; %bb.44:
	s_or_b64 exec, exec, s[12:13]
	s_and_b64 s[2:3], s[2:3], exec
.LBB48_45:
	s_or_saveexec_b64 s[10:11], s[10:11]
	v_mov_b32_e32 v4, 0
	v_mov_b32_e32 v5, 0
	s_xor_b64 exec, exec, s[10:11]
	s_cbranch_execz .LBB48_47
; %bb.46:
	s_movk_i32 s12, 0x210
	v_mad_u32_u24 v2, v20, s12, v14
	ds_read_b128 v[2:5], v2
	v_add_u32_e32 v9, 32, v8
	s_or_b64 s[2:3], s[2:3], exec
	s_waitcnt lgkmcnt(0)
	v_xor_b32_e32 v5, 0x80000000, v5
	ds_write_b64 v8, v[2:3] offset:32
.LBB48_47:
	s_or_b64 exec, exec, s[10:11]
	s_and_saveexec_b64 s[10:11], s[2:3]
; %bb.48:
	ds_write_b64 v9, v[4:5] offset:8
; %bb.49:
	s_or_b64 exec, exec, s[10:11]
	v_or_b32_e32 v21, 3, v18
	v_cmp_le_u32_e64 s[10:11], v21, v10
	s_mov_b64 s[2:3], 0
                                        ; implicit-def: $vgpr9
	s_and_saveexec_b64 s[12:13], s[10:11]
	s_xor_b64 s[12:13], exec, s[12:13]
	s_cbranch_execz .LBB48_53
; %bb.50:
	v_cmp_eq_u32_e32 vcc, v21, v10
                                        ; implicit-def: $vgpr9
	s_and_saveexec_b64 s[34:35], vcc
; %bb.51:
	s_mov_b64 s[2:3], exec
	v_add_u32_e32 v9, v14, v16
; %bb.52:
	s_or_b64 exec, exec, s[34:35]
	s_and_b64 s[2:3], s[2:3], exec
                                        ; implicit-def: $vgpr8
.LBB48_53:
	s_or_saveexec_b64 s[12:13], s[12:13]
	v_mov_b32_e32 v4, 0
	v_mov_b32_e32 v5, 0
	s_xor_b64 exec, exec, s[12:13]
	s_cbranch_execz .LBB48_55
; %bb.54:
	s_movk_i32 s19, 0x210
	v_mad_u32_u24 v2, v21, s19, v14
	ds_read_b128 v[2:5], v2
	v_add_u32_e32 v9, 48, v8
	s_or_b64 s[2:3], s[2:3], exec
	s_waitcnt lgkmcnt(0)
	v_xor_b32_e32 v5, 0x80000000, v5
	ds_write_b64 v8, v[2:3] offset:48
.LBB48_55:
	s_or_b64 exec, exec, s[12:13]
	s_and_saveexec_b64 s[12:13], s[2:3]
; %bb.56:
	ds_write_b64 v9, v[4:5] offset:8
; %bb.57:
	s_or_b64 exec, exec, s[12:13]
	s_movk_i32 s2, 0x840
	v_lshlrev_b32_e32 v22, 4, v18
	s_waitcnt lgkmcnt(0)
	s_barrier
	v_mad_u32_u24 v8, v13, s2, v14
	ds_read_b128 v[2:5], v22 offset:18176
	ds_read_b128 v[23:26], v8
	ds_read_b128 v[27:30], v22 offset:18192
	s_movk_i32 s19, 0x210
	v_mad_u32_u24 v17, v19, s19, v14
	ds_read_b128 v[31:34], v17
	ds_read_b128 v[45:48], v22 offset:18208
	s_waitcnt lgkmcnt(3)
	v_mul_f64 v[8:9], v[4:5], v[25:26]
	v_mul_f64 v[11:12], v[2:3], v[25:26]
	v_cmp_gt_u32_e64 s[2:3], 32, v44
	s_waitcnt lgkmcnt(1)
	v_mul_f64 v[42:43], v[29:30], v[33:34]
	v_mul_f64 v[49:50], v[27:28], v[33:34]
	ds_read_b128 v[33:36], v17 offset:528
	v_fma_f64 v[8:9], v[2:3], v[23:24], -v[8:9]
	v_fma_f64 v[11:12], v[4:5], v[23:24], v[11:12]
	ds_read_b128 v[2:5], v22 offset:18224
	ds_read_b128 v[23:26], v17 offset:1056
	v_fma_f64 v[27:28], v[27:28], v[31:32], -v[42:43]
	s_waitcnt lgkmcnt(2)
	v_mul_f64 v[42:43], v[47:48], v[35:36]
	v_fma_f64 v[29:30], v[29:30], v[31:32], v[49:50]
	v_mul_f64 v[31:32], v[45:46], v[35:36]
	s_waitcnt lgkmcnt(0)
	v_mul_f64 v[35:36], v[4:5], v[25:26]
	v_add_f64 v[8:9], v[8:9], 0
	v_add_f64 v[11:12], v[11:12], 0
	v_mul_f64 v[25:26], v[2:3], v[25:26]
	v_fma_f64 v[42:43], v[45:46], v[33:34], -v[42:43]
	s_barrier
	v_add_f64 v[8:9], v[8:9], v[27:28]
	v_fma_f64 v[27:28], v[47:48], v[33:34], v[31:32]
	v_add_f64 v[11:12], v[11:12], v[29:30]
	v_fma_f64 v[29:30], v[2:3], v[23:24], -v[35:36]
	v_fma_f64 v[4:5], v[4:5], v[23:24], v[25:26]
	v_mov_b32_e32 v2, 0
	v_mov_b32_e32 v3, 0
	v_add_f64 v[8:9], v[8:9], v[42:43]
	v_add_f64 v[11:12], v[11:12], v[27:28]
	;; [unrolled: 1-line block ×3, first 2 shown]
	v_mul_u32_u24_e32 v8, 33, v10
	v_add_f64 v[25:26], v[11:12], v[4:5]
	v_mov_b32_e32 v4, 0
	v_lshlrev_b32_e32 v45, 4, v8
	v_mov_b32_e32 v5, 0
	v_lshl_add_u32 v46, v13, 4, v45
	ds_write_b128 v46, v[23:26]
	s_waitcnt lgkmcnt(0)
	s_barrier
	s_and_saveexec_b64 s[12:13], s[2:3]
	s_cbranch_execz .LBB48_59
; %bb.58:
	ds_read_b128 v[2:5], v45
	ds_read_b128 v[23:26], v45 offset:16
	s_waitcnt lgkmcnt(0)
	v_add_f64 v[8:9], v[23:24], v[2:3]
	v_add_f64 v[11:12], v[25:26], v[4:5]
	ds_read_b128 v[2:5], v45 offset:32
	ds_read_b128 v[23:26], v45 offset:48
	s_waitcnt lgkmcnt(1)
	v_add_f64 v[2:3], v[8:9], v[2:3]
	v_add_f64 v[4:5], v[11:12], v[4:5]
	s_waitcnt lgkmcnt(0)
	v_add_f64 v[8:9], v[2:3], v[23:24]
	v_add_f64 v[11:12], v[4:5], v[25:26]
	ds_read_b128 v[2:5], v45 offset:64
	ds_read_b128 v[23:26], v45 offset:80
	s_waitcnt lgkmcnt(1)
	v_add_f64 v[2:3], v[8:9], v[2:3]
	v_add_f64 v[4:5], v[11:12], v[4:5]
	;; [unrolled: 8-line block ×3, first 2 shown]
	s_waitcnt lgkmcnt(0)
	v_add_f64 v[2:3], v[2:3], v[23:24]
	v_add_f64 v[4:5], v[4:5], v[25:26]
.LBB48_59:
	s_or_b64 exec, exec, s[12:13]
	s_lshl_b64 s[12:13], s[22:23], 9
	v_mov_b32_e32 v8, s13
	v_add_co_u32_e32 v23, vcc, s12, v6
	v_addc_co_u32_e32 v24, vcc, v7, v8, vcc
	v_add_co_u32_e32 v6, vcc, 0x200, v23
	v_addc_co_u32_e32 v7, vcc, 0, v24, vcc
	v_mad_u32_u24 v17, v13, s19, v14
	s_and_b64 vcc, exec, s[30:31]
	s_barrier
	s_cbranch_vccz .LBB48_81
; %bb.60:
	v_sub_co_u32_e32 v9, vcc, v23, v15
	s_ashr_i32 s19, s18, 31
	v_subbrev_co_u32_e32 v11, vcc, 0, v24, vcc
	s_lshl_b64 s[34:35], s[18:19], 4
	v_mov_b32_e32 v12, s35
	v_add_co_u32_e32 v9, vcc, s34, v9
	v_addc_co_u32_e32 v11, vcc, v11, v12, vcc
	v_or_b32_e32 v8, 32, v10
	v_add_co_u32_e32 v12, vcc, -16, v9
	v_addc_co_u32_e32 v9, vcc, -1, v11, vcc
	v_cmp_gt_i32_e64 s[12:13], s18, v8
	s_sub_i32 s19, s18, 32
	v_cndmask_b32_e64 v9, v9, v7, s[12:13]
	v_cndmask_b32_e64 v8, v12, v6, s[12:13]
	v_cmp_le_i32_e32 vcc, s19, v13
	s_and_saveexec_b64 s[36:37], vcc
	s_xor_b64 s[36:37], exec, s[36:37]
; %bb.61:
	v_mov_b32_e32 v25, 0
	v_mov_b32_e32 v26, v25
	;; [unrolled: 1-line block ×4, first 2 shown]
	ds_write_b128 v17, v[25:28]
; %bb.62:
	s_andn2_saveexec_b64 s[36:37], s[36:37]
	s_cbranch_execz .LBB48_64
; %bb.63:
	flat_load_dwordx4 v[25:28], v[8:9]
	s_waitcnt vmcnt(0) lgkmcnt(0)
	ds_write2_b64 v17, v[25:26], v[27:28] offset1:1
.LBB48_64:
	s_or_b64 exec, exec, s[36:37]
	v_add_u32_e32 v11, 8, v13
	v_cmp_le_i32_e32 vcc, s19, v11
	s_and_saveexec_b64 s[36:37], vcc
	s_xor_b64 s[36:37], exec, s[36:37]
	s_cbranch_execz .LBB48_66
; %bb.65:
	s_movk_i32 s39, 0x210
	v_mov_b32_e32 v25, 0
	v_mad_u32_u24 v11, v11, s39, v14
	v_mov_b32_e32 v26, v25
	v_mov_b32_e32 v27, v25
	;; [unrolled: 1-line block ×3, first 2 shown]
	ds_write_b128 v11, v[25:28]
                                        ; implicit-def: $vgpr11
.LBB48_66:
	s_andn2_saveexec_b64 s[36:37], s[36:37]
	s_cbranch_execz .LBB48_68
; %bb.67:
	s_lshl_b64 s[40:41], s[22:23], 7
	v_mov_b32_e32 v12, s41
	v_add_co_u32_e32 v25, vcc, s40, v8
	v_addc_co_u32_e32 v26, vcc, v9, v12, vcc
	flat_load_dwordx4 v[25:28], v[25:26]
	s_movk_i32 s39, 0x210
	v_mad_u32_u24 v11, v11, s39, v14
	s_waitcnt vmcnt(0) lgkmcnt(0)
	ds_write2_b64 v11, v[25:26], v[27:28] offset1:1
.LBB48_68:
	s_or_b64 exec, exec, s[36:37]
	v_add_u32_e32 v11, 16, v13
	v_cmp_le_i32_e32 vcc, s19, v11
	s_and_saveexec_b64 s[36:37], vcc
	s_xor_b64 s[36:37], exec, s[36:37]
	s_cbranch_execz .LBB48_70
; %bb.69:
	s_movk_i32 s39, 0x210
	v_mov_b32_e32 v25, 0
	v_mad_u32_u24 v11, v11, s39, v14
	v_mov_b32_e32 v26, v25
	v_mov_b32_e32 v27, v25
	;; [unrolled: 1-line block ×3, first 2 shown]
	ds_write_b128 v11, v[25:28]
                                        ; implicit-def: $vgpr11
.LBB48_70:
	s_andn2_saveexec_b64 s[36:37], s[36:37]
	s_cbranch_execz .LBB48_72
; %bb.71:
	s_lshl_b64 s[40:41], s[22:23], 8
	v_mov_b32_e32 v12, s41
	v_add_co_u32_e32 v25, vcc, s40, v8
	v_addc_co_u32_e32 v26, vcc, v9, v12, vcc
	flat_load_dwordx4 v[25:28], v[25:26]
	s_movk_i32 s39, 0x210
	v_mad_u32_u24 v11, v11, s39, v14
	s_waitcnt vmcnt(0) lgkmcnt(0)
	ds_write2_b64 v11, v[25:26], v[27:28] offset1:1
.LBB48_72:
	s_or_b64 exec, exec, s[36:37]
	v_add_u32_e32 v11, 24, v13
	v_cmp_le_i32_e32 vcc, s19, v11
	s_and_saveexec_b64 s[36:37], vcc
	s_xor_b64 s[36:37], exec, s[36:37]
	s_cbranch_execz .LBB48_74
; %bb.73:
	s_movk_i32 s19, 0x210
	v_mov_b32_e32 v25, 0
	v_mad_u32_u24 v11, v11, s19, v14
	v_mov_b32_e32 v26, v25
	v_mov_b32_e32 v27, v25
	;; [unrolled: 1-line block ×3, first 2 shown]
	ds_write_b128 v11, v[25:28]
                                        ; implicit-def: $vgpr11
.LBB48_74:
	s_andn2_saveexec_b64 s[36:37], s[36:37]
	s_cbranch_execz .LBB48_76
; %bb.75:
	v_mov_b32_e32 v12, 0x180
	v_mad_u64_u32 v[25:26], s[40:41], s22, v12, v[8:9]
	s_mul_i32 s19, s23, 0x180
	v_add_u32_e32 v26, s19, v26
	flat_load_dwordx4 v[25:28], v[25:26]
	s_movk_i32 s19, 0x210
	v_mad_u32_u24 v11, v11, s19, v14
	s_waitcnt vmcnt(0) lgkmcnt(0)
	ds_write2_b64 v11, v[25:26], v[27:28] offset1:1
.LBB48_76:
	s_or_b64 exec, exec, s[36:37]
	v_add_co_u32_e32 v8, vcc, v8, v15
	v_addc_co_u32_e32 v9, vcc, 0, v9, vcc
	v_mov_b32_e32 v11, s35
	v_subrev_co_u32_e32 v8, vcc, s34, v8
	v_subb_co_u32_e32 v9, vcc, v9, v11, vcc
	v_add_co_u32_e32 v8, vcc, 0x210, v8
	v_addc_co_u32_e32 v9, vcc, 0, v9, vcc
	v_cndmask_b32_e64 v12, v9, v7, s[12:13]
	v_cndmask_b32_e64 v11, v8, v6, s[12:13]
	s_branch .LBB48_83
.LBB48_77:
	s_andn2_saveexec_b64 s[8:9], s[8:9]
	s_cbranch_execz .LBB48_39
.LBB48_78:
	v_cmp_eq_u32_e32 vcc, v19, v10
	s_mov_b64 s[10:11], s[2:3]
                                        ; implicit-def: $vgpr9
	s_and_saveexec_b64 s[12:13], vcc
; %bb.79:
	v_add_u32_e32 v9, v14, v16
	s_or_b64 s[10:11], s[2:3], exec
; %bb.80:
	s_or_b64 exec, exec, s[12:13]
	v_mov_b32_e32 v4, 0
	s_andn2_b64 s[2:3], s[2:3], exec
	s_and_b64 s[10:11], s[10:11], exec
	v_mov_b32_e32 v5, 0
	s_or_b64 s[2:3], s[2:3], s[10:11]
	s_or_b64 exec, exec, s[8:9]
	s_and_saveexec_b64 s[8:9], s[2:3]
	s_cbranch_execnz .LBB48_40
	s_branch .LBB48_41
.LBB48_81:
                                        ; implicit-def: $vgpr11_vgpr12
	s_cbranch_execz .LBB48_83
; %bb.82:
	flat_load_dwordx4 v[25:28], v[6:7]
	s_lshl_b64 s[12:13], s[22:23], 7
	v_mov_b32_e32 v11, s13
	v_add_co_u32_e32 v8, vcc, s12, v23
	v_addc_co_u32_e32 v9, vcc, v24, v11, vcc
	v_add_u32_e32 v12, 0x1080, v17
	s_waitcnt vmcnt(0) lgkmcnt(0)
	ds_write2_b64 v17, v[25:26], v[27:28] offset1:1
	flat_load_dwordx4 v[23:26], v[8:9] offset:512
	v_add_co_u32_e32 v8, vcc, s12, v8
	v_addc_co_u32_e32 v9, vcc, v9, v11, vcc
	s_waitcnt vmcnt(0) lgkmcnt(0)
	ds_write2_b64 v12, v[23:24], v[25:26] offset1:1
	flat_load_dwordx4 v[23:26], v[8:9] offset:512
	v_add_u32_e32 v12, 0x2100, v17
	v_add_co_u32_e32 v8, vcc, s12, v8
	v_addc_co_u32_e32 v9, vcc, v9, v11, vcc
	s_waitcnt vmcnt(0) lgkmcnt(0)
	ds_write2_b64 v12, v[23:24], v[25:26] offset1:1
	flat_load_dwordx4 v[23:26], v[8:9] offset:512
	v_mov_b32_e32 v12, v7
	v_add_u32_e32 v8, 0x3180, v17
	v_mov_b32_e32 v11, v6
	s_waitcnt vmcnt(0) lgkmcnt(0)
	ds_write2_b64 v8, v[23:24], v[25:26] offset1:1
.LBB48_83:
	v_mul_u32_u24_e32 v7, 0x840, v13
	s_mov_b64 s[12:13], 0
	s_waitcnt lgkmcnt(0)
	s_barrier
                                        ; implicit-def: $vgpr6
	s_and_saveexec_b64 s[34:35], s[4:5]
	s_xor_b64 s[4:5], exec, s[34:35]
	s_cbranch_execz .LBB48_87
; %bb.84:
	v_cmp_eq_u32_e32 vcc, v18, v10
                                        ; implicit-def: $vgpr6
	s_and_saveexec_b64 s[34:35], vcc
	s_xor_b64 s[34:35], exec, s[34:35]
; %bb.85:
	s_mov_b64 s[12:13], exec
	v_add_u32_e32 v6, v14, v16
; %bb.86:
	s_or_b64 exec, exec, s[34:35]
	s_and_b64 s[12:13], s[12:13], exec
.LBB48_87:
	s_or_saveexec_b64 s[4:5], s[4:5]
	v_mov_b32_e32 v8, 0
	v_mov_b32_e32 v9, 0
	v_add_u32_e32 v34, v14, v7
	v_lshl_add_u32 v18, v18, 4, v45
	s_xor_b64 exec, exec, s[4:5]
	s_cbranch_execz .LBB48_89
; %bb.88:
	ds_read_b128 v[6:9], v34
	s_or_b64 s[12:13], s[12:13], exec
	s_waitcnt lgkmcnt(0)
	v_xor_b32_e32 v9, 0x80000000, v9
	ds_write_b64 v18, v[6:7]
	v_mov_b32_e32 v6, v18
.LBB48_89:
	s_or_b64 exec, exec, s[4:5]
	v_mul_u32_u24_e32 v7, 0x210, v19
	s_and_saveexec_b64 s[4:5], s[12:13]
; %bb.90:
	ds_write_b64 v6, v[8:9] offset:8
; %bb.91:
	s_or_b64 exec, exec, s[4:5]
	s_mov_b64 s[4:5], 0
	v_add_u32_e32 v47, v14, v7
                                        ; implicit-def: $vgpr8_vgpr9
                                        ; implicit-def: $vgpr23
	s_and_saveexec_b64 s[12:13], s[14:15]
	s_xor_b64 s[12:13], exec, s[12:13]
	s_cbranch_execz .LBB48_131
; %bb.92:
	ds_read_b128 v[6:9], v47
	s_mov_b64 s[4:5], exec
	v_add_u32_e32 v23, 16, v18
                                        ; implicit-def: $vgpr19
	s_waitcnt lgkmcnt(0)
	v_xor_b32_e32 v9, 0x80000000, v9
	ds_write_b64 v18, v[6:7] offset:16
	s_andn2_saveexec_b64 s[12:13], s[12:13]
	s_cbranch_execnz .LBB48_132
.LBB48_93:
	s_or_b64 exec, exec, s[12:13]
	s_and_saveexec_b64 s[12:13], s[4:5]
.LBB48_94:
	ds_write_b64 v23, v[8:9] offset:8
.LBB48_95:
	s_or_b64 exec, exec, s[12:13]
	s_mov_b64 s[4:5], 0
                                        ; implicit-def: $vgpr19
	s_and_saveexec_b64 s[12:13], s[8:9]
	s_xor_b64 s[8:9], exec, s[12:13]
	s_cbranch_execz .LBB48_99
; %bb.96:
	v_cmp_eq_u32_e32 vcc, v20, v10
                                        ; implicit-def: $vgpr19
	s_and_saveexec_b64 s[12:13], vcc
; %bb.97:
	s_mov_b64 s[4:5], exec
	v_add_u32_e32 v19, v14, v16
; %bb.98:
	s_or_b64 exec, exec, s[12:13]
	s_and_b64 s[4:5], s[4:5], exec
.LBB48_99:
	s_or_saveexec_b64 s[8:9], s[8:9]
	v_mov_b32_e32 v8, 0
	v_mov_b32_e32 v9, 0
	s_xor_b64 exec, exec, s[8:9]
	s_cbranch_execz .LBB48_101
; %bb.100:
	ds_read_b128 v[6:9], v47 offset:528
	v_add_u32_e32 v19, 32, v18
	s_or_b64 s[4:5], s[4:5], exec
	s_waitcnt lgkmcnt(0)
	v_xor_b32_e32 v9, 0x80000000, v9
	ds_write_b64 v18, v[6:7] offset:32
.LBB48_101:
	s_or_b64 exec, exec, s[8:9]
	s_and_saveexec_b64 s[8:9], s[4:5]
; %bb.102:
	ds_write_b64 v19, v[8:9] offset:8
; %bb.103:
	s_or_b64 exec, exec, s[8:9]
	s_mov_b64 s[4:5], 0
                                        ; implicit-def: $vgpr19
	s_and_saveexec_b64 s[8:9], s[10:11]
	s_xor_b64 s[8:9], exec, s[8:9]
	s_cbranch_execz .LBB48_107
; %bb.104:
	v_cmp_eq_u32_e32 vcc, v21, v10
                                        ; implicit-def: $vgpr19
	s_and_saveexec_b64 s[10:11], vcc
; %bb.105:
	s_mov_b64 s[4:5], exec
	v_add_u32_e32 v19, v14, v16
; %bb.106:
	s_or_b64 exec, exec, s[10:11]
	s_and_b64 s[4:5], s[4:5], exec
                                        ; implicit-def: $vgpr18
.LBB48_107:
	s_or_saveexec_b64 s[8:9], s[8:9]
	v_mov_b32_e32 v8, 0
	v_mov_b32_e32 v9, 0
	s_xor_b64 exec, exec, s[8:9]
	s_cbranch_execz .LBB48_109
; %bb.108:
	ds_read_b128 v[6:9], v47 offset:1056
	v_add_u32_e32 v19, 48, v18
	s_or_b64 s[4:5], s[4:5], exec
	s_waitcnt lgkmcnt(0)
	v_xor_b32_e32 v9, 0x80000000, v9
	ds_write_b64 v18, v[6:7] offset:48
.LBB48_109:
	s_or_b64 exec, exec, s[8:9]
	v_add_u32_e32 v16, 0x4700, v22
	s_and_saveexec_b64 s[8:9], s[4:5]
; %bb.110:
	ds_write_b64 v19, v[8:9] offset:8
; %bb.111:
	s_or_b64 exec, exec, s[8:9]
	s_waitcnt lgkmcnt(0)
	s_barrier
	ds_read_b128 v[6:9], v34
	ds_read_b128 v[18:21], v16 offset:512
	ds_read_b128 v[22:25], v16 offset:528
	;; [unrolled: 1-line block ×3, first 2 shown]
	ds_read_b128 v[30:33], v47
	ds_read_b128 v[48:51], v16 offset:544
	ds_read_b128 v[52:55], v47 offset:528
	v_cmp_eq_u32_e64 s[4:5], 1, v13
	s_waitcnt lgkmcnt(5)
	v_mul_f64 v[35:36], v[20:21], v[8:9]
	v_mul_f64 v[8:9], v[18:19], v[8:9]
	s_waitcnt lgkmcnt(2)
	v_mul_f64 v[42:43], v[24:25], v[32:33]
	v_mul_f64 v[32:33], v[22:23], v[32:33]
	v_fma_f64 v[18:19], v[18:19], v[6:7], -v[35:36]
	v_fma_f64 v[20:21], v[20:21], v[6:7], v[8:9]
	s_waitcnt lgkmcnt(0)
	v_mul_f64 v[35:36], v[50:51], v[54:55]
	v_mul_f64 v[54:55], v[48:49], v[54:55]
	v_fma_f64 v[22:23], v[22:23], v[30:31], -v[42:43]
	v_fma_f64 v[24:25], v[24:25], v[30:31], v[32:33]
	ds_read_b128 v[6:9], v16 offset:560
	s_waitcnt lgkmcnt(0)
	v_add_f64 v[18:19], v[18:19], 0
	v_add_f64 v[20:21], v[20:21], 0
	v_fma_f64 v[32:33], v[48:49], v[52:53], -v[35:36]
	v_mul_f64 v[30:31], v[8:9], v[28:29]
	v_mul_f64 v[28:29], v[6:7], v[28:29]
	v_fma_f64 v[35:36], v[50:51], v[52:53], v[54:55]
	s_barrier
	v_add_f64 v[18:19], v[18:19], v[22:23]
	v_add_f64 v[20:21], v[20:21], v[24:25]
	v_fma_f64 v[6:7], v[6:7], v[26:27], -v[30:31]
	v_fma_f64 v[8:9], v[8:9], v[26:27], v[28:29]
	v_add_f64 v[18:19], v[18:19], v[32:33]
	v_add_f64 v[20:21], v[20:21], v[35:36]
	;; [unrolled: 1-line block ×4, first 2 shown]
	ds_write_b128 v46, v[6:9]
	s_waitcnt lgkmcnt(0)
	s_barrier
	s_and_saveexec_b64 s[8:9], s[4:5]
	s_cbranch_execz .LBB48_113
; %bb.112:
	ds_read_b128 v[2:5], v45
	ds_read_b128 v[6:9], v45 offset:16
	s_waitcnt lgkmcnt(0)
	v_add_f64 v[18:19], v[6:7], v[2:3]
	v_add_f64 v[20:21], v[8:9], v[4:5]
	ds_read_b128 v[2:5], v45 offset:32
	ds_read_b128 v[6:9], v45 offset:48
	s_waitcnt lgkmcnt(1)
	v_add_f64 v[2:3], v[18:19], v[2:3]
	v_add_f64 v[4:5], v[20:21], v[4:5]
	s_waitcnt lgkmcnt(0)
	v_add_f64 v[18:19], v[2:3], v[6:7]
	v_add_f64 v[20:21], v[4:5], v[8:9]
	ds_read_b128 v[2:5], v45 offset:64
	ds_read_b128 v[6:9], v45 offset:80
	s_waitcnt lgkmcnt(1)
	v_add_f64 v[2:3], v[18:19], v[2:3]
	v_add_f64 v[4:5], v[20:21], v[4:5]
	;; [unrolled: 8-line block ×3, first 2 shown]
	s_waitcnt lgkmcnt(0)
	v_add_f64 v[2:3], v[2:3], v[6:7]
	v_add_f64 v[4:5], v[4:5], v[8:9]
.LBB48_113:
	s_or_b64 exec, exec, s[8:9]
	v_add_co_u32_e32 v6, vcc, 0xfffffe00, v11
	v_addc_co_u32_e32 v7, vcc, -1, v12, vcc
	s_and_b64 vcc, exec, s[30:31]
	s_barrier
	s_cbranch_vccz .LBB48_135
; %bb.114:
	v_sub_co_u32_e32 v8, vcc, v6, v15
	s_ashr_i32 s19, s18, 31
	v_subbrev_co_u32_e32 v9, vcc, 0, v7, vcc
	s_lshl_b64 s[10:11], s[18:19], 4
	v_mov_b32_e32 v11, s11
	v_add_co_u32_e32 v8, vcc, s10, v8
	v_addc_co_u32_e32 v9, vcc, v9, v11, vcc
	v_add_co_u32_e32 v8, vcc, -16, v8
	v_addc_co_u32_e32 v9, vcc, -1, v9, vcc
	v_cmp_gt_i32_e32 vcc, s18, v10
	s_sub_i32 s14, s18, 32
	v_cndmask_b32_e32 v9, v9, v7, vcc
	v_cndmask_b32_e32 v8, v8, v6, vcc
	v_cmp_le_i32_e64 s[8:9], s14, v13
	s_and_saveexec_b64 s[12:13], s[8:9]
	s_xor_b64 s[8:9], exec, s[12:13]
; %bb.115:
	v_mov_b32_e32 v18, 0
	v_mov_b32_e32 v19, v18
	;; [unrolled: 1-line block ×4, first 2 shown]
	ds_write_b128 v17, v[18:21]
; %bb.116:
	s_andn2_saveexec_b64 s[8:9], s[8:9]
	s_cbranch_execz .LBB48_118
; %bb.117:
	flat_load_dwordx4 v[18:21], v[8:9]
	s_waitcnt vmcnt(0) lgkmcnt(0)
	ds_write2_b64 v17, v[18:19], v[20:21] offset1:1
.LBB48_118:
	s_or_b64 exec, exec, s[8:9]
	v_add_u32_e32 v10, 8, v13
	v_cmp_le_i32_e64 s[8:9], s14, v10
	s_and_saveexec_b64 s[12:13], s[8:9]
	s_xor_b64 s[8:9], exec, s[12:13]
	s_cbranch_execz .LBB48_120
; %bb.119:
	s_movk_i32 s12, 0x210
	v_mov_b32_e32 v18, 0
	v_mad_u32_u24 v11, v10, s12, v14
	v_mov_b32_e32 v19, v18
	v_mov_b32_e32 v20, v18
	;; [unrolled: 1-line block ×3, first 2 shown]
	ds_write_b128 v11, v[18:21]
.LBB48_120:
	s_andn2_saveexec_b64 s[12:13], s[8:9]
	s_cbranch_execz .LBB48_122
; %bb.121:
	s_lshl_b64 s[8:9], s[22:23], 7
	v_mov_b32_e32 v12, s9
	v_add_co_u32_e64 v11, s[8:9], s8, v8
	v_addc_co_u32_e64 v12, s[8:9], v9, v12, s[8:9]
	flat_load_dwordx4 v[18:21], v[11:12]
	s_movk_i32 s8, 0x210
	v_mad_u32_u24 v11, v10, s8, v14
	s_waitcnt vmcnt(0) lgkmcnt(0)
	ds_write2_b64 v11, v[18:19], v[20:21] offset1:1
.LBB48_122:
	s_or_b64 exec, exec, s[12:13]
	v_add_u32_e32 v12, 16, v13
	v_cmp_le_i32_e64 s[8:9], s14, v12
	s_and_saveexec_b64 s[12:13], s[8:9]
	s_xor_b64 s[8:9], exec, s[12:13]
	s_cbranch_execz .LBB48_124
; %bb.123:
	s_movk_i32 s12, 0x210
	v_mov_b32_e32 v18, 0
	v_mad_u32_u24 v11, v12, s12, v14
	v_mov_b32_e32 v19, v18
	v_mov_b32_e32 v20, v18
	;; [unrolled: 1-line block ×3, first 2 shown]
	ds_write_b128 v11, v[18:21]
.LBB48_124:
	s_andn2_saveexec_b64 s[12:13], s[8:9]
	s_cbranch_execz .LBB48_126
; %bb.125:
	s_lshl_b64 s[8:9], s[22:23], 8
	v_mov_b32_e32 v11, s9
	v_add_co_u32_e64 v18, s[8:9], s8, v8
	v_addc_co_u32_e64 v19, s[8:9], v9, v11, s[8:9]
	flat_load_dwordx4 v[18:21], v[18:19]
	s_movk_i32 s8, 0x210
	v_mad_u32_u24 v11, v12, s8, v14
	s_waitcnt vmcnt(0) lgkmcnt(0)
	ds_write2_b64 v11, v[18:19], v[20:21] offset1:1
.LBB48_126:
	s_or_b64 exec, exec, s[12:13]
	v_add_u32_e32 v11, 24, v13
	v_cmp_le_i32_e64 s[8:9], s14, v11
	s_and_saveexec_b64 s[12:13], s[8:9]
	s_xor_b64 s[8:9], exec, s[12:13]
	s_cbranch_execz .LBB48_128
; %bb.127:
	s_movk_i32 s12, 0x210
	v_mov_b32_e32 v18, 0
	v_mad_u32_u24 v22, v11, s12, v14
	v_mov_b32_e32 v19, v18
	v_mov_b32_e32 v20, v18
	;; [unrolled: 1-line block ×3, first 2 shown]
	ds_write_b128 v22, v[18:21]
.LBB48_128:
	s_andn2_saveexec_b64 s[8:9], s[8:9]
	s_cbranch_execz .LBB48_130
; %bb.129:
	v_mov_b32_e32 v18, 0x180
	v_mad_u64_u32 v[18:19], s[12:13], s22, v18, v[8:9]
	s_mul_i32 s12, s23, 0x180
	v_add_u32_e32 v19, s12, v19
	flat_load_dwordx4 v[18:21], v[18:19]
	s_movk_i32 s12, 0x210
	v_mad_u32_u24 v22, v11, s12, v14
	s_waitcnt vmcnt(0) lgkmcnt(0)
	ds_write2_b64 v22, v[18:19], v[20:21] offset1:1
.LBB48_130:
	s_or_b64 exec, exec, s[8:9]
	v_add_co_u32_e64 v8, s[8:9], v8, v15
	v_addc_co_u32_e64 v9, s[8:9], 0, v9, s[8:9]
	v_mov_b32_e32 v15, s11
	v_subrev_co_u32_e64 v8, s[8:9], s10, v8
	v_subb_co_u32_e64 v9, s[8:9], v9, v15, s[8:9]
	v_add_co_u32_e64 v8, s[8:9], 16, v8
	v_addc_co_u32_e64 v9, s[8:9], 0, v9, s[8:9]
	v_cndmask_b32_e32 v43, v9, v7, vcc
	v_cndmask_b32_e32 v42, v8, v6, vcc
	s_branch .LBB48_137
.LBB48_131:
	s_andn2_saveexec_b64 s[12:13], s[12:13]
	s_cbranch_execz .LBB48_93
.LBB48_132:
	v_cmp_eq_u32_e32 vcc, v19, v10
	s_mov_b64 s[14:15], s[4:5]
                                        ; implicit-def: $vgpr23
	s_and_saveexec_b64 s[34:35], vcc
; %bb.133:
	v_add_u32_e32 v23, v14, v16
	s_or_b64 s[14:15], s[4:5], exec
; %bb.134:
	s_or_b64 exec, exec, s[34:35]
	v_mov_b32_e32 v8, 0
	s_andn2_b64 s[4:5], s[4:5], exec
	s_and_b64 s[14:15], s[14:15], exec
	v_mov_b32_e32 v9, 0
	s_or_b64 s[4:5], s[4:5], s[14:15]
	s_or_b64 exec, exec, s[12:13]
	s_and_saveexec_b64 s[12:13], s[4:5]
	s_cbranch_execnz .LBB48_94
	s_branch .LBB48_95
.LBB48_135:
                                        ; implicit-def: $vgpr42_vgpr43
                                        ; implicit-def: $vgpr10
                                        ; implicit-def: $vgpr12
                                        ; implicit-def: $vgpr11
	s_cbranch_execz .LBB48_137
; %bb.136:
	flat_load_dwordx4 v[8:11], v[6:7]
	s_lshl_b64 s[8:9], s[22:23], 7
	v_mov_b32_e32 v12, s9
	v_add_co_u32_e32 v21, vcc, s8, v6
	v_addc_co_u32_e32 v22, vcc, v7, v12, vcc
	s_movk_i32 s9, 0x210
	v_mov_b32_e32 v43, v7
	v_mov_b32_e32 v42, v6
	s_waitcnt vmcnt(0) lgkmcnt(0)
	ds_write2_b64 v17, v[8:9], v[10:11] offset1:1
	flat_load_dwordx4 v[17:20], v[21:22]
	v_add_u32_e32 v10, 8, v13
	v_mad_u32_u24 v14, v10, s9, v14
	v_add_co_u32_e32 v8, vcc, s8, v21
	v_addc_co_u32_e32 v9, vcc, v22, v12, vcc
	v_add_u32_e32 v11, 0x1080, v14
	s_waitcnt vmcnt(0) lgkmcnt(0)
	ds_write2_b64 v14, v[17:18], v[19:20] offset1:1
	flat_load_dwordx4 v[17:20], v[8:9]
	v_add_co_u32_e32 v8, vcc, s8, v8
	v_addc_co_u32_e32 v9, vcc, v9, v12, vcc
	v_add_u32_e32 v12, 16, v13
	s_waitcnt vmcnt(0) lgkmcnt(0)
	ds_write2_b64 v11, v[17:18], v[19:20] offset1:1
	flat_load_dwordx4 v[17:20], v[8:9]
	v_add_u32_e32 v11, 24, v13
	v_add_u32_e32 v8, 0x2100, v14
	s_waitcnt vmcnt(0) lgkmcnt(0)
	ds_write2_b64 v8, v[17:18], v[19:20] offset1:1
.LBB48_137:
	v_lshlrev_b32_e32 v13, 4, v13
	v_add_u32_e32 v6, v45, v13
	v_lshlrev_b32_e32 v10, 4, v10
	s_waitcnt lgkmcnt(0)
	s_barrier
	ds_read_b128 v[6:9], v6
	ds_read_b128 v[17:20], v13 offset:18176
	v_add_u32_e32 v13, v45, v10
	ds_read_b128 v[21:24], v13
	ds_read_b128 v[25:28], v10 offset:18176
	v_lshlrev_b32_e32 v10, 4, v12
	v_add_u32_e32 v12, v45, v10
	s_waitcnt lgkmcnt(2)
	v_mul_f64 v[35:36], v[8:9], v[19:20]
	v_mul_f64 v[8:9], v[8:9], v[17:18]
	s_waitcnt lgkmcnt(0)
	v_mul_f64 v[48:49], v[23:24], v[27:28]
	v_mul_f64 v[23:24], v[23:24], v[25:26]
	ds_read_b128 v[12:15], v12
	ds_read_b128 v[29:32], v10 offset:18176
	v_lshlrev_b32_e32 v10, 4, v11
	v_fma_f64 v[17:18], v[6:7], v[17:18], v[35:36]
	s_waitcnt lgkmcnt(0)
	v_mul_f64 v[35:36], v[14:15], v[31:32]
	v_fma_f64 v[25:26], v[21:22], v[25:26], v[48:49]
	v_fma_f64 v[48:49], v[6:7], v[19:20], -v[8:9]
	v_add_u32_e32 v6, v45, v10
	v_mul_f64 v[14:15], v[14:15], v[29:30]
	v_add_f64 v[50:51], v[17:18], 0
	ds_read_b128 v[6:9], v6
	ds_read_b128 v[17:20], v10 offset:18176
	v_fma_f64 v[10:11], v[21:22], v[27:28], -v[23:24]
	v_add_f64 v[21:22], v[48:49], 0
	s_waitcnt lgkmcnt(0)
	v_mul_f64 v[27:28], v[8:9], v[19:20]
	v_mul_f64 v[8:9], v[8:9], v[17:18]
	v_add_f64 v[23:24], v[50:51], v[25:26]
	v_fma_f64 v[25:26], v[12:13], v[29:30], v[35:36]
	v_fma_f64 v[12:13], v[12:13], v[31:32], -v[14:15]
	v_add_f64 v[10:11], v[21:22], v[10:11]
	v_fma_f64 v[14:15], v[6:7], v[17:18], v[27:28]
	v_fma_f64 v[17:18], v[6:7], v[19:20], -v[8:9]
	v_add_f64 v[19:20], v[23:24], v[25:26]
	v_add_f64 v[26:27], v[10:11], v[12:13]
	ds_read_b128 v[30:33], v16 offset:512
	ds_read_b128 v[22:25], v16 offset:528
	;; [unrolled: 1-line block ×4, first 2 shown]
	v_add_f64 v[48:49], v[19:20], v[14:15]
	v_add_f64 v[50:51], v[26:27], v[17:18]
	ds_read_b128 v[26:29], v47
	ds_read_b128 v[18:21], v47 offset:528
	ds_read_b128 v[34:37], v34
	ds_read_b128 v[14:17], v47 offset:1056
	s_waitcnt lgkmcnt(0)
	s_barrier
	ds_write_b128 v46, v[48:51]
	s_waitcnt lgkmcnt(0)
	s_barrier
	s_and_saveexec_b64 s[8:9], s[4:5]
	s_cbranch_execz .LBB48_139
; %bb.138:
	ds_read_b128 v[47:50], v45
	ds_read_b128 v[51:54], v45 offset:16
	s_waitcnt lgkmcnt(1)
	v_add_f64 v[2:3], v[2:3], v[47:48]
	v_add_f64 v[4:5], v[4:5], v[49:50]
	s_waitcnt lgkmcnt(0)
	v_add_f64 v[51:52], v[2:3], v[51:52]
	v_add_f64 v[53:54], v[4:5], v[53:54]
	ds_read_b128 v[2:5], v45 offset:32
	ds_read_b128 v[47:50], v45 offset:48
	s_waitcnt lgkmcnt(1)
	v_add_f64 v[2:3], v[51:52], v[2:3]
	v_add_f64 v[4:5], v[53:54], v[4:5]
	s_waitcnt lgkmcnt(0)
	v_add_f64 v[51:52], v[2:3], v[47:48]
	v_add_f64 v[53:54], v[4:5], v[49:50]
	ds_read_b128 v[2:5], v45 offset:64
	ds_read_b128 v[47:50], v45 offset:80
	s_waitcnt lgkmcnt(1)
	v_add_f64 v[2:3], v[51:52], v[2:3]
	v_add_f64 v[4:5], v[53:54], v[4:5]
	s_waitcnt lgkmcnt(0)
	v_add_f64 v[51:52], v[2:3], v[47:48]
	v_add_f64 v[53:54], v[4:5], v[49:50]
	ds_read_b128 v[2:5], v45 offset:96
	ds_read_b128 v[47:50], v45 offset:112
	s_waitcnt lgkmcnt(1)
	v_add_f64 v[2:3], v[51:52], v[2:3]
	v_add_f64 v[4:5], v[53:54], v[4:5]
	s_waitcnt lgkmcnt(0)
	v_add_f64 v[2:3], v[2:3], v[47:48]
	v_add_f64 v[4:5], v[4:5], v[49:50]
.LBB48_139:
	s_or_b64 exec, exec, s[8:9]
	v_mul_f64 v[47:48], v[32:33], v[36:37]
	v_mul_f64 v[36:37], v[30:31], v[36:37]
	;; [unrolled: 1-line block ×4, first 2 shown]
	s_barrier
	v_fma_f64 v[30:31], v[30:31], v[34:35], -v[47:48]
	v_fma_f64 v[32:33], v[32:33], v[34:35], v[36:37]
	v_mul_f64 v[34:35], v[12:13], v[20:21]
	v_mul_f64 v[20:21], v[10:11], v[20:21]
	v_fma_f64 v[22:23], v[22:23], v[26:27], -v[49:50]
	v_fma_f64 v[24:25], v[24:25], v[26:27], v[28:29]
	v_add_f64 v[26:27], v[30:31], 0
	v_add_f64 v[28:29], v[32:33], 0
	v_mul_f64 v[30:31], v[8:9], v[16:17]
	v_mul_f64 v[16:17], v[6:7], v[16:17]
	v_fma_f64 v[10:11], v[10:11], v[18:19], -v[34:35]
	v_fma_f64 v[12:13], v[12:13], v[18:19], v[20:21]
	v_add_f64 v[18:19], v[26:27], v[22:23]
	v_add_f64 v[20:21], v[28:29], v[24:25]
	v_fma_f64 v[6:7], v[6:7], v[14:15], -v[30:31]
	v_fma_f64 v[8:9], v[8:9], v[14:15], v[16:17]
	v_add_f64 v[10:11], v[18:19], v[10:11]
	v_add_f64 v[12:13], v[20:21], v[12:13]
	;; [unrolled: 1-line block ×4, first 2 shown]
	ds_write_b128 v46, v[6:9]
	s_waitcnt lgkmcnt(0)
	s_barrier
	s_and_saveexec_b64 s[4:5], s[2:3]
	s_cbranch_execz .LBB48_141
; %bb.140:
	ds_read_b128 v[6:9], v45
	ds_read_b128 v[10:13], v45 offset:16
	s_waitcnt lgkmcnt(1)
	v_add_f64 v[2:3], v[2:3], v[6:7]
	v_add_f64 v[4:5], v[4:5], v[8:9]
	s_waitcnt lgkmcnt(0)
	v_add_f64 v[10:11], v[2:3], v[10:11]
	v_add_f64 v[12:13], v[4:5], v[12:13]
	ds_read_b128 v[2:5], v45 offset:32
	ds_read_b128 v[6:9], v45 offset:48
	s_waitcnt lgkmcnt(1)
	v_add_f64 v[2:3], v[10:11], v[2:3]
	v_add_f64 v[4:5], v[12:13], v[4:5]
	s_waitcnt lgkmcnt(0)
	v_add_f64 v[10:11], v[2:3], v[6:7]
	v_add_f64 v[12:13], v[4:5], v[8:9]
	ds_read_b128 v[2:5], v45 offset:64
	;; [unrolled: 8-line block ×3, first 2 shown]
	ds_read_b128 v[6:9], v45 offset:112
	s_waitcnt lgkmcnt(1)
	v_add_f64 v[2:3], v[10:11], v[2:3]
	v_add_f64 v[4:5], v[12:13], v[4:5]
	s_waitcnt lgkmcnt(0)
	v_add_f64 v[2:3], v[2:3], v[6:7]
	v_add_f64 v[4:5], v[4:5], v[8:9]
.LBB48_141:
	s_or_b64 exec, exec, s[4:5]
	s_mul_hi_u32 s2, s33, s24
	s_mul_i32 s38, s38, s24
	s_add_i32 s2, s2, s38
	s_mul_i32 s4, s33, s24
	s_mul_i32 s2, s2, s7
	s_mul_hi_u32 s3, s4, s7
	s_add_i32 s3, s3, s2
	s_mul_i32 s2, s4, s7
	s_lshl_b64 s[2:3], s[2:3], 4
	s_add_u32 s4, s26, s2
	s_addc_u32 s5, s27, s3
	s_mul_hi_i32 s3, s33, s6
	s_mul_i32 s2, s33, s6
	s_lshl_b64 s[2:3], s[2:3], 4
	s_add_u32 s19, s4, s2
	s_addc_u32 s24, s5, s3
	s_add_i32 s2, s6, 1
	s_cmp_ge_u32 s2, s7
	v_lshlrev_b32_e32 v177, 4, v0
	s_barrier
	s_cbranch_scc1 .LBB48_199
; %bb.142:
	s_mul_i32 s2, s16, s29
	s_mul_hi_u32 s3, s16, s28
	s_add_i32 s2, s3, s2
	s_mul_i32 s3, s17, s28
	s_add_i32 s3, s2, s3
	s_mul_i32 s2, s16, s28
	s_lshl_b64 s[2:3], s[2:3], 4
	v_mov_b32_e32 v6, s3
	v_subrev_co_u32_e32 v179, vcc, s2, v40
	v_subb_co_u32_e32 v180, vcc, v41, v6, vcc
	v_lshrrev_b32_e32 v6, 4, v44
	v_lshlrev_b32_e32 v8, 6, v6
	v_mul_i32_i24_e32 v11, 0xffffffd0, v6
	v_and_b32_e32 v6, 48, v0
	v_and_b32_e32 v7, 15, v0
	v_lshlrev_b32_e32 v10, 6, v1
	s_movk_i32 s4, 0x430
	v_lshlrev_b32_e32 v6, 4, v6
	v_mad_u32_u24 v186, v7, s4, v6
	v_or_b32_e32 v6, 0xf0, v177
	v_add_u32_e32 v9, 0x220, v10
	v_mad_u32_u24 v185, v7, s4, v8
	v_mad_u32_u24 v187, v7, s4, v6
	v_mad_u64_u32 v[7:8], s[4:5], s22, v9, 0
	v_add_u32_e32 v13, 0x530, v10
	v_add_u32_e32 v182, 0x4300, v10
	v_mad_u64_u32 v[8:9], s[4:5], s23, v9, v[8:9]
	v_sub_co_u32_e32 v9, vcc, v7, v38
	v_subb_co_u32_e32 v12, vcc, v8, v39, vcc
	v_mad_u64_u32 v[7:8], s[4:5], s22, v13, 0
	v_add_co_u32_e32 v203, vcc, v42, v9
	v_mad_u64_u32 v[8:9], s[4:5], s23, v13, v[8:9]
	v_addc_co_u32_e32 v204, vcc, v43, v12, vcc
	v_sub_co_u32_e32 v9, vcc, v7, v38
	v_add_u32_e32 v13, 0x210, v10
	v_subb_co_u32_e32 v12, vcc, v8, v39, vcc
	v_mad_u64_u32 v[7:8], s[4:5], s22, v13, 0
	v_add_co_u32_e32 v205, vcc, v42, v9
	v_mad_u64_u32 v[8:9], s[4:5], s23, v13, v[8:9]
	v_addc_co_u32_e32 v206, vcc, v43, v12, vcc
	v_sub_co_u32_e32 v9, vcc, v7, v38
	v_add_u32_e32 v13, 0x500, v10
	;; [unrolled: 7-line block ×14, first 2 shown]
	v_subb_co_u32_e32 v12, vcc, v8, v39, vcc
	v_mad_u64_u32 v[7:8], s[4:5], s22, v10, 0
	v_add_co_u32_e32 v231, vcc, v42, v9
	v_mad_u64_u32 v[8:9], s[4:5], s23, v10, v[8:9]
	v_addc_co_u32_e32 v232, vcc, v43, v12, vcc
	v_sub_co_u32_e32 v7, vcc, v7, v38
	v_subb_co_u32_e32 v8, vcc, v8, v39, vcc
	v_lshlrev_b32_e32 v178, 2, v1
	s_movk_i32 s2, 0x10c0
	v_add_co_u32_e32 v233, vcc, v42, v7
	s_add_i32 s26, s7, -2
	v_add_u32_e32 v181, 0x4300, v177
	v_add_u32_e32 v183, 0x4700, v177
	v_mad_u32_u24 v184, v1, s2, v177
	v_cmp_gt_u32_e64 s[2:3], 64, v44
	v_or_b32_e32 v188, 1, v178
	v_or_b32_e32 v189, 2, v178
	;; [unrolled: 1-line block ×3, first 2 shown]
	v_add_u32_e32 v191, 16, v178
	v_add_u32_e32 v192, 17, v178
	;; [unrolled: 1-line block ×12, first 2 shown]
	s_add_i32 s27, s28, 64
	v_mov_b32_e32 v6, 0
	s_lshl_b64 s[10:11], s[22:23], 10
	v_addc_co_u32_e32 v234, vcc, v43, v8, vcc
	v_add_u32_e32 v235, v185, v11
	s_cmp_eq_u32 s26, s6
	s_cselect_b32 s22, s25, 0
	s_and_saveexec_b64 s[4:5], s[0:1]
	s_cbranch_execz .LBB48_148
	s_branch .LBB48_144
.LBB48_143:                             ;   in Loop: Header=BB48_148 Depth=1
	s_mov_b32 s6, s4
	s_cmp_eq_u32 s26, s6
	s_cselect_b32 s22, s25, 0
	s_and_saveexec_b64 s[4:5], s[0:1]
	s_cbranch_execz .LBB48_148
.LBB48_144:
	s_cmp_lg_u32 s22, 0
	s_cselect_b64 s[8:9], -1, 0
	v_cmp_le_i32_e32 vcc, s22, v0
	s_and_b64 s[8:9], s[8:9], vcc
	s_and_saveexec_b64 s[12:13], s[8:9]
	s_xor_b64 s[8:9], exec, s[12:13]
; %bb.145:
	v_mov_b32_e32 v7, v6
	v_mov_b32_e32 v8, v6
	;; [unrolled: 1-line block ×3, first 2 shown]
	ds_write_b128 v181, v[6:9]
; %bb.146:
	s_andn2_saveexec_b64 s[8:9], s[8:9]
	s_cbranch_execz .LBB48_148
; %bb.147:
	s_ashr_i32 s8, s27, 31
	s_mul_hi_u32 s9, s16, s27
	s_mul_i32 s8, s16, s8
	s_add_i32 s8, s9, s8
	s_mul_i32 s9, s17, s27
	s_add_i32 s9, s8, s9
	s_mul_i32 s8, s16, s27
	s_lshl_b64 s[8:9], s[8:9], 4
	v_mov_b32_e32 v8, s9
	v_add_co_u32_e32 v7, vcc, s8, v179
	v_addc_co_u32_e32 v8, vcc, v180, v8, vcc
	flat_load_dwordx4 v[7:10], v[7:8]
	s_waitcnt vmcnt(0) lgkmcnt(0)
	ds_write2_b64 v181, v[7:8], v[9:10] offset1:1
.LBB48_148:                             ; =>This Inner Loop Header: Depth=1
	s_or_b64 exec, exec, s[4:5]
	s_cmp_eq_u32 s22, 0
	v_add_co_u32_e32 v19, vcc, v211, v177
	s_cselect_b64 s[12:13], -1, 0
	s_cmp_lg_u32 s22, 0
	v_addc_co_u32_e32 v20, vcc, 0, v212, vcc
	s_cselect_b64 s[8:9], -1, 0
	s_and_b64 vcc, exec, s[8:9]
	s_waitcnt lgkmcnt(0)
	s_barrier
	s_cbranch_vccz .LBB48_156
; %bb.149:                              ;   in Loop: Header=BB48_148 Depth=1
	v_mov_b32_e32 v11, 0
	v_mov_b32_e32 v7, 0
	v_mov_b32_e32 v9, 0
	v_mov_b32_e32 v12, 0
	v_mov_b32_e32 v8, 0
	v_mov_b32_e32 v10, 0
	v_cmp_gt_i32_e32 vcc, s22, v178
	s_and_saveexec_b64 s[4:5], vcc
	s_cbranch_execz .LBB48_151
; %bb.150:                              ;   in Loop: Header=BB48_148 Depth=1
	flat_load_dwordx4 v[7:10], v[19:20]
.LBB48_151:                             ;   in Loop: Header=BB48_148 Depth=1
	s_or_b64 exec, exec, s[4:5]
	v_mov_b32_e32 v13, 0
	v_mov_b32_e32 v14, 0
	v_cmp_gt_i32_e32 vcc, s22, v188
	s_and_saveexec_b64 s[4:5], vcc
	s_cbranch_execz .LBB48_153
; %bb.152:                              ;   in Loop: Header=BB48_148 Depth=1
	v_add_co_u32_e32 v11, vcc, v207, v177
	v_addc_co_u32_e32 v12, vcc, 0, v208, vcc
	flat_load_dwordx4 v[11:14], v[11:12]
.LBB48_153:                             ;   in Loop: Header=BB48_148 Depth=1
	s_or_b64 exec, exec, s[4:5]
	v_mov_b32_e32 v15, 0
	v_mov_b32_e32 v17, 0
	;; [unrolled: 1-line block ×4, first 2 shown]
	v_cmp_gt_i32_e32 vcc, s22, v189
	s_and_saveexec_b64 s[4:5], vcc
	s_cbranch_execz .LBB48_155
; %bb.154:                              ;   in Loop: Header=BB48_148 Depth=1
	v_add_co_u32_e32 v15, vcc, v203, v177
	v_addc_co_u32_e32 v16, vcc, 0, v204, vcc
	flat_load_dwordx4 v[15:18], v[15:16]
.LBB48_155:                             ;   in Loop: Header=BB48_148 Depth=1
	s_or_b64 exec, exec, s[4:5]
	v_cmp_gt_i32_e64 s[4:5], s22, v190
	s_branch .LBB48_158
.LBB48_156:                             ;   in Loop: Header=BB48_148 Depth=1
	s_mov_b64 s[4:5], 0
                                        ; implicit-def: $vgpr17_vgpr18
                                        ; implicit-def: $vgpr13_vgpr14
                                        ; implicit-def: $vgpr9_vgpr10
	s_cbranch_execz .LBB48_158
; %bb.157:                              ;   in Loop: Header=BB48_148 Depth=1
	s_waitcnt vmcnt(0) lgkmcnt(0)
	v_add_co_u32_e32 v11, vcc, v207, v177
	v_addc_co_u32_e32 v12, vcc, 0, v208, vcc
	v_add_co_u32_e32 v15, vcc, v203, v177
	v_addc_co_u32_e32 v16, vcc, 0, v204, vcc
	flat_load_dwordx4 v[7:10], v[19:20]
	s_or_b64 s[4:5], s[4:5], exec
	flat_load_dwordx4 v[11:14], v[11:12]
	s_nop 0
	flat_load_dwordx4 v[15:18], v[15:16]
.LBB48_158:                             ;   in Loop: Header=BB48_148 Depth=1
	v_mov_b32_e32 v19, 0
	v_mov_b32_e32 v21, 0
	;; [unrolled: 1-line block ×4, first 2 shown]
	s_and_saveexec_b64 s[14:15], s[4:5]
	s_cbranch_execz .LBB48_160
; %bb.159:                              ;   in Loop: Header=BB48_148 Depth=1
	v_add_co_u32_e32 v19, vcc, v215, v177
	v_addc_co_u32_e32 v20, vcc, 0, v216, vcc
	flat_load_dwordx4 v[19:22], v[19:20]
.LBB48_160:                             ;   in Loop: Header=BB48_148 Depth=1
	s_or_b64 exec, exec, s[14:15]
	ds_read_b128 v[23:26], v183
	s_andn2_b64 vcc, exec, s[8:9]
	s_waitcnt vmcnt(0) lgkmcnt(0)
	v_mul_f64 v[27:28], v[9:10], v[25:26]
	v_mul_f64 v[29:30], v[9:10], v[23:24]
	v_mul_f64 v[31:32], v[13:14], v[25:26]
	v_mul_f64 v[33:34], v[13:14], v[23:24]
	v_mul_f64 v[35:36], v[17:18], v[25:26]
	v_mul_f64 v[37:38], v[17:18], v[23:24]
	v_mul_f64 v[43:44], v[21:22], v[25:26]
	v_mul_f64 v[45:46], v[21:22], v[23:24]
	v_fma_f64 v[27:28], v[7:8], v[23:24], v[27:28]
	v_fma_f64 v[29:30], v[7:8], v[25:26], -v[29:30]
	v_fma_f64 v[31:32], v[11:12], v[23:24], v[31:32]
	v_fma_f64 v[33:34], v[11:12], v[25:26], -v[33:34]
	;; [unrolled: 2-line block ×4, first 2 shown]
	ds_read_b128 v[47:50], v182
	ds_read_b128 v[43:46], v182 offset:16
	ds_read_b128 v[35:38], v182 offset:32
	;; [unrolled: 1-line block ×3, first 2 shown]
	ds_write_b128 v184, v[27:30]
	ds_write_b128 v184, v[31:34] offset:1072
	ds_write_b128 v184, v[39:42] offset:2144
	;; [unrolled: 1-line block ×3, first 2 shown]
	s_waitcnt lgkmcnt(0)
	s_barrier
	ds_read_b128 v[95:98], v185
	ds_read_b128 v[91:94], v185 offset:16
	ds_read_b128 v[87:90], v185 offset:32
	ds_read_b128 v[83:86], v185 offset:48
	v_cndmask_b32_e64 v27, 0, 1, s[8:9]
	v_add_co_u32_e64 v51, s[8:9], v227, v177
	v_cmp_ne_u32_e64 s[4:5], 1, v27
	v_addc_co_u32_e64 v52, s[8:9], 0, v228, s[8:9]
	s_waitcnt lgkmcnt(0)
	s_barrier
	s_cbranch_vccnz .LBB48_168
; %bb.161:                              ;   in Loop: Header=BB48_148 Depth=1
	v_mov_b32_e32 v27, 0
	v_mov_b32_e32 v31, 0
	;; [unrolled: 1-line block ×6, first 2 shown]
	v_cmp_gt_i32_e32 vcc, s22, v191
	s_and_saveexec_b64 s[8:9], vcc
	s_cbranch_execz .LBB48_163
; %bb.162:                              ;   in Loop: Header=BB48_148 Depth=1
	flat_load_dwordx4 v[31:34], v[51:52]
.LBB48_163:                             ;   in Loop: Header=BB48_148 Depth=1
	s_or_b64 exec, exec, s[8:9]
	v_mov_b32_e32 v29, 0
	v_mov_b32_e32 v30, 0
	v_cmp_gt_i32_e32 vcc, s22, v192
	s_and_saveexec_b64 s[8:9], vcc
	s_cbranch_execz .LBB48_165
; %bb.164:                              ;   in Loop: Header=BB48_148 Depth=1
	v_add_co_u32_e32 v27, vcc, v223, v177
	v_addc_co_u32_e32 v28, vcc, 0, v224, vcc
	flat_load_dwordx4 v[27:30], v[27:28]
.LBB48_165:                             ;   in Loop: Header=BB48_148 Depth=1
	s_or_b64 exec, exec, s[8:9]
	v_mov_b32_e32 v39, 0
	v_mov_b32_e32 v41, 0
	;; [unrolled: 1-line block ×4, first 2 shown]
	v_cmp_gt_i32_e32 vcc, s22, v193
	s_and_saveexec_b64 s[8:9], vcc
	s_cbranch_execz .LBB48_167
; %bb.166:                              ;   in Loop: Header=BB48_148 Depth=1
	v_add_co_u32_e32 v39, vcc, v217, v177
	v_addc_co_u32_e32 v40, vcc, 0, v218, vcc
	flat_load_dwordx4 v[39:42], v[39:40]
.LBB48_167:                             ;   in Loop: Header=BB48_148 Depth=1
	s_or_b64 exec, exec, s[8:9]
	v_cmp_gt_i32_e64 s[8:9], s22, v194
	s_branch .LBB48_170
.LBB48_168:                             ;   in Loop: Header=BB48_148 Depth=1
	s_mov_b64 s[8:9], 0
                                        ; implicit-def: $vgpr41_vgpr42
                                        ; implicit-def: $vgpr29_vgpr30
                                        ; implicit-def: $vgpr33_vgpr34
	s_cbranch_execz .LBB48_170
; %bb.169:                              ;   in Loop: Header=BB48_148 Depth=1
	s_waitcnt vmcnt(0) lgkmcnt(0)
	v_add_co_u32_e32 v27, vcc, v223, v177
	v_addc_co_u32_e32 v28, vcc, 0, v224, vcc
	v_add_co_u32_e32 v39, vcc, v217, v177
	v_addc_co_u32_e32 v40, vcc, 0, v218, vcc
	flat_load_dwordx4 v[31:34], v[51:52]
	s_or_b64 s[8:9], s[8:9], exec
	flat_load_dwordx4 v[27:30], v[27:28]
	s_nop 0
	flat_load_dwordx4 v[39:42], v[39:40]
.LBB48_170:                             ;   in Loop: Header=BB48_148 Depth=1
	v_mov_b32_e32 v51, 0
	v_mov_b32_e32 v53, 0
	;; [unrolled: 1-line block ×4, first 2 shown]
	s_and_saveexec_b64 s[14:15], s[8:9]
	s_cbranch_execz .LBB48_172
; %bb.171:                              ;   in Loop: Header=BB48_148 Depth=1
	v_add_co_u32_e32 v51, vcc, v231, v177
	v_addc_co_u32_e32 v52, vcc, 0, v232, vcc
	flat_load_dwordx4 v[51:54], v[51:52]
.LBB48_172:                             ;   in Loop: Header=BB48_148 Depth=1
	s_or_b64 exec, exec, s[14:15]
	ds_read_b128 v[55:58], v183
	s_and_b64 vcc, exec, s[4:5]
	s_waitcnt vmcnt(0) lgkmcnt(0)
	v_mul_f64 v[59:60], v[33:34], v[57:58]
	v_mul_f64 v[61:62], v[33:34], v[55:56]
	;; [unrolled: 1-line block ×8, first 2 shown]
	v_fma_f64 v[63:64], v[31:32], v[55:56], v[59:60]
	v_fma_f64 v[65:66], v[31:32], v[57:58], -v[61:62]
	v_fma_f64 v[67:68], v[27:28], v[55:56], v[67:68]
	v_fma_f64 v[69:70], v[27:28], v[57:58], -v[69:70]
	;; [unrolled: 2-line block ×4, first 2 shown]
	ds_read_b128 v[75:78], v182 offset:256
	ds_read_b128 v[71:74], v182 offset:272
	;; [unrolled: 1-line block ×4, first 2 shown]
	ds_write_b128 v184, v[63:66]
	ds_write_b128 v184, v[67:70] offset:1072
	ds_write_b128 v184, v[79:82] offset:2144
	;; [unrolled: 1-line block ×3, first 2 shown]
	s_waitcnt lgkmcnt(0)
	s_barrier
	ds_read_b128 v[147:150], v185
	ds_read_b128 v[139:142], v185 offset:16
	ds_read_b128 v[135:138], v185 offset:32
	;; [unrolled: 1-line block ×3, first 2 shown]
	v_add_co_u32_e64 v99, s[8:9], v225, v177
	v_addc_co_u32_e64 v100, s[8:9], 0, v226, s[8:9]
	s_waitcnt lgkmcnt(0)
	s_barrier
	s_cbranch_vccnz .LBB48_180
; %bb.173:                              ;   in Loop: Header=BB48_148 Depth=1
	v_mov_b32_e32 v67, 0
	v_mov_b32_e32 v63, 0
	;; [unrolled: 1-line block ×6, first 2 shown]
	v_cmp_gt_i32_e32 vcc, s22, v195
	s_and_saveexec_b64 s[8:9], vcc
	s_cbranch_execz .LBB48_175
; %bb.174:                              ;   in Loop: Header=BB48_148 Depth=1
	flat_load_dwordx4 v[63:66], v[99:100]
.LBB48_175:                             ;   in Loop: Header=BB48_148 Depth=1
	s_or_b64 exec, exec, s[8:9]
	v_mov_b32_e32 v69, 0
	v_mov_b32_e32 v70, 0
	v_cmp_gt_i32_e32 vcc, s22, v196
	s_and_saveexec_b64 s[8:9], vcc
	s_cbranch_execz .LBB48_177
; %bb.176:                              ;   in Loop: Header=BB48_148 Depth=1
	v_add_co_u32_e32 v67, vcc, v229, v177
	v_addc_co_u32_e32 v68, vcc, 0, v230, vcc
	flat_load_dwordx4 v[67:70], v[67:68]
.LBB48_177:                             ;   in Loop: Header=BB48_148 Depth=1
	s_or_b64 exec, exec, s[8:9]
	v_mov_b32_e32 v79, 0
	v_mov_b32_e32 v81, 0
	;; [unrolled: 1-line block ×4, first 2 shown]
	v_cmp_gt_i32_e32 vcc, s22, v197
	s_and_saveexec_b64 s[8:9], vcc
	s_cbranch_execz .LBB48_179
; %bb.178:                              ;   in Loop: Header=BB48_148 Depth=1
	v_add_co_u32_e32 v79, vcc, v233, v177
	v_addc_co_u32_e32 v80, vcc, 0, v234, vcc
	flat_load_dwordx4 v[79:82], v[79:80]
.LBB48_179:                             ;   in Loop: Header=BB48_148 Depth=1
	s_or_b64 exec, exec, s[8:9]
	v_cmp_gt_i32_e64 s[8:9], s22, v198
	s_branch .LBB48_182
.LBB48_180:                             ;   in Loop: Header=BB48_148 Depth=1
	s_mov_b64 s[8:9], 0
                                        ; implicit-def: $vgpr81_vgpr82
                                        ; implicit-def: $vgpr69_vgpr70
                                        ; implicit-def: $vgpr65_vgpr66
	s_cbranch_execz .LBB48_182
; %bb.181:                              ;   in Loop: Header=BB48_148 Depth=1
	s_waitcnt vmcnt(0) lgkmcnt(0)
	v_add_co_u32_e32 v67, vcc, v229, v177
	v_addc_co_u32_e32 v68, vcc, 0, v230, vcc
	v_add_co_u32_e32 v79, vcc, v233, v177
	v_addc_co_u32_e32 v80, vcc, 0, v234, vcc
	flat_load_dwordx4 v[63:66], v[99:100]
	s_or_b64 s[8:9], s[8:9], exec
	flat_load_dwordx4 v[67:70], v[67:68]
	s_nop 0
	flat_load_dwordx4 v[79:82], v[79:80]
.LBB48_182:                             ;   in Loop: Header=BB48_148 Depth=1
	v_mov_b32_e32 v99, 0
	v_mov_b32_e32 v101, 0
	;; [unrolled: 1-line block ×4, first 2 shown]
	s_and_saveexec_b64 s[14:15], s[8:9]
	s_cbranch_execz .LBB48_184
; %bb.183:                              ;   in Loop: Header=BB48_148 Depth=1
	v_add_co_u32_e32 v99, vcc, v221, v177
	v_addc_co_u32_e32 v100, vcc, 0, v222, vcc
	flat_load_dwordx4 v[99:102], v[99:100]
.LBB48_184:                             ;   in Loop: Header=BB48_148 Depth=1
	s_or_b64 exec, exec, s[14:15]
	ds_read_b128 v[103:106], v183
	s_and_b64 vcc, exec, s[4:5]
	s_waitcnt vmcnt(0) lgkmcnt(0)
	v_mul_f64 v[107:108], v[65:66], v[105:106]
	v_mul_f64 v[109:110], v[65:66], v[103:104]
	;; [unrolled: 1-line block ×8, first 2 shown]
	v_fma_f64 v[119:120], v[63:64], v[103:104], v[107:108]
	v_fma_f64 v[121:122], v[63:64], v[105:106], -v[109:110]
	v_fma_f64 v[123:124], v[67:68], v[103:104], v[111:112]
	v_fma_f64 v[125:126], v[67:68], v[105:106], -v[113:114]
	;; [unrolled: 2-line block ×4, first 2 shown]
	ds_read_b128 v[115:118], v182 offset:512
	ds_read_b128 v[111:114], v182 offset:528
	;; [unrolled: 1-line block ×4, first 2 shown]
	ds_write_b128 v184, v[119:122]
	ds_write_b128 v184, v[123:126] offset:1072
	ds_write_b128 v184, v[127:130] offset:2144
	;; [unrolled: 1-line block ×3, first 2 shown]
	s_waitcnt lgkmcnt(0)
	s_barrier
	ds_read_b128 v[155:158], v185
	ds_read_b128 v[151:154], v185 offset:16
	ds_read_b128 v[171:174], v185 offset:32
	;; [unrolled: 1-line block ×3, first 2 shown]
	v_add_co_u32_e64 v143, s[4:5], v209, v177
	v_addc_co_u32_e64 v144, s[4:5], 0, v210, s[4:5]
	s_waitcnt lgkmcnt(0)
	s_barrier
	s_cbranch_vccnz .LBB48_192
; %bb.185:                              ;   in Loop: Header=BB48_148 Depth=1
	v_mov_b32_e32 v123, 0
	v_mov_b32_e32 v119, 0
	v_mov_b32_e32 v121, 0
	v_mov_b32_e32 v124, 0
	v_mov_b32_e32 v120, 0
	v_mov_b32_e32 v122, 0
	v_cmp_gt_i32_e32 vcc, s22, v199
	s_and_saveexec_b64 s[4:5], vcc
	s_cbranch_execz .LBB48_187
; %bb.186:                              ;   in Loop: Header=BB48_148 Depth=1
	flat_load_dwordx4 v[119:122], v[143:144]
.LBB48_187:                             ;   in Loop: Header=BB48_148 Depth=1
	s_or_b64 exec, exec, s[4:5]
	v_mov_b32_e32 v125, 0
	v_mov_b32_e32 v126, 0
	v_cmp_gt_i32_e32 vcc, s22, v200
	s_and_saveexec_b64 s[4:5], vcc
	s_cbranch_execz .LBB48_189
; %bb.188:                              ;   in Loop: Header=BB48_148 Depth=1
	v_add_co_u32_e32 v123, vcc, v213, v177
	v_addc_co_u32_e32 v124, vcc, 0, v214, vcc
	flat_load_dwordx4 v[123:126], v[123:124]
.LBB48_189:                             ;   in Loop: Header=BB48_148 Depth=1
	s_or_b64 exec, exec, s[4:5]
	v_mov_b32_e32 v127, 0
	v_mov_b32_e32 v129, 0
	;; [unrolled: 1-line block ×4, first 2 shown]
	v_cmp_gt_i32_e32 vcc, s22, v201
	s_and_saveexec_b64 s[4:5], vcc
	s_cbranch_execz .LBB48_191
; %bb.190:                              ;   in Loop: Header=BB48_148 Depth=1
	v_add_co_u32_e32 v127, vcc, v219, v177
	v_addc_co_u32_e32 v128, vcc, 0, v220, vcc
	flat_load_dwordx4 v[127:130], v[127:128]
.LBB48_191:                             ;   in Loop: Header=BB48_148 Depth=1
	s_or_b64 exec, exec, s[4:5]
	v_cmp_gt_i32_e64 s[4:5], s22, v202
	s_branch .LBB48_194
.LBB48_192:                             ;   in Loop: Header=BB48_148 Depth=1
	s_mov_b64 s[4:5], 0
                                        ; implicit-def: $vgpr129_vgpr130
                                        ; implicit-def: $vgpr125_vgpr126
                                        ; implicit-def: $vgpr121_vgpr122
	s_cbranch_execz .LBB48_194
; %bb.193:                              ;   in Loop: Header=BB48_148 Depth=1
	s_waitcnt vmcnt(0) lgkmcnt(0)
	v_add_co_u32_e32 v123, vcc, v213, v177
	v_addc_co_u32_e32 v124, vcc, 0, v214, vcc
	v_add_co_u32_e32 v127, vcc, v219, v177
	v_addc_co_u32_e32 v128, vcc, 0, v220, vcc
	flat_load_dwordx4 v[119:122], v[143:144]
	s_or_b64 s[4:5], s[4:5], exec
	flat_load_dwordx4 v[123:126], v[123:124]
	s_nop 0
	flat_load_dwordx4 v[127:130], v[127:128]
.LBB48_194:                             ;   in Loop: Header=BB48_148 Depth=1
	v_mov_b32_e32 v143, 0
	v_mov_b32_e32 v145, 0
	;; [unrolled: 1-line block ×4, first 2 shown]
	s_and_saveexec_b64 s[8:9], s[4:5]
	s_cbranch_execz .LBB48_196
; %bb.195:                              ;   in Loop: Header=BB48_148 Depth=1
	v_add_co_u32_e32 v143, vcc, v205, v177
	v_addc_co_u32_e32 v144, vcc, 0, v206, vcc
	flat_load_dwordx4 v[143:146], v[143:144]
.LBB48_196:                             ;   in Loop: Header=BB48_148 Depth=1
	s_or_b64 exec, exec, s[8:9]
	v_add_f64 v[155:156], v[155:156], 0
	v_add_f64 v[157:158], v[157:158], 0
	ds_read_b128 v[159:162], v183
	v_add_f64 v[147:148], v[147:148], 0
	v_add_f64 v[149:150], v[149:150], 0
	v_cmp_gt_i32_e32 vcc, s22, v0
	s_or_b64 s[4:5], s[12:13], vcc
	s_waitcnt vmcnt(0) lgkmcnt(0)
	v_mul_f64 v[163:164], v[121:122], v[161:162]
	v_mul_f64 v[165:166], v[121:122], v[159:160]
	;; [unrolled: 1-line block ×3, first 2 shown]
	v_add_f64 v[252:253], v[155:156], v[151:152]
	v_mul_f64 v[151:152], v[125:126], v[159:160]
	v_add_f64 v[254:255], v[157:158], v[153:154]
	v_mul_f64 v[153:154], v[129:130], v[161:162]
	v_mul_f64 v[155:156], v[129:130], v[159:160]
	;; [unrolled: 1-line block ×4, first 2 shown]
	v_fma_f64 v[236:237], v[119:120], v[159:160], v[163:164]
	v_fma_f64 v[238:239], v[119:120], v[161:162], -v[165:166]
	v_fma_f64 v[240:241], v[123:124], v[159:160], v[240:241]
	v_fma_f64 v[242:243], v[123:124], v[161:162], -v[151:152]
	;; [unrolled: 2-line block ×4, first 2 shown]
	ds_read_b128 v[163:166], v182 offset:768
	ds_read_b128 v[159:162], v182 offset:784
	;; [unrolled: 1-line block ×4, first 2 shown]
	ds_write_b128 v184, v[236:239]
	ds_write_b128 v184, v[240:243] offset:1072
	ds_write_b128 v184, v[244:247] offset:2144
	;; [unrolled: 1-line block ×3, first 2 shown]
	s_waitcnt lgkmcnt(0)
	s_barrier
	ds_read_b128 v[236:239], v185
	v_add_f64 v[240:241], v[95:96], 0
	v_add_f64 v[242:243], v[97:98], 0
	ds_read_b128 v[95:98], v185 offset:16
	v_add_f64 v[139:140], v[147:148], v[139:140]
	s_waitcnt lgkmcnt(1)
	v_add_f64 v[236:237], v[236:237], 0
	v_add_f64 v[238:239], v[238:239], 0
	;; [unrolled: 1-line block ×6, first 2 shown]
	ds_read_b128 v[91:94], v185 offset:32
	v_add_f64 v[135:136], v[139:140], v[135:136]
	s_waitcnt lgkmcnt(1)
	v_add_f64 v[95:96], v[236:237], v[95:96]
	v_add_f64 v[97:98], v[238:239], v[97:98]
	;; [unrolled: 1-line block ×6, first 2 shown]
	ds_read_b128 v[87:90], v185 offset:48
	s_and_b64 s[8:9], s[2:3], s[4:5]
	s_waitcnt lgkmcnt(1)
	v_add_f64 v[149:150], v[95:96], v[91:92]
	v_add_f64 v[171:172], v[97:98], v[93:94]
	;; [unrolled: 1-line block ×8, first 2 shown]
	s_waitcnt lgkmcnt(0)
	v_add_f64 v[87:88], v[149:150], v[87:88]
	v_add_f64 v[89:90], v[171:172], v[89:90]
	s_barrier
	ds_write_b128 v235, v[83:86]
	ds_write_b128 v235, v[95:98] offset:256
	ds_write_b128 v235, v[91:94] offset:512
	;; [unrolled: 1-line block ×3, first 2 shown]
	s_waitcnt lgkmcnt(0)
	s_barrier
	s_and_saveexec_b64 s[4:5], s[8:9]
	s_cbranch_execz .LBB48_198
; %bb.197:                              ;   in Loop: Header=BB48_148 Depth=1
	ds_read_b128 v[83:86], v186
	ds_read_b128 v[87:90], v186 offset:16
	s_waitcnt lgkmcnt(0)
	v_add_f64 v[91:92], v[87:88], v[83:84]
	v_add_f64 v[93:94], v[89:90], v[85:86]
	ds_read_b128 v[83:86], v186 offset:32
	ds_read_b128 v[87:90], v186 offset:48
	s_waitcnt lgkmcnt(1)
	v_add_f64 v[83:84], v[91:92], v[83:84]
	v_add_f64 v[85:86], v[93:94], v[85:86]
	s_waitcnt lgkmcnt(0)
	v_add_f64 v[91:92], v[83:84], v[87:88]
	v_add_f64 v[93:94], v[85:86], v[89:90]
	ds_read_b128 v[83:86], v186 offset:64
	ds_read_b128 v[87:90], v186 offset:80
	s_waitcnt lgkmcnt(1)
	v_add_f64 v[83:84], v[91:92], v[83:84]
	v_add_f64 v[85:86], v[93:94], v[85:86]
	;; [unrolled: 8-line block ×6, first 2 shown]
	s_waitcnt lgkmcnt(0)
	v_add_f64 v[91:92], v[83:84], v[87:88]
	v_add_f64 v[93:94], v[85:86], v[89:90]
	ds_read_b128 v[83:86], v186 offset:224
	ds_read_b128 v[87:90], v187
	s_waitcnt lgkmcnt(1)
	v_add_f64 v[83:84], v[91:92], v[83:84]
	v_add_f64 v[85:86], v[93:94], v[85:86]
	s_waitcnt lgkmcnt(0)
	v_add_f64 v[83:84], v[83:84], v[87:88]
	v_add_f64 v[85:86], v[85:86], v[89:90]
	v_add_u32_e32 v87, s27, v0
	v_ashrrev_i32_e32 v88, 31, v87
	v_lshlrev_b64 v[87:88], 4, v[87:88]
	v_mov_b32_e32 v89, s24
	v_add_co_u32_e32 v87, vcc, s19, v87
	v_addc_co_u32_e32 v88, vcc, v89, v88, vcc
	global_store_dwordx4 v[87:88], v[83:86], off
.LBB48_198:                             ;   in Loop: Header=BB48_148 Depth=1
	s_or_b64 exec, exec, s[4:5]
	v_mul_f64 v[83:84], v[9:10], v[49:50]
	v_mul_f64 v[49:50], v[7:8], v[49:50]
	;; [unrolled: 1-line block ×4, first 2 shown]
	v_add_co_u32_e32 v203, vcc, s10, v203
	s_add_i32 s4, s6, 1
	s_add_i32 s27, s27, 64
	v_fma_f64 v[7:8], v[7:8], v[47:48], -v[83:84]
	v_fma_f64 v[9:10], v[9:10], v[47:48], v[49:50]
	v_mul_f64 v[47:48], v[17:18], v[37:38]
	v_mul_f64 v[37:38], v[15:16], v[37:38]
	v_fma_f64 v[11:12], v[11:12], v[43:44], -v[85:86]
	v_fma_f64 v[13:14], v[13:14], v[43:44], v[45:46]
	v_mul_f64 v[49:50], v[21:22], v[25:26]
	v_mul_f64 v[43:44], v[29:30], v[73:74]
	v_add_f64 v[2:3], v[2:3], v[7:8]
	v_add_f64 v[4:5], v[4:5], v[9:10]
	v_mul_f64 v[7:8], v[19:20], v[25:26]
	v_fma_f64 v[15:16], v[15:16], v[35:36], -v[47:48]
	v_fma_f64 v[17:18], v[17:18], v[35:36], v[37:38]
	v_mul_f64 v[9:10], v[33:34], v[77:78]
	v_mul_f64 v[25:26], v[31:32], v[77:78]
	v_fma_f64 v[19:20], v[19:20], v[23:24], -v[49:50]
	v_add_f64 v[2:3], v[2:3], v[11:12]
	v_add_f64 v[4:5], v[4:5], v[13:14]
	v_fma_f64 v[7:8], v[21:22], v[23:24], v[7:8]
	v_mul_f64 v[11:12], v[27:28], v[73:74]
	v_mul_f64 v[13:14], v[41:42], v[61:62]
	v_fma_f64 v[9:10], v[31:32], v[75:76], -v[9:10]
	v_fma_f64 v[25:26], v[33:34], v[75:76], v[25:26]
	v_mul_f64 v[35:36], v[39:40], v[61:62]
	v_add_f64 v[2:3], v[2:3], v[15:16]
	v_add_f64 v[4:5], v[4:5], v[17:18]
	v_fma_f64 v[27:28], v[27:28], v[71:72], -v[43:44]
	v_fma_f64 v[11:12], v[29:30], v[71:72], v[11:12]
	v_mul_f64 v[37:38], v[53:54], v[57:58]
	v_mul_f64 v[15:16], v[51:52], v[57:58]
	v_fma_f64 v[13:14], v[39:40], v[59:60], -v[13:14]
	v_fma_f64 v[35:36], v[41:42], v[59:60], v[35:36]
	v_add_f64 v[2:3], v[2:3], v[19:20]
	v_add_f64 v[4:5], v[4:5], v[7:8]
	v_mul_f64 v[17:18], v[65:66], v[117:118]
	v_mul_f64 v[21:22], v[63:64], v[117:118]
	v_fma_f64 v[37:38], v[51:52], v[55:56], -v[37:38]
	v_fma_f64 v[15:16], v[53:54], v[55:56], v[15:16]
	v_mul_f64 v[23:24], v[69:70], v[113:114]
	v_mul_f64 v[7:8], v[67:68], v[113:114]
	v_add_f64 v[2:3], v[2:3], v[9:10]
	v_add_f64 v[4:5], v[4:5], v[25:26]
	v_fma_f64 v[17:18], v[63:64], v[115:116], -v[17:18]
	v_fma_f64 v[21:22], v[65:66], v[115:116], v[21:22]
	v_mul_f64 v[19:20], v[81:82], v[109:110]
	v_mul_f64 v[31:32], v[79:80], v[109:110]
	v_mul_f64 v[33:34], v[101:102], v[105:106]
	v_fma_f64 v[7:8], v[69:70], v[111:112], v[7:8]
	v_add_f64 v[2:3], v[2:3], v[27:28]
	v_add_f64 v[4:5], v[4:5], v[11:12]
	v_mul_f64 v[9:10], v[99:100], v[105:106]
	v_mul_f64 v[25:26], v[121:122], v[165:166]
	;; [unrolled: 1-line block ×6, first 2 shown]
	v_add_f64 v[2:3], v[2:3], v[13:14]
	v_add_f64 v[4:5], v[4:5], v[35:36]
	v_fma_f64 v[9:10], v[101:102], v[103:104], v[9:10]
	v_mul_f64 v[39:40], v[127:128], v[157:158]
	v_mov_b32_e32 v35, s11
	v_addc_co_u32_e32 v204, vcc, v204, v35, vcc
	v_add_co_u32_e32 v205, vcc, s10, v205
	v_add_f64 v[2:3], v[2:3], v[37:38]
	v_add_f64 v[4:5], v[4:5], v[15:16]
	v_fma_f64 v[15:16], v[67:68], v[111:112], -v[23:24]
	v_addc_co_u32_e32 v206, vcc, v206, v35, vcc
	v_add_co_u32_e32 v207, vcc, s10, v207
	v_addc_co_u32_e32 v208, vcc, v208, v35, vcc
	v_add_f64 v[2:3], v[2:3], v[17:18]
	v_add_f64 v[4:5], v[4:5], v[21:22]
	v_fma_f64 v[17:18], v[79:80], v[107:108], -v[19:20]
	v_fma_f64 v[19:20], v[81:82], v[107:108], v[31:32]
	v_add_co_u32_e32 v209, vcc, s10, v209
	v_addc_co_u32_e32 v210, vcc, v210, v35, vcc
	v_add_f64 v[2:3], v[2:3], v[15:16]
	v_add_f64 v[4:5], v[4:5], v[7:8]
	v_fma_f64 v[7:8], v[99:100], v[103:104], -v[33:34]
	v_fma_f64 v[15:16], v[119:120], v[163:164], -v[25:26]
	v_mul_f64 v[41:42], v[145:146], v[153:154]
	v_mul_f64 v[13:14], v[143:144], v[153:154]
	v_add_co_u32_e32 v211, vcc, s10, v211
	v_add_f64 v[2:3], v[2:3], v[17:18]
	v_add_f64 v[4:5], v[4:5], v[19:20]
	v_fma_f64 v[17:18], v[121:122], v[163:164], v[29:30]
	v_addc_co_u32_e32 v212, vcc, v212, v35, vcc
	v_add_co_u32_e32 v213, vcc, s10, v213
	v_addc_co_u32_e32 v214, vcc, v214, v35, vcc
	v_add_f64 v[2:3], v[2:3], v[7:8]
	v_add_f64 v[4:5], v[4:5], v[9:10]
	v_fma_f64 v[7:8], v[123:124], v[159:160], -v[43:44]
	v_fma_f64 v[9:10], v[125:126], v[159:160], v[11:12]
	v_fma_f64 v[11:12], v[127:128], v[155:156], -v[27:28]
	v_add_co_u32_e32 v215, vcc, s10, v215
	v_addc_co_u32_e32 v216, vcc, v216, v35, vcc
	v_add_f64 v[2:3], v[2:3], v[15:16]
	v_add_f64 v[4:5], v[4:5], v[17:18]
	v_fma_f64 v[15:16], v[129:130], v[155:156], v[39:40]
	v_add_co_u32_e32 v217, vcc, s10, v217
	v_addc_co_u32_e32 v218, vcc, v218, v35, vcc
	v_add_co_u32_e32 v219, vcc, s10, v219
	v_add_f64 v[2:3], v[2:3], v[7:8]
	v_add_f64 v[4:5], v[4:5], v[9:10]
	v_fma_f64 v[7:8], v[143:144], v[151:152], -v[41:42]
	v_fma_f64 v[9:10], v[145:146], v[151:152], v[13:14]
	v_addc_co_u32_e32 v220, vcc, v220, v35, vcc
	v_add_co_u32_e32 v221, vcc, s10, v221
	v_add_f64 v[2:3], v[2:3], v[11:12]
	v_add_f64 v[4:5], v[4:5], v[15:16]
	v_addc_co_u32_e32 v222, vcc, v222, v35, vcc
	v_add_co_u32_e32 v223, vcc, s10, v223
	v_addc_co_u32_e32 v224, vcc, v224, v35, vcc
	v_add_co_u32_e32 v225, vcc, s10, v225
	v_addc_co_u32_e32 v226, vcc, v226, v35, vcc
	v_add_f64 v[2:3], v[2:3], v[7:8]
	v_add_f64 v[4:5], v[4:5], v[9:10]
	v_add_co_u32_e32 v227, vcc, s10, v227
	v_addc_co_u32_e32 v228, vcc, v228, v35, vcc
	v_add_co_u32_e32 v229, vcc, s10, v229
	v_addc_co_u32_e32 v230, vcc, v230, v35, vcc
	;; [unrolled: 2-line block ×3, first 2 shown]
	s_add_i32 s5, s6, 2
	v_add_co_u32_e32 v233, vcc, s10, v233
	s_cmp_ge_u32 s5, s7
	v_addc_co_u32_e32 v234, vcc, v234, v35, vcc
	s_waitcnt vmcnt(0)
	s_barrier
	s_cbranch_scc0 .LBB48_143
.LBB48_199:
	s_movk_i32 s2, 0x430
	v_cmp_gt_i32_e32 vcc, s18, v0
	v_mad_u32_u24 v1, v1, s2, v177
	s_or_b64 s[2:3], s[20:21], vcc
	s_and_b64 s[0:1], s[0:1], s[2:3]
	ds_write_b128 v1, v[2:5]
	s_waitcnt lgkmcnt(0)
	s_barrier
	s_and_saveexec_b64 s[2:3], s[0:1]
	s_cbranch_execz .LBB48_201
; %bb.200:
	ds_read_b128 v[0:3], v177 offset:1072
	ds_read_b128 v[4:7], v177
	s_waitcnt lgkmcnt(0)
	v_add_f64 v[8:9], v[0:1], v[4:5]
	v_add_f64 v[10:11], v[2:3], v[6:7]
	ds_read_b128 v[0:3], v177 offset:2144
	ds_read_b128 v[4:7], v177 offset:3216
	s_waitcnt lgkmcnt(1)
	v_add_f64 v[0:1], v[8:9], v[0:1]
	v_add_f64 v[2:3], v[10:11], v[2:3]
	s_waitcnt lgkmcnt(0)
	v_add_f64 v[0:1], v[0:1], v[4:5]
	v_add_f64 v[2:3], v[2:3], v[6:7]
	v_lshlrev_b64 v[4:5], 4, v[175:176]
	v_mov_b32_e32 v6, s24
	v_add_co_u32_e32 v4, vcc, s19, v4
	v_addc_co_u32_e32 v5, vcc, v6, v5, vcc
	global_store_dwordx4 v[4:5], v[0:3], off
.LBB48_201:
	s_endpgm
	.section	.rodata,"a",@progbits
	.p2align	6, 0x0
	.amdhsa_kernel _ZL26rocblas_hemvn_kernel_upperILb1ELi64ELi4ELi33ELi32ELi16ElPK19rocblas_complex_numIdEPKS3_PS1_EviT6_lT7_lT5_lS8_lS9_lS7_lT8_i
		.amdhsa_group_segment_fixed_size 19200
		.amdhsa_private_segment_fixed_size 0
		.amdhsa_kernarg_size 376
		.amdhsa_user_sgpr_count 6
		.amdhsa_user_sgpr_private_segment_buffer 1
		.amdhsa_user_sgpr_dispatch_ptr 0
		.amdhsa_user_sgpr_queue_ptr 0
		.amdhsa_user_sgpr_kernarg_segment_ptr 1
		.amdhsa_user_sgpr_dispatch_id 0
		.amdhsa_user_sgpr_flat_scratch_init 0
		.amdhsa_user_sgpr_private_segment_size 0
		.amdhsa_uses_dynamic_stack 0
		.amdhsa_system_sgpr_private_segment_wavefront_offset 0
		.amdhsa_system_sgpr_workgroup_id_x 1
		.amdhsa_system_sgpr_workgroup_id_y 0
		.amdhsa_system_sgpr_workgroup_id_z 1
		.amdhsa_system_sgpr_workgroup_info 0
		.amdhsa_system_vgpr_workitem_id 1
		.amdhsa_next_free_vgpr 256
		.amdhsa_next_free_sgpr 98
		.amdhsa_reserve_vcc 1
		.amdhsa_reserve_flat_scratch 0
		.amdhsa_float_round_mode_32 0
		.amdhsa_float_round_mode_16_64 0
		.amdhsa_float_denorm_mode_32 3
		.amdhsa_float_denorm_mode_16_64 3
		.amdhsa_dx10_clamp 1
		.amdhsa_ieee_mode 1
		.amdhsa_fp16_overflow 0
		.amdhsa_exception_fp_ieee_invalid_op 0
		.amdhsa_exception_fp_denorm_src 0
		.amdhsa_exception_fp_ieee_div_zero 0
		.amdhsa_exception_fp_ieee_overflow 0
		.amdhsa_exception_fp_ieee_underflow 0
		.amdhsa_exception_fp_ieee_inexact 0
		.amdhsa_exception_int_div_zero 0
	.end_amdhsa_kernel
	.section	.text._ZL26rocblas_hemvn_kernel_upperILb1ELi64ELi4ELi33ELi32ELi16ElPK19rocblas_complex_numIdEPKS3_PS1_EviT6_lT7_lT5_lS8_lS9_lS7_lT8_i,"axG",@progbits,_ZL26rocblas_hemvn_kernel_upperILb1ELi64ELi4ELi33ELi32ELi16ElPK19rocblas_complex_numIdEPKS3_PS1_EviT6_lT7_lT5_lS8_lS9_lS7_lT8_i,comdat
.Lfunc_end48:
	.size	_ZL26rocblas_hemvn_kernel_upperILb1ELi64ELi4ELi33ELi32ELi16ElPK19rocblas_complex_numIdEPKS3_PS1_EviT6_lT7_lT5_lS8_lS9_lS7_lT8_i, .Lfunc_end48-_ZL26rocblas_hemvn_kernel_upperILb1ELi64ELi4ELi33ELi32ELi16ElPK19rocblas_complex_numIdEPKS3_PS1_EviT6_lT7_lT5_lS8_lS9_lS7_lT8_i
                                        ; -- End function
	.set _ZL26rocblas_hemvn_kernel_upperILb1ELi64ELi4ELi33ELi32ELi16ElPK19rocblas_complex_numIdEPKS3_PS1_EviT6_lT7_lT5_lS8_lS9_lS7_lT8_i.num_vgpr, 256
	.set _ZL26rocblas_hemvn_kernel_upperILb1ELi64ELi4ELi33ELi32ELi16ElPK19rocblas_complex_numIdEPKS3_PS1_EviT6_lT7_lT5_lS8_lS9_lS7_lT8_i.num_agpr, 0
	.set _ZL26rocblas_hemvn_kernel_upperILb1ELi64ELi4ELi33ELi32ELi16ElPK19rocblas_complex_numIdEPKS3_PS1_EviT6_lT7_lT5_lS8_lS9_lS7_lT8_i.numbered_sgpr, 42
	.set _ZL26rocblas_hemvn_kernel_upperILb1ELi64ELi4ELi33ELi32ELi16ElPK19rocblas_complex_numIdEPKS3_PS1_EviT6_lT7_lT5_lS8_lS9_lS7_lT8_i.num_named_barrier, 0
	.set _ZL26rocblas_hemvn_kernel_upperILb1ELi64ELi4ELi33ELi32ELi16ElPK19rocblas_complex_numIdEPKS3_PS1_EviT6_lT7_lT5_lS8_lS9_lS7_lT8_i.private_seg_size, 0
	.set _ZL26rocblas_hemvn_kernel_upperILb1ELi64ELi4ELi33ELi32ELi16ElPK19rocblas_complex_numIdEPKS3_PS1_EviT6_lT7_lT5_lS8_lS9_lS7_lT8_i.uses_vcc, 1
	.set _ZL26rocblas_hemvn_kernel_upperILb1ELi64ELi4ELi33ELi32ELi16ElPK19rocblas_complex_numIdEPKS3_PS1_EviT6_lT7_lT5_lS8_lS9_lS7_lT8_i.uses_flat_scratch, 0
	.set _ZL26rocblas_hemvn_kernel_upperILb1ELi64ELi4ELi33ELi32ELi16ElPK19rocblas_complex_numIdEPKS3_PS1_EviT6_lT7_lT5_lS8_lS9_lS7_lT8_i.has_dyn_sized_stack, 0
	.set _ZL26rocblas_hemvn_kernel_upperILb1ELi64ELi4ELi33ELi32ELi16ElPK19rocblas_complex_numIdEPKS3_PS1_EviT6_lT7_lT5_lS8_lS9_lS7_lT8_i.has_recursion, 0
	.set _ZL26rocblas_hemvn_kernel_upperILb1ELi64ELi4ELi33ELi32ELi16ElPK19rocblas_complex_numIdEPKS3_PS1_EviT6_lT7_lT5_lS8_lS9_lS7_lT8_i.has_indirect_call, 0
	.section	.AMDGPU.csdata,"",@progbits
; Kernel info:
; codeLenInByte = 11428
; TotalNumSgprs: 46
; NumVgprs: 256
; ScratchSize: 0
; MemoryBound: 1
; FloatMode: 240
; IeeeMode: 1
; LDSByteSize: 19200 bytes/workgroup (compile time only)
; SGPRBlocks: 12
; VGPRBlocks: 63
; NumSGPRsForWavesPerEU: 102
; NumVGPRsForWavesPerEU: 256
; Occupancy: 1
; WaveLimiterHint : 1
; COMPUTE_PGM_RSRC2:SCRATCH_EN: 0
; COMPUTE_PGM_RSRC2:USER_SGPR: 6
; COMPUTE_PGM_RSRC2:TRAP_HANDLER: 0
; COMPUTE_PGM_RSRC2:TGID_X_EN: 1
; COMPUTE_PGM_RSRC2:TGID_Y_EN: 0
; COMPUTE_PGM_RSRC2:TGID_Z_EN: 1
; COMPUTE_PGM_RSRC2:TIDIG_COMP_CNT: 1
	.section	.text._ZL36rocblas_hemvn_kernel_upper_block_sumILi64ElPK19rocblas_complex_numIdEPKPS1_S1_EviT1_lS7_lT2_lT0_lPT3_i,"axG",@progbits,_ZL36rocblas_hemvn_kernel_upper_block_sumILi64ElPK19rocblas_complex_numIdEPKPS1_S1_EviT1_lS7_lT2_lT0_lPT3_i,comdat
	.globl	_ZL36rocblas_hemvn_kernel_upper_block_sumILi64ElPK19rocblas_complex_numIdEPKPS1_S1_EviT1_lS7_lT2_lT0_lPT3_i ; -- Begin function _ZL36rocblas_hemvn_kernel_upper_block_sumILi64ElPK19rocblas_complex_numIdEPKPS1_S1_EviT1_lS7_lT2_lT0_lPT3_i
	.p2align	8
	.type	_ZL36rocblas_hemvn_kernel_upper_block_sumILi64ElPK19rocblas_complex_numIdEPKPS1_S1_EviT1_lS7_lT2_lT0_lPT3_i,@function
_ZL36rocblas_hemvn_kernel_upper_block_sumILi64ElPK19rocblas_complex_numIdEPKPS1_S1_EviT1_lS7_lT2_lT0_lPT3_i: ; @_ZL36rocblas_hemvn_kernel_upper_block_sumILi64ElPK19rocblas_complex_numIdEPKPS1_S1_EviT1_lS7_lT2_lT0_lPT3_i
; %bb.0:
	s_load_dwordx8 s[20:27], s[4:5], 0x8
	s_mov_b32 s18, s7
	s_waitcnt lgkmcnt(0)
	s_mul_i32 s0, s23, s7
	s_mul_hi_u32 s1, s22, s7
	s_add_i32 s1, s1, s0
	s_mul_i32 s0, s22, s7
	s_lshl_b64 s[0:1], s[0:1], 4
	s_add_u32 s0, s20, s0
	s_addc_u32 s1, s21, s1
	s_load_dwordx4 s[12:15], s[0:1], 0x0
	s_mul_i32 s7, s27, s7
	s_mul_hi_u32 s9, s26, s18
	s_mul_i32 s8, s26, s18
	s_add_i32 s9, s9, s7
	s_waitcnt lgkmcnt(0)
	v_cmp_neq_f64_e64 s[0:1], s[12:13], 0
	v_cmp_neq_f64_e64 s[2:3], s[14:15], 0
	s_lshl_b64 s[8:9], s[8:9], 4
	s_add_u32 s16, s24, s8
	s_addc_u32 s17, s25, s9
	s_load_dwordx4 s[8:11], s[16:17], 0x0
	s_or_b64 s[0:1], s[0:1], s[2:3]
	s_mov_b64 s[2:3], -1
	s_and_b64 vcc, exec, s[0:1]
	s_cbranch_vccnz .LBB49_2
; %bb.1:
	s_waitcnt lgkmcnt(0)
	v_cmp_neq_f64_e64 s[2:3], s[8:9], 1.0
	v_cmp_neq_f64_e64 s[16:17], s[10:11], 0
	s_or_b64 s[2:3], s[2:3], s[16:17]
.LBB49_2:
	s_andn2_b64 vcc, exec, s[2:3]
	s_cbranch_vccnz .LBB49_22
; %bb.3:
	s_load_dwordx2 s[16:17], s[4:5], 0x28
	s_mov_b32 s19, 0
	s_xor_b64 s[22:23], s[0:1], -1
	s_lshl_b64 s[24:25], s[18:19], 3
	s_load_dword s20, s[4:5], 0x0
	s_load_dwordx4 s[0:3], s[4:5], 0x30
	s_waitcnt lgkmcnt(0)
	s_add_u32 s16, s16, s24
	s_addc_u32 s17, s17, s25
	s_load_dwordx2 s[16:17], s[16:17], 0x0
	v_lshl_or_b32 v4, s6, 6, v0
	s_lshl_b64 s[0:1], s[0:1], 4
	s_waitcnt lgkmcnt(0)
	s_add_u32 s7, s16, s0
	s_addc_u32 s19, s17, s1
	s_andn2_b64 vcc, exec, s[22:23]
	v_cmp_gt_i32_e64 s[0:1], s20, v4
	s_cbranch_vccnz .LBB49_8
; %bb.4:
	s_mov_b64 s[22:23], 0
	s_mov_b64 s[16:17], 0
                                        ; implicit-def: $vgpr2_vgpr3
                                        ; implicit-def: $vgpr5_vgpr6
	s_and_saveexec_b64 s[24:25], s[0:1]
	s_cbranch_execz .LBB49_9
; %bb.5:
	v_cmp_neq_f64_e64 s[0:1], s[8:9], 0
	v_cmp_neq_f64_e64 s[16:17], s[10:11], 0
	v_ashrrev_i32_e32 v0, 31, v4
	v_mul_lo_u32 v7, s3, v4
	v_mad_u64_u32 v[5:6], s[26:27], s2, v4, 0
	v_mul_lo_u32 v8, s2, v0
	v_mov_b32_e32 v2, 0
	v_mov_b32_e32 v0, 0
	s_or_b64 s[0:1], s[0:1], s[16:17]
	v_mov_b32_e32 v3, 0
	s_andn2_b64 vcc, exec, s[0:1]
	v_mov_b32_e32 v1, 0
	v_add3_u32 v6, v6, v8, v7
	s_cbranch_vccnz .LBB49_7
; %bb.6:
	v_lshlrev_b64 v[0:1], 4, v[5:6]
	v_mov_b32_e32 v2, s19
	v_add_co_u32_e32 v0, vcc, s7, v0
	v_addc_co_u32_e32 v1, vcc, v2, v1, vcc
	flat_load_dwordx4 v[7:10], v[0:1]
	s_waitcnt vmcnt(0) lgkmcnt(0)
	v_mul_f64 v[0:1], s[10:11], v[9:10]
	v_mul_f64 v[2:3], s[8:9], v[9:10]
	v_fma_f64 v[0:1], s[8:9], v[7:8], -v[0:1]
	v_fma_f64 v[2:3], s[10:11], v[7:8], v[2:3]
.LBB49_7:
	s_mov_b64 s[16:17], exec
	s_or_b64 exec, exec, s[24:25]
	s_and_b64 vcc, exec, s[22:23]
	s_cbranch_vccnz .LBB49_10
	s_branch .LBB49_20
.LBB49_8:
	s_mov_b64 s[16:17], 0
                                        ; implicit-def: $vgpr2_vgpr3
                                        ; implicit-def: $vgpr5_vgpr6
	s_cbranch_execnz .LBB49_10
	s_branch .LBB49_20
.LBB49_9:
	s_or_b64 exec, exec, s[24:25]
	s_and_b64 vcc, exec, s[22:23]
	s_cbranch_vccz .LBB49_20
.LBB49_10:
	v_cmp_gt_i32_e32 vcc, s20, v4
                                        ; implicit-def: $vgpr2_vgpr3
                                        ; implicit-def: $vgpr5_vgpr6
	s_and_saveexec_b64 s[0:1], vcc
	s_cbranch_execz .LBB49_19
; %bb.11:
	v_mov_b32_e32 v0, 0
	v_mov_b32_e32 v2, 0
	;; [unrolled: 1-line block ×3, first 2 shown]
	s_cmp_lt_i32 s6, 0
	v_mov_b32_e32 v3, 0
	v_ashrrev_i32_e32 v5, 31, v4
	s_cbranch_scc1 .LBB49_14
; %bb.12:
	s_load_dwordx2 s[22:23], s[4:5], 0x48
	s_load_dword s24, s[4:5], 0x58
	s_ashr_i32 s21, s20, 31
	s_mul_hi_u32 s4, s20, s18
	s_mul_i32 s5, s21, s18
	s_add_i32 s4, s4, s5
	s_mul_i32 s18, s20, s18
	s_waitcnt lgkmcnt(0)
	s_mul_i32 s4, s4, s24
	s_mul_hi_u32 s5, s18, s24
	s_add_i32 s5, s5, s4
	s_mul_i32 s4, s18, s24
	s_add_i32 s6, s6, 1
	s_lshl_b64 s[4:5], s[4:5], 4
	v_lshlrev_b64 v[0:1], 4, v[4:5]
	s_add_u32 s4, s22, s4
	s_addc_u32 s5, s23, s5
	v_mov_b32_e32 v2, s5
	v_add_co_u32_e32 v0, vcc, s4, v0
	v_addc_co_u32_e32 v1, vcc, v2, v1, vcc
	v_add_co_u32_e32 v6, vcc, 8, v0
	v_addc_co_u32_e32 v7, vcc, 0, v1, vcc
	s_lshl_b64 s[4:5], s[20:21], 4
	v_mov_b32_e32 v0, 0
	v_mov_b32_e32 v2, 0
	;; [unrolled: 1-line block ×5, first 2 shown]
.LBB49_13:                              ; =>This Inner Loop Header: Depth=1
	global_load_dwordx4 v[9:12], v[6:7], off offset:-8
	s_add_i32 s6, s6, -1
	v_add_co_u32_e32 v6, vcc, s4, v6
	s_cmp_eq_u32 s6, 0
	v_addc_co_u32_e32 v7, vcc, v7, v8, vcc
	s_waitcnt vmcnt(0)
	v_add_f64 v[2:3], v[2:3], v[9:10]
	v_add_f64 v[0:1], v[0:1], v[11:12]
	s_cbranch_scc0 .LBB49_13
.LBB49_14:
	v_mul_f64 v[6:7], s[14:15], v[0:1]
	v_mul_f64 v[8:9], s[12:13], v[0:1]
	v_cmp_neq_f64_e64 s[4:5], s[8:9], 0
	v_cmp_neq_f64_e64 s[20:21], s[10:11], 0
	v_fma_f64 v[0:1], s[12:13], v[2:3], -v[6:7]
	v_fma_f64 v[2:3], s[14:15], v[2:3], v[8:9]
	v_mul_lo_u32 v7, s3, v4
	v_mul_lo_u32 v8, s2, v5
	s_or_b64 s[4:5], s[4:5], s[20:21]
	s_andn2_b64 vcc, exec, s[4:5]
	s_mov_b64 s[4:5], 0
	s_cbranch_vccz .LBB49_16
; %bb.15:
	v_mad_u64_u32 v[5:6], s[12:13], s2, v4, 0
	v_add3_u32 v6, v6, v8, v7
	s_andn2_b64 vcc, exec, s[4:5]
	s_cbranch_vccz .LBB49_17
	s_branch .LBB49_18
.LBB49_16:
                                        ; implicit-def: $vgpr5_vgpr6
.LBB49_17:
	v_mad_u64_u32 v[5:6], s[2:3], s2, v4, 0
	v_mov_b32_e32 v4, s19
	v_add3_u32 v6, v6, v8, v7
	v_lshlrev_b64 v[7:8], 4, v[5:6]
	v_add_co_u32_e32 v7, vcc, s7, v7
	v_addc_co_u32_e32 v8, vcc, v4, v8, vcc
	flat_load_dwordx4 v[7:10], v[7:8]
	s_waitcnt vmcnt(0) lgkmcnt(0)
	v_mul_f64 v[11:12], s[10:11], v[9:10]
	v_mul_f64 v[9:10], s[8:9], v[9:10]
	v_fma_f64 v[11:12], s[8:9], v[7:8], -v[11:12]
	v_fma_f64 v[7:8], s[10:11], v[7:8], v[9:10]
	v_add_f64 v[0:1], v[0:1], v[11:12]
	v_add_f64 v[2:3], v[2:3], v[7:8]
.LBB49_18:
	s_or_b64 s[16:17], s[16:17], exec
.LBB49_19:
	s_or_b64 exec, exec, s[0:1]
.LBB49_20:
	s_and_saveexec_b64 s[0:1], s[16:17]
	s_cbranch_execz .LBB49_22
; %bb.21:
	v_lshlrev_b64 v[4:5], 4, v[5:6]
	v_mov_b32_e32 v6, s19
	v_add_co_u32_e32 v4, vcc, s7, v4
	v_addc_co_u32_e32 v5, vcc, v6, v5, vcc
	flat_store_dwordx4 v[4:5], v[0:3]
.LBB49_22:
	s_endpgm
	.section	.rodata,"a",@progbits
	.p2align	6, 0x0
	.amdhsa_kernel _ZL36rocblas_hemvn_kernel_upper_block_sumILi64ElPK19rocblas_complex_numIdEPKPS1_S1_EviT1_lS7_lT2_lT0_lPT3_i
		.amdhsa_group_segment_fixed_size 0
		.amdhsa_private_segment_fixed_size 0
		.amdhsa_kernarg_size 344
		.amdhsa_user_sgpr_count 6
		.amdhsa_user_sgpr_private_segment_buffer 1
		.amdhsa_user_sgpr_dispatch_ptr 0
		.amdhsa_user_sgpr_queue_ptr 0
		.amdhsa_user_sgpr_kernarg_segment_ptr 1
		.amdhsa_user_sgpr_dispatch_id 0
		.amdhsa_user_sgpr_flat_scratch_init 0
		.amdhsa_user_sgpr_private_segment_size 0
		.amdhsa_uses_dynamic_stack 0
		.amdhsa_system_sgpr_private_segment_wavefront_offset 0
		.amdhsa_system_sgpr_workgroup_id_x 1
		.amdhsa_system_sgpr_workgroup_id_y 0
		.amdhsa_system_sgpr_workgroup_id_z 1
		.amdhsa_system_sgpr_workgroup_info 0
		.amdhsa_system_vgpr_workitem_id 0
		.amdhsa_next_free_vgpr 13
		.amdhsa_next_free_sgpr 28
		.amdhsa_reserve_vcc 1
		.amdhsa_reserve_flat_scratch 0
		.amdhsa_float_round_mode_32 0
		.amdhsa_float_round_mode_16_64 0
		.amdhsa_float_denorm_mode_32 3
		.amdhsa_float_denorm_mode_16_64 3
		.amdhsa_dx10_clamp 1
		.amdhsa_ieee_mode 1
		.amdhsa_fp16_overflow 0
		.amdhsa_exception_fp_ieee_invalid_op 0
		.amdhsa_exception_fp_denorm_src 0
		.amdhsa_exception_fp_ieee_div_zero 0
		.amdhsa_exception_fp_ieee_overflow 0
		.amdhsa_exception_fp_ieee_underflow 0
		.amdhsa_exception_fp_ieee_inexact 0
		.amdhsa_exception_int_div_zero 0
	.end_amdhsa_kernel
	.section	.text._ZL36rocblas_hemvn_kernel_upper_block_sumILi64ElPK19rocblas_complex_numIdEPKPS1_S1_EviT1_lS7_lT2_lT0_lPT3_i,"axG",@progbits,_ZL36rocblas_hemvn_kernel_upper_block_sumILi64ElPK19rocblas_complex_numIdEPKPS1_S1_EviT1_lS7_lT2_lT0_lPT3_i,comdat
.Lfunc_end49:
	.size	_ZL36rocblas_hemvn_kernel_upper_block_sumILi64ElPK19rocblas_complex_numIdEPKPS1_S1_EviT1_lS7_lT2_lT0_lPT3_i, .Lfunc_end49-_ZL36rocblas_hemvn_kernel_upper_block_sumILi64ElPK19rocblas_complex_numIdEPKPS1_S1_EviT1_lS7_lT2_lT0_lPT3_i
                                        ; -- End function
	.set _ZL36rocblas_hemvn_kernel_upper_block_sumILi64ElPK19rocblas_complex_numIdEPKPS1_S1_EviT1_lS7_lT2_lT0_lPT3_i.num_vgpr, 13
	.set _ZL36rocblas_hemvn_kernel_upper_block_sumILi64ElPK19rocblas_complex_numIdEPKPS1_S1_EviT1_lS7_lT2_lT0_lPT3_i.num_agpr, 0
	.set _ZL36rocblas_hemvn_kernel_upper_block_sumILi64ElPK19rocblas_complex_numIdEPKPS1_S1_EviT1_lS7_lT2_lT0_lPT3_i.numbered_sgpr, 28
	.set _ZL36rocblas_hemvn_kernel_upper_block_sumILi64ElPK19rocblas_complex_numIdEPKPS1_S1_EviT1_lS7_lT2_lT0_lPT3_i.num_named_barrier, 0
	.set _ZL36rocblas_hemvn_kernel_upper_block_sumILi64ElPK19rocblas_complex_numIdEPKPS1_S1_EviT1_lS7_lT2_lT0_lPT3_i.private_seg_size, 0
	.set _ZL36rocblas_hemvn_kernel_upper_block_sumILi64ElPK19rocblas_complex_numIdEPKPS1_S1_EviT1_lS7_lT2_lT0_lPT3_i.uses_vcc, 1
	.set _ZL36rocblas_hemvn_kernel_upper_block_sumILi64ElPK19rocblas_complex_numIdEPKPS1_S1_EviT1_lS7_lT2_lT0_lPT3_i.uses_flat_scratch, 0
	.set _ZL36rocblas_hemvn_kernel_upper_block_sumILi64ElPK19rocblas_complex_numIdEPKPS1_S1_EviT1_lS7_lT2_lT0_lPT3_i.has_dyn_sized_stack, 0
	.set _ZL36rocblas_hemvn_kernel_upper_block_sumILi64ElPK19rocblas_complex_numIdEPKPS1_S1_EviT1_lS7_lT2_lT0_lPT3_i.has_recursion, 0
	.set _ZL36rocblas_hemvn_kernel_upper_block_sumILi64ElPK19rocblas_complex_numIdEPKPS1_S1_EviT1_lS7_lT2_lT0_lPT3_i.has_indirect_call, 0
	.section	.AMDGPU.csdata,"",@progbits
; Kernel info:
; codeLenInByte = 920
; TotalNumSgprs: 32
; NumVgprs: 13
; ScratchSize: 0
; MemoryBound: 0
; FloatMode: 240
; IeeeMode: 1
; LDSByteSize: 0 bytes/workgroup (compile time only)
; SGPRBlocks: 3
; VGPRBlocks: 3
; NumSGPRsForWavesPerEU: 32
; NumVGPRsForWavesPerEU: 13
; Occupancy: 10
; WaveLimiterHint : 1
; COMPUTE_PGM_RSRC2:SCRATCH_EN: 0
; COMPUTE_PGM_RSRC2:USER_SGPR: 6
; COMPUTE_PGM_RSRC2:TRAP_HANDLER: 0
; COMPUTE_PGM_RSRC2:TGID_X_EN: 1
; COMPUTE_PGM_RSRC2:TGID_Y_EN: 0
; COMPUTE_PGM_RSRC2:TGID_Z_EN: 1
; COMPUTE_PGM_RSRC2:TIDIG_COMP_CNT: 0
	.section	.text._ZL26rocblas_hemvn_kernel_upperILb1ELi64ELi4ELi33ELi32ELi16EiPK19rocblas_complex_numIdEPKS3_PS1_EviT6_lT7_lT5_lS8_lS9_lS7_lT8_i,"axG",@progbits,_ZL26rocblas_hemvn_kernel_upperILb1ELi64ELi4ELi33ELi32ELi16EiPK19rocblas_complex_numIdEPKS3_PS1_EviT6_lT7_lT5_lS8_lS9_lS7_lT8_i,comdat
	.globl	_ZL26rocblas_hemvn_kernel_upperILb1ELi64ELi4ELi33ELi32ELi16EiPK19rocblas_complex_numIdEPKS3_PS1_EviT6_lT7_lT5_lS8_lS9_lS7_lT8_i ; -- Begin function _ZL26rocblas_hemvn_kernel_upperILb1ELi64ELi4ELi33ELi32ELi16EiPK19rocblas_complex_numIdEPKS3_PS1_EviT6_lT7_lT5_lS8_lS9_lS7_lT8_i
	.p2align	8
	.type	_ZL26rocblas_hemvn_kernel_upperILb1ELi64ELi4ELi33ELi32ELi16EiPK19rocblas_complex_numIdEPKS3_PS1_EviT6_lT7_lT5_lS8_lS9_lS7_lT8_i,@function
_ZL26rocblas_hemvn_kernel_upperILb1ELi64ELi4ELi33ELi32ELi16EiPK19rocblas_complex_numIdEPKS3_PS1_EviT6_lT7_lT5_lS8_lS9_lS7_lT8_i: ; @_ZL26rocblas_hemvn_kernel_upperILb1ELi64ELi4ELi33ELi32ELi16EiPK19rocblas_complex_numIdEPKS3_PS1_EviT6_lT7_lT5_lS8_lS9_lS7_lT8_i
; %bb.0:
	s_load_dwordx2 s[0:1], s[4:5], 0x84
	s_add_u32 s16, s4, 0x78
	s_addc_u32 s17, s5, 0
	s_waitcnt lgkmcnt(0)
	s_lshr_b32 s2, s0, 16
	s_and_b32 s0, s0, 0xffff
	s_and_b32 s1, s1, 0xffff
	s_mul_i32 s0, s2, s0
	s_mul_i32 s0, s0, s1
	s_cmpk_lg_i32 s0, 0x100
	s_cbranch_scc1 .LBB50_201
; %bb.1:
	s_load_dwordx8 s[8:15], s[4:5], 0x8
	s_mov_b32 s20, s7
	s_mov_b32 s21, 0
	s_waitcnt lgkmcnt(0)
	s_mul_i32 s1, s11, s7
	s_mul_hi_u32 s2, s10, s7
	s_mul_i32 s0, s10, s7
	s_add_i32 s1, s2, s1
	s_lshl_b64 s[0:1], s[0:1], 4
	s_add_u32 s8, s8, s0
	s_addc_u32 s9, s9, s1
	s_load_dwordx4 s[0:3], s[8:9], 0x0
	s_waitcnt lgkmcnt(0)
	v_cmp_neq_f64_e64 s[8:9], s[0:1], 0
	v_cmp_neq_f64_e64 s[10:11], s[2:3], 0
	s_load_dwordx2 s[22:23], s[4:5], 0x68
	s_load_dwordx4 s[0:3], s[4:5], 0x58
	s_or_b64 s[10:11], s[8:9], s[10:11]
	s_mov_b64 s[8:9], -1
	s_and_b64 vcc, exec, s[10:11]
	s_cbranch_vccnz .LBB50_3
; %bb.2:
	s_waitcnt lgkmcnt(0)
	s_mul_i32 s3, s3, s20
	s_mul_hi_u32 s7, s2, s20
	s_add_i32 s3, s7, s3
	s_mul_i32 s2, s2, s20
	s_lshl_b64 s[2:3], s[2:3], 4
	s_add_u32 s8, s0, s2
	s_addc_u32 s9, s1, s3
	s_load_dwordx4 s[0:3], s[8:9], 0x0
	s_mov_b64 s[8:9], 0
	s_waitcnt lgkmcnt(0)
	v_cmp_eq_f64_e64 s[0:1], s[0:1], 1.0
	v_cmp_eq_f64_e64 s[2:3], s[2:3], 0
	s_and_b64 s[0:1], s[0:1], s[2:3]
	s_andn2_b64 vcc, exec, s[0:1]
.LBB50_3:
	s_andn2_b64 vcc, exec, s[8:9]
	s_cbranch_vccnz .LBB50_201
; %bb.4:
	s_load_dwordx4 s[8:11], s[4:5], 0x38
	s_load_dword s40, s[4:5], 0x48
	s_waitcnt lgkmcnt(0)
	s_lshl_b64 s[0:1], s[20:21], 3
	s_add_u32 s12, s12, s0
	s_addc_u32 s13, s13, s1
	s_add_u32 s0, s8, s0
	s_addc_u32 s1, s9, s1
	s_load_dwordx2 s[8:9], s[0:1], 0x0
	s_load_dword s21, s[4:5], 0x0
	s_load_dword s7, s[16:17], 0x0
	s_load_dwordx2 s[2:3], s[12:13], 0x0
	s_lshl_b64 s[0:1], s[10:11], 4
	s_waitcnt lgkmcnt(0)
	s_add_u32 s0, s8, s0
	s_addc_u32 s1, s9, s1
	s_lshl_b32 s26, s6, 6
	v_add_u32_e32 v167, s26, v0
	v_mul_lo_u32 v2, s40, v167
	s_ashr_i32 s41, s21, 31
	s_lshr_b32 s9, s41, 26
	s_add_i32 s9, s21, s9
	v_ashrrev_i32_e32 v3, 31, v2
	s_andn2_b32 s9, s9, 63
	v_lshlrev_b64 v[2:3], 4, v[2:3]
	s_add_i32 s8, s7, -1
	s_sub_i32 s33, s21, s9
	s_cmp_eq_u32 s6, s8
	v_mov_b32_e32 v4, s1
	v_add_co_u32_e32 v38, vcc, s0, v2
	s_cselect_b32 s16, s33, 0
	v_addc_co_u32_e32 v39, vcc, v4, v3, vcc
	v_cmp_eq_u32_e64 s[0:1], 0, v1
	s_and_saveexec_b64 s[8:9], s[0:1]
	s_cbranch_execz .LBB50_9
; %bb.5:
	s_cmp_lg_u32 s16, 0
	s_cselect_b64 s[10:11], -1, 0
	v_cmp_le_i32_e32 vcc, s16, v0
	v_mov_b32_e32 v2, 0x4700
	s_and_b64 s[10:11], s[10:11], vcc
	v_lshl_add_u32 v2, v0, 4, v2
	s_and_saveexec_b64 s[12:13], s[10:11]
	s_xor_b64 s[10:11], exec, s[12:13]
; %bb.6:
	v_mov_b32_e32 v3, 0
	v_mov_b32_e32 v4, v3
	;; [unrolled: 1-line block ×4, first 2 shown]
	ds_write_b128 v2, v[3:6]
                                        ; implicit-def: $vgpr2
; %bb.7:
	s_andn2_saveexec_b64 s[10:11], s[10:11]
	s_cbranch_execz .LBB50_9
; %bb.8:
	flat_load_dwordx4 v[3:6], v[38:39]
	s_waitcnt vmcnt(0) lgkmcnt(0)
	ds_write2_b64 v2, v[3:4], v[5:6] offset1:1
.LBB50_9:
	s_or_b64 exec, exec, s[8:9]
	s_load_dword s24, s[4:5], 0x28
	s_lshl_b64 s[8:9], s[14:15], 4
	v_lshl_add_u32 v44, v1, 6, v0
	s_add_u32 s8, s2, s8
	v_and_b32_e32 v10, 31, v0
	v_lshrrev_b32_e32 v13, 5, v44
	s_addc_u32 s9, s3, s9
	s_waitcnt lgkmcnt(0)
	v_mad_u64_u32 v[2:3], s[2:3], s24, v13, v[10:11]
	s_ashr_i32 s27, s26, 31
	s_lshl_b64 s[2:3], s[26:27], 4
	v_ashrrev_i32_e32 v3, 31, v2
	v_lshlrev_b64 v[40:41], 4, v[2:3]
	s_add_u32 s2, s8, s2
	s_addc_u32 s3, s9, s3
	v_add_co_u32_e32 v3, vcc, s2, v40
	s_mul_i32 s2, s24, s26
	v_mov_b32_e32 v2, s3
	s_ashr_i32 s3, s2, 31
	s_lshl_b64 s[2:3], s[2:3], 4
	v_addc_co_u32_e32 v4, vcc, v2, v41, vcc
	s_cmp_eq_u32 s16, 0
	v_mov_b32_e32 v5, s3
	v_add_co_u32_e32 v2, vcc, s2, v3
	s_cselect_b64 s[18:19], -1, 0
	s_cmp_lg_u32 s16, 0
	v_addc_co_u32_e32 v3, vcc, v4, v5, vcc
	s_cselect_b64 s[30:31], -1, 0
	s_and_b64 vcc, exec, s[30:31]
	v_cmp_gt_i32_e64 s[2:3], s16, v10
	v_lshlrev_b32_e32 v14, 4, v10
	s_cbranch_vccz .LBB50_27
; %bb.10:
	v_sub_co_u32_e32 v4, vcc, v2, v14
	s_ashr_i32 s17, s16, 31
	v_subbrev_co_u32_e32 v5, vcc, 0, v3, vcc
	s_lshl_b64 s[4:5], s[16:17], 4
	v_mov_b32_e32 v6, s5
	v_add_co_u32_e32 v4, vcc, s4, v4
	v_addc_co_u32_e32 v5, vcc, v5, v6, vcc
	v_add_co_u32_e32 v4, vcc, -16, v4
	v_addc_co_u32_e32 v5, vcc, -1, v5, vcc
	s_movk_i32 s8, 0x210
	v_cndmask_b32_e64 v5, v5, v3, s[2:3]
	v_cndmask_b32_e64 v4, v4, v2, s[2:3]
	v_cmp_le_i32_e32 vcc, s16, v13
	v_mad_u32_u24 v7, v13, s8, v14
	s_and_saveexec_b64 s[8:9], vcc
	s_xor_b64 s[8:9], exec, s[8:9]
; %bb.11:
	v_mov_b32_e32 v15, 0
	v_mov_b32_e32 v16, v15
	;; [unrolled: 1-line block ×4, first 2 shown]
	ds_write_b128 v7, v[15:18]
                                        ; implicit-def: $vgpr7
; %bb.12:
	s_or_saveexec_b64 s[8:9], s[8:9]
	v_mul_u32_u24_e32 v6, 0x210, v13
	s_xor_b64 exec, exec, s[8:9]
	s_cbranch_execz .LBB50_14
; %bb.13:
	flat_load_dwordx4 v[15:18], v[4:5]
	s_waitcnt vmcnt(0) lgkmcnt(0)
	ds_write2_b64 v7, v[15:16], v[17:18] offset1:1
.LBB50_14:
	s_or_b64 exec, exec, s[8:9]
	v_add_u32_e32 v7, 8, v13
	v_cmp_le_i32_e32 vcc, s16, v7
	v_add_u32_e32 v7, v6, v14
	s_and_saveexec_b64 s[8:9], vcc
	s_xor_b64 s[8:9], exec, s[8:9]
; %bb.15:
	v_mov_b32_e32 v15, 0
	v_mov_b32_e32 v16, v15
	;; [unrolled: 1-line block ×4, first 2 shown]
	ds_write_b128 v7, v[15:18] offset:4224
; %bb.16:
	s_andn2_saveexec_b64 s[8:9], s[8:9]
	s_cbranch_execz .LBB50_18
; %bb.17:
	s_lshl_b32 s10, s24, 3
	s_ashr_i32 s11, s10, 31
	s_lshl_b64 s[10:11], s[10:11], 4
	v_mov_b32_e32 v9, s11
	v_add_co_u32_e32 v8, vcc, s10, v4
	v_addc_co_u32_e32 v9, vcc, v5, v9, vcc
	flat_load_dwordx4 v[15:18], v[8:9]
	s_movk_i32 s10, 0x1080
	v_add3_u32 v8, v6, v14, s10
	s_waitcnt vmcnt(0) lgkmcnt(0)
	ds_write2_b64 v8, v[15:16], v[17:18] offset1:1
.LBB50_18:
	s_or_b64 exec, exec, s[8:9]
	v_add_u32_e32 v8, 16, v13
	v_cmp_le_i32_e32 vcc, s16, v8
	s_and_saveexec_b64 s[8:9], vcc
	s_xor_b64 s[8:9], exec, s[8:9]
; %bb.19:
	v_mov_b32_e32 v15, 0
	v_mov_b32_e32 v16, v15
	;; [unrolled: 1-line block ×4, first 2 shown]
	ds_write_b128 v7, v[15:18] offset:8448
; %bb.20:
	s_andn2_saveexec_b64 s[8:9], s[8:9]
	s_cbranch_execz .LBB50_22
; %bb.21:
	s_lshl_b32 s10, s24, 4
	s_ashr_i32 s11, s10, 31
	s_lshl_b64 s[10:11], s[10:11], 4
	v_mov_b32_e32 v9, s11
	v_add_co_u32_e32 v8, vcc, s10, v4
	v_addc_co_u32_e32 v9, vcc, v5, v9, vcc
	flat_load_dwordx4 v[15:18], v[8:9]
	s_movk_i32 s10, 0x2100
	v_add3_u32 v8, v6, v14, s10
	s_waitcnt vmcnt(0) lgkmcnt(0)
	ds_write2_b64 v8, v[15:16], v[17:18] offset1:1
.LBB50_22:
	s_or_b64 exec, exec, s[8:9]
	v_add_u32_e32 v8, 24, v13
	v_cmp_le_i32_e32 vcc, s16, v8
	s_and_saveexec_b64 s[8:9], vcc
	s_xor_b64 s[8:9], exec, s[8:9]
; %bb.23:
	v_mov_b32_e32 v15, 0
	v_mov_b32_e32 v16, v15
	;; [unrolled: 1-line block ×4, first 2 shown]
	ds_write_b128 v7, v[15:18] offset:12672
                                        ; implicit-def: $vgpr6
; %bb.24:
	s_andn2_saveexec_b64 s[8:9], s[8:9]
	s_cbranch_execz .LBB50_26
; %bb.25:
	s_mul_i32 s10, s24, 24
	s_ashr_i32 s11, s10, 31
	s_lshl_b64 s[10:11], s[10:11], 4
	v_mov_b32_e32 v8, s11
	v_add_co_u32_e32 v7, vcc, s10, v4
	v_addc_co_u32_e32 v8, vcc, v5, v8, vcc
	flat_load_dwordx4 v[15:18], v[7:8]
	s_movk_i32 s10, 0x3180
	v_add3_u32 v6, v6, v14, s10
	s_waitcnt vmcnt(0) lgkmcnt(0)
	ds_write2_b64 v6, v[15:16], v[17:18] offset1:1
.LBB50_26:
	s_or_b64 exec, exec, s[8:9]
	v_add_co_u32_e32 v4, vcc, v4, v14
	v_addc_co_u32_e32 v5, vcc, 0, v5, vcc
	v_mov_b32_e32 v6, s5
	v_subrev_co_u32_e32 v4, vcc, s4, v4
	v_subb_co_u32_e32 v5, vcc, v5, v6, vcc
	v_add_co_u32_e32 v4, vcc, 16, v4
	v_addc_co_u32_e32 v5, vcc, 0, v5, vcc
	v_cndmask_b32_e64 v7, v5, v3, s[2:3]
	v_cndmask_b32_e64 v6, v4, v2, s[2:3]
	s_branch .LBB50_29
.LBB50_27:
                                        ; implicit-def: $vgpr6_vgpr7
	s_cbranch_execz .LBB50_29
; %bb.28:
	flat_load_dwordx4 v[4:7], v[2:3]
	s_lshl_b32 s2, s24, 3
	s_ashr_i32 s3, s2, 31
	v_mul_u32_u24_e32 v8, 0x210, v13
	s_lshl_b64 s[2:3], s[2:3], 4
	v_lshl_add_u32 v11, v10, 4, v8
	v_mov_b32_e32 v9, s3
	v_add_co_u32_e32 v8, vcc, s2, v2
	v_addc_co_u32_e32 v9, vcc, v3, v9, vcc
	s_ashr_i32 s25, s24, 31
	s_lshl_b64 s[2:3], s[24:25], 7
	v_add_u32_e32 v12, 0x1080, v11
	v_mov_b32_e32 v15, s3
	s_waitcnt vmcnt(0) lgkmcnt(0)
	ds_write2_b64 v11, v[4:5], v[6:7] offset1:1
	flat_load_dwordx4 v[4:7], v[8:9]
	v_add_co_u32_e32 v8, vcc, s2, v8
	v_addc_co_u32_e32 v9, vcc, v9, v15, vcc
	s_waitcnt vmcnt(0) lgkmcnt(0)
	ds_write2_b64 v12, v[4:5], v[6:7] offset1:1
	flat_load_dwordx4 v[4:7], v[8:9]
	v_add_u32_e32 v12, 0x2100, v11
	v_add_co_u32_e32 v8, vcc, s2, v8
	v_addc_co_u32_e32 v9, vcc, v9, v15, vcc
	s_waitcnt vmcnt(0) lgkmcnt(0)
	ds_write2_b64 v12, v[4:5], v[6:7] offset1:1
	flat_load_dwordx4 v[4:7], v[8:9]
	v_add_u32_e32 v8, 0x3180, v11
	s_waitcnt vmcnt(0) lgkmcnt(0)
	ds_write2_b64 v8, v[4:5], v[6:7] offset1:1
	v_mov_b32_e32 v7, v3
	v_mov_b32_e32 v6, v2
.LBB50_29:
	v_lshlrev_b32_e32 v17, 2, v13
	v_mul_u32_u24_e32 v15, 0x210, v10
	v_cmp_le_u32_e64 s[4:5], v17, v10
	s_mov_b64 s[2:3], 0
	s_waitcnt lgkmcnt(0)
	s_barrier
                                        ; implicit-def: $vgpr2
	s_and_saveexec_b64 s[8:9], s[4:5]
	s_xor_b64 s[8:9], exec, s[8:9]
	s_cbranch_execz .LBB50_33
; %bb.30:
	v_cmp_eq_u32_e32 vcc, v17, v10
                                        ; implicit-def: $vgpr2
	s_and_saveexec_b64 s[10:11], vcc
	s_xor_b64 s[10:11], exec, s[10:11]
; %bb.31:
	s_mov_b64 s[2:3], exec
	v_add_u32_e32 v2, v14, v15
; %bb.32:
	s_or_b64 exec, exec, s[10:11]
	s_and_b64 s[2:3], s[2:3], exec
.LBB50_33:
	s_or_saveexec_b64 s[8:9], s[8:9]
	v_lshl_or_b32 v3, v10, 9, v14
	v_mov_b32_e32 v4, 0
	v_mov_b32_e32 v5, 0
	v_lshl_add_u32 v8, v17, 4, v3
	s_xor_b64 exec, exec, s[8:9]
	s_cbranch_execz .LBB50_35
; %bb.34:
	s_movk_i32 s10, 0x840
	v_mad_u32_u24 v2, v13, s10, v14
	ds_read_b128 v[2:5], v2
	s_or_b64 s[2:3], s[2:3], exec
	s_waitcnt lgkmcnt(0)
	v_xor_b32_e32 v5, 0x80000000, v5
	ds_write_b64 v8, v[2:3]
	v_mov_b32_e32 v2, v8
.LBB50_35:
	s_or_b64 exec, exec, s[8:9]
	s_and_saveexec_b64 s[8:9], s[2:3]
; %bb.36:
	ds_write_b64 v2, v[4:5] offset:8
; %bb.37:
	s_or_b64 exec, exec, s[8:9]
	v_or_b32_e32 v18, 1, v17
	v_cmp_ge_u32_e64 s[14:15], v17, v10
	s_mov_b64 s[2:3], 0
                                        ; implicit-def: $vgpr4_vgpr5
                                        ; implicit-def: $vgpr9
	s_and_saveexec_b64 s[8:9], s[14:15]
	s_xor_b64 s[8:9], exec, s[8:9]
	s_cbranch_execz .LBB50_77
; %bb.38:
	s_movk_i32 s10, 0x210
	v_mad_u32_u24 v2, v18, s10, v14
	ds_read_b128 v[2:5], v2
	s_mov_b64 s[2:3], exec
	v_add_u32_e32 v9, 16, v8
	s_waitcnt lgkmcnt(0)
	v_xor_b32_e32 v5, 0x80000000, v5
	ds_write_b64 v8, v[2:3] offset:16
	s_andn2_saveexec_b64 s[8:9], s[8:9]
	s_cbranch_execnz .LBB50_78
.LBB50_39:
	s_or_b64 exec, exec, s[8:9]
	s_and_saveexec_b64 s[8:9], s[2:3]
.LBB50_40:
	ds_write_b64 v9, v[4:5] offset:8
.LBB50_41:
	s_or_b64 exec, exec, s[8:9]
	v_or_b32_e32 v19, 2, v17
	v_cmp_le_u32_e64 s[8:9], v19, v10
	s_mov_b64 s[2:3], 0
                                        ; implicit-def: $vgpr9
	s_and_saveexec_b64 s[10:11], s[8:9]
	s_xor_b64 s[10:11], exec, s[10:11]
	s_cbranch_execz .LBB50_45
; %bb.42:
	v_cmp_eq_u32_e32 vcc, v19, v10
                                        ; implicit-def: $vgpr9
	s_and_saveexec_b64 s[12:13], vcc
; %bb.43:
	s_mov_b64 s[2:3], exec
	v_add_u32_e32 v9, v14, v15
; %bb.44:
	s_or_b64 exec, exec, s[12:13]
	s_and_b64 s[2:3], s[2:3], exec
.LBB50_45:
	s_or_saveexec_b64 s[10:11], s[10:11]
	v_mov_b32_e32 v4, 0
	v_mov_b32_e32 v5, 0
	s_xor_b64 exec, exec, s[10:11]
	s_cbranch_execz .LBB50_47
; %bb.46:
	s_movk_i32 s12, 0x210
	v_mad_u32_u24 v2, v19, s12, v14
	ds_read_b128 v[2:5], v2
	v_add_u32_e32 v9, 32, v8
	s_or_b64 s[2:3], s[2:3], exec
	s_waitcnt lgkmcnt(0)
	v_xor_b32_e32 v5, 0x80000000, v5
	ds_write_b64 v8, v[2:3] offset:32
.LBB50_47:
	s_or_b64 exec, exec, s[10:11]
	s_and_saveexec_b64 s[10:11], s[2:3]
; %bb.48:
	ds_write_b64 v9, v[4:5] offset:8
; %bb.49:
	s_or_b64 exec, exec, s[10:11]
	v_or_b32_e32 v20, 3, v17
	v_cmp_le_u32_e64 s[10:11], v20, v10
	s_mov_b64 s[2:3], 0
                                        ; implicit-def: $vgpr9
	s_and_saveexec_b64 s[12:13], s[10:11]
	s_xor_b64 s[12:13], exec, s[12:13]
	s_cbranch_execz .LBB50_53
; %bb.50:
	v_cmp_eq_u32_e32 vcc, v20, v10
                                        ; implicit-def: $vgpr9
	s_and_saveexec_b64 s[28:29], vcc
; %bb.51:
	s_mov_b64 s[2:3], exec
	v_add_u32_e32 v9, v14, v15
; %bb.52:
	s_or_b64 exec, exec, s[28:29]
	s_and_b64 s[2:3], s[2:3], exec
                                        ; implicit-def: $vgpr8
.LBB50_53:
	s_or_saveexec_b64 s[12:13], s[12:13]
	v_mov_b32_e32 v4, 0
	v_mov_b32_e32 v5, 0
	s_xor_b64 exec, exec, s[12:13]
	s_cbranch_execz .LBB50_55
; %bb.54:
	s_movk_i32 s17, 0x210
	v_mad_u32_u24 v2, v20, s17, v14
	ds_read_b128 v[2:5], v2
	v_add_u32_e32 v9, 48, v8
	s_or_b64 s[2:3], s[2:3], exec
	s_waitcnt lgkmcnt(0)
	v_xor_b32_e32 v5, 0x80000000, v5
	ds_write_b64 v8, v[2:3] offset:48
.LBB50_55:
	s_or_b64 exec, exec, s[12:13]
	s_and_saveexec_b64 s[12:13], s[2:3]
; %bb.56:
	ds_write_b64 v9, v[4:5] offset:8
; %bb.57:
	s_or_b64 exec, exec, s[12:13]
	s_movk_i32 s2, 0x840
	v_lshlrev_b32_e32 v21, 4, v17
	s_waitcnt lgkmcnt(0)
	s_barrier
	v_mad_u32_u24 v8, v13, s2, v14
	ds_read_b128 v[2:5], v21 offset:18176
	ds_read_b128 v[22:25], v8
	ds_read_b128 v[26:29], v21 offset:18192
	s_movk_i32 s2, 0x210
	v_mad_u32_u24 v16, v18, s2, v14
	ds_read_b128 v[30:33], v16
	ds_read_b128 v[45:48], v16 offset:528
	s_waitcnt lgkmcnt(3)
	v_mul_f64 v[8:9], v[4:5], v[24:25]
	v_mul_f64 v[11:12], v[2:3], v[24:25]
	ds_read_b128 v[34:37], v21 offset:18208
	s_waitcnt lgkmcnt(2)
	v_mul_f64 v[42:43], v[28:29], v[32:33]
	v_mul_f64 v[32:33], v[26:27], v[32:33]
	v_cmp_gt_u32_e64 s[2:3], 32, v44
	v_fma_f64 v[8:9], v[2:3], v[22:23], -v[8:9]
	v_fma_f64 v[11:12], v[4:5], v[22:23], v[11:12]
	ds_read_b128 v[2:5], v21 offset:18224
	ds_read_b128 v[22:25], v16 offset:1056
	v_fma_f64 v[26:27], v[26:27], v[30:31], -v[42:43]
	s_waitcnt lgkmcnt(2)
	v_mul_f64 v[42:43], v[36:37], v[47:48]
	v_fma_f64 v[28:29], v[28:29], v[30:31], v[32:33]
	v_mul_f64 v[30:31], v[34:35], v[47:48]
	s_waitcnt lgkmcnt(0)
	v_mul_f64 v[32:33], v[4:5], v[24:25]
	v_add_f64 v[8:9], v[8:9], 0
	v_add_f64 v[11:12], v[11:12], 0
	v_mul_f64 v[24:25], v[2:3], v[24:25]
	v_fma_f64 v[34:35], v[34:35], v[45:46], -v[42:43]
	s_barrier
	v_add_f64 v[8:9], v[8:9], v[26:27]
	v_fma_f64 v[26:27], v[36:37], v[45:46], v[30:31]
	v_add_f64 v[11:12], v[11:12], v[28:29]
	v_fma_f64 v[28:29], v[2:3], v[22:23], -v[32:33]
	v_fma_f64 v[4:5], v[4:5], v[22:23], v[24:25]
	v_mov_b32_e32 v2, 0
	v_mov_b32_e32 v3, 0
	v_add_f64 v[8:9], v[8:9], v[34:35]
	v_add_f64 v[11:12], v[11:12], v[26:27]
	;; [unrolled: 1-line block ×3, first 2 shown]
	v_mul_u32_u24_e32 v8, 33, v10
	v_add_f64 v[24:25], v[11:12], v[4:5]
	v_mov_b32_e32 v4, 0
	v_lshlrev_b32_e32 v45, 4, v8
	v_mov_b32_e32 v5, 0
	v_lshl_add_u32 v46, v13, 4, v45
	ds_write_b128 v46, v[22:25]
	s_waitcnt lgkmcnt(0)
	s_barrier
	s_and_saveexec_b64 s[12:13], s[2:3]
	s_cbranch_execz .LBB50_59
; %bb.58:
	ds_read_b128 v[2:5], v45
	ds_read_b128 v[22:25], v45 offset:16
	s_waitcnt lgkmcnt(0)
	v_add_f64 v[8:9], v[22:23], v[2:3]
	v_add_f64 v[11:12], v[24:25], v[4:5]
	ds_read_b128 v[2:5], v45 offset:32
	ds_read_b128 v[22:25], v45 offset:48
	s_waitcnt lgkmcnt(1)
	v_add_f64 v[2:3], v[8:9], v[2:3]
	v_add_f64 v[4:5], v[11:12], v[4:5]
	s_waitcnt lgkmcnt(0)
	v_add_f64 v[8:9], v[2:3], v[22:23]
	v_add_f64 v[11:12], v[4:5], v[24:25]
	ds_read_b128 v[2:5], v45 offset:64
	ds_read_b128 v[22:25], v45 offset:80
	s_waitcnt lgkmcnt(1)
	v_add_f64 v[2:3], v[8:9], v[2:3]
	v_add_f64 v[4:5], v[11:12], v[4:5]
	;; [unrolled: 8-line block ×3, first 2 shown]
	s_waitcnt lgkmcnt(0)
	v_add_f64 v[2:3], v[2:3], v[22:23]
	v_add_f64 v[4:5], v[4:5], v[24:25]
.LBB50_59:
	s_or_b64 exec, exec, s[12:13]
	s_lshl_b32 s34, s24, 5
	s_ashr_i32 s35, s34, 31
	s_lshl_b64 s[28:29], s[34:35], 4
	v_mov_b32_e32 v8, s29
	v_add_co_u32_e32 v16, vcc, s28, v6
	v_addc_co_u32_e32 v22, vcc, v7, v8, vcc
	v_add_co_u32_e32 v6, vcc, 0x200, v16
	v_addc_co_u32_e32 v7, vcc, 0, v22, vcc
	s_and_b64 vcc, exec, s[30:31]
	s_barrier
	s_cbranch_vccz .LBB50_81
; %bb.60:
	v_sub_co_u32_e32 v9, vcc, v16, v14
	s_ashr_i32 s17, s16, 31
	v_subbrev_co_u32_e32 v11, vcc, 0, v22, vcc
	s_lshl_b64 s[36:37], s[16:17], 4
	v_mov_b32_e32 v12, s37
	v_add_co_u32_e32 v9, vcc, s36, v9
	v_addc_co_u32_e32 v11, vcc, v11, v12, vcc
	v_or_b32_e32 v8, 32, v10
	v_add_co_u32_e32 v12, vcc, -16, v9
	v_addc_co_u32_e32 v9, vcc, -1, v11, vcc
	v_cmp_gt_i32_e64 s[12:13], s16, v8
	s_sub_i32 s17, s16, 32
	s_movk_i32 s25, 0x210
	v_cndmask_b32_e64 v9, v9, v7, s[12:13]
	v_cndmask_b32_e64 v8, v12, v6, s[12:13]
	v_cmp_le_i32_e32 vcc, s17, v13
	v_mad_u32_u24 v12, v13, s25, v14
	s_and_saveexec_b64 s[38:39], vcc
	s_xor_b64 s[38:39], exec, s[38:39]
; %bb.61:
	v_mov_b32_e32 v23, 0
	v_mov_b32_e32 v24, v23
	;; [unrolled: 1-line block ×4, first 2 shown]
	ds_write_b128 v12, v[23:26]
                                        ; implicit-def: $vgpr12
; %bb.62:
	s_or_saveexec_b64 s[38:39], s[38:39]
	v_mul_u32_u24_e32 v11, 0x210, v13
	s_xor_b64 exec, exec, s[38:39]
	s_cbranch_execz .LBB50_64
; %bb.63:
	flat_load_dwordx4 v[23:26], v[8:9]
	s_waitcnt vmcnt(0) lgkmcnt(0)
	ds_write2_b64 v12, v[23:24], v[25:26] offset1:1
.LBB50_64:
	s_or_b64 exec, exec, s[38:39]
	v_add_u32_e32 v12, 8, v13
	v_cmp_le_i32_e32 vcc, s17, v12
	v_add_u32_e32 v12, v11, v14
	s_and_saveexec_b64 s[38:39], vcc
	s_xor_b64 s[38:39], exec, s[38:39]
; %bb.65:
	v_mov_b32_e32 v23, 0
	v_mov_b32_e32 v24, v23
	v_mov_b32_e32 v25, v23
	v_mov_b32_e32 v26, v23
	ds_write_b128 v12, v[23:26] offset:4224
; %bb.66:
	s_andn2_saveexec_b64 s[38:39], s[38:39]
	s_cbranch_execz .LBB50_68
; %bb.67:
	s_lshl_b32 s42, s24, 3
	s_ashr_i32 s43, s42, 31
	s_lshl_b64 s[42:43], s[42:43], 4
	v_mov_b32_e32 v24, s43
	v_add_co_u32_e32 v23, vcc, s42, v8
	v_addc_co_u32_e32 v24, vcc, v9, v24, vcc
	flat_load_dwordx4 v[23:26], v[23:24]
	s_movk_i32 s25, 0x1080
	v_add3_u32 v27, v11, v14, s25
	s_waitcnt vmcnt(0) lgkmcnt(0)
	ds_write2_b64 v27, v[23:24], v[25:26] offset1:1
.LBB50_68:
	s_or_b64 exec, exec, s[38:39]
	v_add_u32_e32 v23, 16, v13
	v_cmp_le_i32_e32 vcc, s17, v23
	s_and_saveexec_b64 s[38:39], vcc
	s_xor_b64 s[38:39], exec, s[38:39]
; %bb.69:
	v_mov_b32_e32 v23, 0
	v_mov_b32_e32 v24, v23
	;; [unrolled: 1-line block ×4, first 2 shown]
	ds_write_b128 v12, v[23:26] offset:8448
; %bb.70:
	s_andn2_saveexec_b64 s[38:39], s[38:39]
	s_cbranch_execz .LBB50_72
; %bb.71:
	s_lshl_b32 s42, s24, 4
	s_ashr_i32 s43, s42, 31
	s_lshl_b64 s[42:43], s[42:43], 4
	v_mov_b32_e32 v24, s43
	v_add_co_u32_e32 v23, vcc, s42, v8
	v_addc_co_u32_e32 v24, vcc, v9, v24, vcc
	flat_load_dwordx4 v[23:26], v[23:24]
	s_movk_i32 s25, 0x2100
	v_add3_u32 v27, v11, v14, s25
	s_waitcnt vmcnt(0) lgkmcnt(0)
	ds_write2_b64 v27, v[23:24], v[25:26] offset1:1
.LBB50_72:
	s_or_b64 exec, exec, s[38:39]
	v_add_u32_e32 v23, 24, v13
	v_cmp_le_i32_e32 vcc, s17, v23
	s_and_saveexec_b64 s[38:39], vcc
	s_xor_b64 s[38:39], exec, s[38:39]
; %bb.73:
	v_mov_b32_e32 v23, 0
	v_mov_b32_e32 v24, v23
	;; [unrolled: 1-line block ×4, first 2 shown]
	ds_write_b128 v12, v[23:26] offset:12672
                                        ; implicit-def: $vgpr11
; %bb.74:
	s_andn2_saveexec_b64 s[38:39], s[38:39]
	s_cbranch_execz .LBB50_76
; %bb.75:
	s_mul_i32 s42, s24, 24
	s_ashr_i32 s43, s42, 31
	s_lshl_b64 s[42:43], s[42:43], 4
	v_mov_b32_e32 v12, s43
	v_add_co_u32_e32 v23, vcc, s42, v8
	v_addc_co_u32_e32 v24, vcc, v9, v12, vcc
	flat_load_dwordx4 v[23:26], v[23:24]
	s_movk_i32 s17, 0x3180
	v_add3_u32 v11, v11, v14, s17
	s_waitcnt vmcnt(0) lgkmcnt(0)
	ds_write2_b64 v11, v[23:24], v[25:26] offset1:1
.LBB50_76:
	s_or_b64 exec, exec, s[38:39]
	v_add_co_u32_e32 v8, vcc, v8, v14
	v_addc_co_u32_e32 v9, vcc, 0, v9, vcc
	v_mov_b32_e32 v11, s37
	v_subrev_co_u32_e32 v8, vcc, s36, v8
	v_subb_co_u32_e32 v9, vcc, v9, v11, vcc
	v_add_co_u32_e32 v8, vcc, 0x210, v8
	v_addc_co_u32_e32 v9, vcc, 0, v9, vcc
	v_cndmask_b32_e64 v12, v9, v7, s[12:13]
	v_cndmask_b32_e64 v11, v8, v6, s[12:13]
	s_branch .LBB50_83
.LBB50_77:
	s_andn2_saveexec_b64 s[8:9], s[8:9]
	s_cbranch_execz .LBB50_39
.LBB50_78:
	v_cmp_eq_u32_e32 vcc, v18, v10
	s_mov_b64 s[10:11], s[2:3]
                                        ; implicit-def: $vgpr9
	s_and_saveexec_b64 s[12:13], vcc
; %bb.79:
	v_add_u32_e32 v9, v14, v15
	s_or_b64 s[10:11], s[2:3], exec
; %bb.80:
	s_or_b64 exec, exec, s[12:13]
	v_mov_b32_e32 v4, 0
	s_andn2_b64 s[2:3], s[2:3], exec
	s_and_b64 s[10:11], s[10:11], exec
	v_mov_b32_e32 v5, 0
	s_or_b64 s[2:3], s[2:3], s[10:11]
	s_or_b64 exec, exec, s[8:9]
	s_and_saveexec_b64 s[8:9], s[2:3]
	s_cbranch_execnz .LBB50_40
	s_branch .LBB50_41
.LBB50_81:
                                        ; implicit-def: $vgpr11_vgpr12
	s_cbranch_execz .LBB50_83
; %bb.82:
	flat_load_dwordx4 v[23:26], v[6:7]
	s_movk_i32 s13, 0x210
	s_lshl_b32 s12, s24, 3
	v_mad_u32_u24 v11, v13, s13, v14
	s_ashr_i32 s13, s12, 31
	s_lshl_b64 s[12:13], s[12:13], 4
	v_mov_b32_e32 v9, s13
	v_add_co_u32_e32 v8, vcc, s12, v16
	v_addc_co_u32_e32 v9, vcc, v22, v9, vcc
	s_ashr_i32 s25, s24, 31
	s_lshl_b64 s[12:13], s[24:25], 7
	v_add_u32_e32 v12, 0x1080, v11
	v_mov_b32_e32 v16, s13
	s_waitcnt vmcnt(0) lgkmcnt(0)
	ds_write2_b64 v11, v[23:24], v[25:26] offset1:1
	flat_load_dwordx4 v[22:25], v[8:9] offset:512
	v_add_co_u32_e32 v8, vcc, s12, v8
	v_addc_co_u32_e32 v9, vcc, v9, v16, vcc
	s_waitcnt vmcnt(0) lgkmcnt(0)
	ds_write2_b64 v12, v[22:23], v[24:25] offset1:1
	flat_load_dwordx4 v[22:25], v[8:9] offset:512
	v_add_u32_e32 v12, 0x2100, v11
	v_add_co_u32_e32 v8, vcc, s12, v8
	v_addc_co_u32_e32 v9, vcc, v9, v16, vcc
	s_waitcnt vmcnt(0) lgkmcnt(0)
	ds_write2_b64 v12, v[22:23], v[24:25] offset1:1
	flat_load_dwordx4 v[22:25], v[8:9] offset:512
	v_add_u32_e32 v8, 0x3180, v11
	v_mov_b32_e32 v12, v7
	v_mov_b32_e32 v11, v6
	s_waitcnt vmcnt(0) lgkmcnt(0)
	ds_write2_b64 v8, v[22:23], v[24:25] offset1:1
.LBB50_83:
	v_mul_u32_u24_e32 v7, 0x840, v13
	s_mov_b64 s[12:13], 0
	s_waitcnt lgkmcnt(0)
	s_barrier
                                        ; implicit-def: $vgpr6
	s_and_saveexec_b64 s[36:37], s[4:5]
	s_xor_b64 s[4:5], exec, s[36:37]
	s_cbranch_execz .LBB50_87
; %bb.84:
	v_cmp_eq_u32_e32 vcc, v17, v10
                                        ; implicit-def: $vgpr6
	s_and_saveexec_b64 s[36:37], vcc
	s_xor_b64 s[36:37], exec, s[36:37]
; %bb.85:
	s_mov_b64 s[12:13], exec
	v_add_u32_e32 v6, v14, v15
; %bb.86:
	s_or_b64 exec, exec, s[36:37]
	s_and_b64 s[12:13], s[12:13], exec
.LBB50_87:
	s_or_saveexec_b64 s[4:5], s[4:5]
	v_mov_b32_e32 v8, 0
	v_mov_b32_e32 v9, 0
	v_add_u32_e32 v16, v14, v7
	v_lshl_add_u32 v22, v17, 4, v45
	s_xor_b64 exec, exec, s[4:5]
	s_cbranch_execz .LBB50_89
; %bb.88:
	ds_read_b128 v[6:9], v16
	s_or_b64 s[12:13], s[12:13], exec
	s_waitcnt lgkmcnt(0)
	v_xor_b32_e32 v9, 0x80000000, v9
	ds_write_b64 v22, v[6:7]
	v_mov_b32_e32 v6, v22
.LBB50_89:
	s_or_b64 exec, exec, s[4:5]
	v_mul_u32_u24_e32 v7, 0x210, v18
	s_and_saveexec_b64 s[4:5], s[12:13]
; %bb.90:
	ds_write_b64 v6, v[8:9] offset:8
; %bb.91:
	s_or_b64 exec, exec, s[4:5]
	s_mov_b64 s[4:5], 0
	v_add_u32_e32 v17, v14, v7
                                        ; implicit-def: $vgpr8_vgpr9
                                        ; implicit-def: $vgpr23
	s_and_saveexec_b64 s[12:13], s[14:15]
	s_xor_b64 s[12:13], exec, s[12:13]
	s_cbranch_execz .LBB50_131
; %bb.92:
	ds_read_b128 v[6:9], v17
	s_mov_b64 s[4:5], exec
	v_add_u32_e32 v23, 16, v22
                                        ; implicit-def: $vgpr18
	s_waitcnt lgkmcnt(0)
	v_xor_b32_e32 v9, 0x80000000, v9
	ds_write_b64 v22, v[6:7] offset:16
	s_andn2_saveexec_b64 s[12:13], s[12:13]
	s_cbranch_execnz .LBB50_132
.LBB50_93:
	s_or_b64 exec, exec, s[12:13]
	s_and_saveexec_b64 s[12:13], s[4:5]
.LBB50_94:
	ds_write_b64 v23, v[8:9] offset:8
.LBB50_95:
	s_or_b64 exec, exec, s[12:13]
	s_mov_b64 s[4:5], 0
                                        ; implicit-def: $vgpr18
	s_and_saveexec_b64 s[12:13], s[8:9]
	s_xor_b64 s[8:9], exec, s[12:13]
	s_cbranch_execz .LBB50_99
; %bb.96:
	v_cmp_eq_u32_e32 vcc, v19, v10
                                        ; implicit-def: $vgpr18
	s_and_saveexec_b64 s[12:13], vcc
; %bb.97:
	s_mov_b64 s[4:5], exec
	v_add_u32_e32 v18, v14, v15
; %bb.98:
	s_or_b64 exec, exec, s[12:13]
	s_and_b64 s[4:5], s[4:5], exec
.LBB50_99:
	s_or_saveexec_b64 s[8:9], s[8:9]
	v_mov_b32_e32 v8, 0
	v_mov_b32_e32 v9, 0
	s_xor_b64 exec, exec, s[8:9]
	s_cbranch_execz .LBB50_101
; %bb.100:
	ds_read_b128 v[6:9], v17 offset:528
	v_add_u32_e32 v18, 32, v22
	s_or_b64 s[4:5], s[4:5], exec
	s_waitcnt lgkmcnt(0)
	v_xor_b32_e32 v9, 0x80000000, v9
	ds_write_b64 v22, v[6:7] offset:32
.LBB50_101:
	s_or_b64 exec, exec, s[8:9]
	s_and_saveexec_b64 s[8:9], s[4:5]
; %bb.102:
	ds_write_b64 v18, v[8:9] offset:8
; %bb.103:
	s_or_b64 exec, exec, s[8:9]
	s_mov_b64 s[4:5], 0
                                        ; implicit-def: $vgpr18
	s_and_saveexec_b64 s[8:9], s[10:11]
	s_xor_b64 s[8:9], exec, s[8:9]
	s_cbranch_execz .LBB50_107
; %bb.104:
	v_cmp_eq_u32_e32 vcc, v20, v10
                                        ; implicit-def: $vgpr18
	s_and_saveexec_b64 s[10:11], vcc
; %bb.105:
	s_mov_b64 s[4:5], exec
	v_add_u32_e32 v18, v14, v15
; %bb.106:
	s_or_b64 exec, exec, s[10:11]
	s_and_b64 s[4:5], s[4:5], exec
                                        ; implicit-def: $vgpr22
.LBB50_107:
	s_or_saveexec_b64 s[8:9], s[8:9]
	v_mov_b32_e32 v8, 0
	v_mov_b32_e32 v9, 0
	s_xor_b64 exec, exec, s[8:9]
	s_cbranch_execz .LBB50_109
; %bb.108:
	ds_read_b128 v[6:9], v17 offset:1056
	v_add_u32_e32 v18, 48, v22
	s_or_b64 s[4:5], s[4:5], exec
	s_waitcnt lgkmcnt(0)
	v_xor_b32_e32 v9, 0x80000000, v9
	ds_write_b64 v22, v[6:7] offset:48
.LBB50_109:
	s_or_b64 exec, exec, s[8:9]
	v_add_u32_e32 v15, 0x4700, v21
	s_and_saveexec_b64 s[8:9], s[4:5]
; %bb.110:
	ds_write_b64 v18, v[8:9] offset:8
; %bb.111:
	s_or_b64 exec, exec, s[8:9]
	s_waitcnt lgkmcnt(0)
	s_barrier
	ds_read_b128 v[6:9], v16
	ds_read_b128 v[18:21], v15 offset:512
	ds_read_b128 v[22:25], v15 offset:528
	;; [unrolled: 1-line block ×3, first 2 shown]
	ds_read_b128 v[30:33], v17
	ds_read_b128 v[34:37], v15 offset:544
	ds_read_b128 v[47:50], v17 offset:528
	v_cmp_eq_u32_e64 s[4:5], 1, v13
	s_waitcnt lgkmcnt(5)
	v_mul_f64 v[42:43], v[20:21], v[8:9]
	v_mul_f64 v[8:9], v[18:19], v[8:9]
	s_waitcnt lgkmcnt(2)
	v_mul_f64 v[51:52], v[24:25], v[32:33]
	v_mul_f64 v[32:33], v[22:23], v[32:33]
	v_fma_f64 v[18:19], v[18:19], v[6:7], -v[42:43]
	v_fma_f64 v[20:21], v[20:21], v[6:7], v[8:9]
	s_waitcnt lgkmcnt(0)
	v_mul_f64 v[42:43], v[36:37], v[49:50]
	v_mul_f64 v[49:50], v[34:35], v[49:50]
	v_fma_f64 v[22:23], v[22:23], v[30:31], -v[51:52]
	v_fma_f64 v[24:25], v[24:25], v[30:31], v[32:33]
	ds_read_b128 v[6:9], v15 offset:560
	s_waitcnt lgkmcnt(0)
	v_add_f64 v[18:19], v[18:19], 0
	v_add_f64 v[20:21], v[20:21], 0
	v_fma_f64 v[32:33], v[34:35], v[47:48], -v[42:43]
	v_mul_f64 v[30:31], v[8:9], v[28:29]
	v_mul_f64 v[28:29], v[6:7], v[28:29]
	v_fma_f64 v[34:35], v[36:37], v[47:48], v[49:50]
	s_barrier
	v_add_f64 v[18:19], v[18:19], v[22:23]
	v_add_f64 v[20:21], v[20:21], v[24:25]
	v_fma_f64 v[6:7], v[6:7], v[26:27], -v[30:31]
	v_fma_f64 v[8:9], v[8:9], v[26:27], v[28:29]
	v_add_f64 v[18:19], v[18:19], v[32:33]
	v_add_f64 v[20:21], v[20:21], v[34:35]
	;; [unrolled: 1-line block ×4, first 2 shown]
	ds_write_b128 v46, v[6:9]
	s_waitcnt lgkmcnt(0)
	s_barrier
	s_and_saveexec_b64 s[8:9], s[4:5]
	s_cbranch_execz .LBB50_113
; %bb.112:
	ds_read_b128 v[2:5], v45
	ds_read_b128 v[6:9], v45 offset:16
	s_waitcnt lgkmcnt(0)
	v_add_f64 v[18:19], v[6:7], v[2:3]
	v_add_f64 v[20:21], v[8:9], v[4:5]
	ds_read_b128 v[2:5], v45 offset:32
	ds_read_b128 v[6:9], v45 offset:48
	s_waitcnt lgkmcnt(1)
	v_add_f64 v[2:3], v[18:19], v[2:3]
	v_add_f64 v[4:5], v[20:21], v[4:5]
	s_waitcnt lgkmcnt(0)
	v_add_f64 v[18:19], v[2:3], v[6:7]
	v_add_f64 v[20:21], v[4:5], v[8:9]
	ds_read_b128 v[2:5], v45 offset:64
	ds_read_b128 v[6:9], v45 offset:80
	s_waitcnt lgkmcnt(1)
	v_add_f64 v[2:3], v[18:19], v[2:3]
	v_add_f64 v[4:5], v[20:21], v[4:5]
	;; [unrolled: 8-line block ×3, first 2 shown]
	s_waitcnt lgkmcnt(0)
	v_add_f64 v[2:3], v[2:3], v[6:7]
	v_add_f64 v[4:5], v[4:5], v[8:9]
.LBB50_113:
	s_or_b64 exec, exec, s[8:9]
	v_add_co_u32_e32 v6, vcc, 0xfffffe00, v11
	v_addc_co_u32_e32 v7, vcc, -1, v12, vcc
	s_and_b64 vcc, exec, s[30:31]
	s_barrier
	s_cbranch_vccz .LBB50_135
; %bb.114:
	v_sub_co_u32_e32 v8, vcc, v6, v14
	s_ashr_i32 s17, s16, 31
	v_subbrev_co_u32_e32 v9, vcc, 0, v7, vcc
	s_lshl_b64 s[10:11], s[16:17], 4
	v_mov_b32_e32 v11, s11
	v_add_co_u32_e32 v8, vcc, s10, v8
	v_addc_co_u32_e32 v9, vcc, v9, v11, vcc
	v_add_co_u32_e32 v8, vcc, -16, v8
	v_addc_co_u32_e32 v9, vcc, -1, v9, vcc
	v_cmp_gt_i32_e32 vcc, s16, v10
	s_sub_i32 s14, s16, 32
	s_movk_i32 s12, 0x210
	v_cndmask_b32_e32 v9, v9, v7, vcc
	v_cndmask_b32_e32 v8, v8, v6, vcc
	v_cmp_le_i32_e64 s[8:9], s14, v13
	v_mad_u32_u24 v10, v13, s12, v14
	s_and_saveexec_b64 s[12:13], s[8:9]
	s_xor_b64 s[8:9], exec, s[12:13]
; %bb.115:
	v_mov_b32_e32 v18, 0
	v_mov_b32_e32 v19, v18
	;; [unrolled: 1-line block ×4, first 2 shown]
	ds_write_b128 v10, v[18:21]
                                        ; implicit-def: $vgpr10
; %bb.116:
	s_or_saveexec_b64 s[8:9], s[8:9]
	v_mul_u32_u24_e32 v18, 0x210, v13
	s_xor_b64 exec, exec, s[8:9]
	s_cbranch_execz .LBB50_118
; %bb.117:
	flat_load_dwordx4 v[19:22], v[8:9]
	s_waitcnt vmcnt(0) lgkmcnt(0)
	ds_write2_b64 v10, v[19:20], v[21:22] offset1:1
.LBB50_118:
	s_or_b64 exec, exec, s[8:9]
	v_add_u32_e32 v10, 8, v13
	v_cmp_le_i32_e64 s[8:9], s14, v10
	v_add_u32_e32 v19, v18, v14
	s_and_saveexec_b64 s[12:13], s[8:9]
	s_xor_b64 s[8:9], exec, s[12:13]
; %bb.119:
	v_mov_b32_e32 v20, 0
	v_mov_b32_e32 v21, v20
	;; [unrolled: 1-line block ×4, first 2 shown]
	ds_write_b128 v19, v[20:23] offset:4224
; %bb.120:
	s_andn2_saveexec_b64 s[12:13], s[8:9]
	s_cbranch_execz .LBB50_122
; %bb.121:
	s_lshl_b32 s8, s24, 3
	s_ashr_i32 s9, s8, 31
	s_lshl_b64 s[8:9], s[8:9], 4
	v_mov_b32_e32 v12, s9
	v_add_co_u32_e64 v11, s[8:9], s8, v8
	v_addc_co_u32_e64 v12, s[8:9], v9, v12, s[8:9]
	flat_load_dwordx4 v[20:23], v[11:12]
	s_movk_i32 s8, 0x1080
	v_add3_u32 v11, v18, v14, s8
	s_waitcnt vmcnt(0) lgkmcnt(0)
	ds_write2_b64 v11, v[20:21], v[22:23] offset1:1
.LBB50_122:
	s_or_b64 exec, exec, s[12:13]
	v_add_u32_e32 v12, 16, v13
	v_cmp_le_i32_e64 s[8:9], s14, v12
	s_and_saveexec_b64 s[12:13], s[8:9]
	s_xor_b64 s[8:9], exec, s[12:13]
; %bb.123:
	v_mov_b32_e32 v20, 0
	v_mov_b32_e32 v21, v20
	;; [unrolled: 1-line block ×4, first 2 shown]
	ds_write_b128 v19, v[20:23] offset:8448
; %bb.124:
	s_andn2_saveexec_b64 s[12:13], s[8:9]
	s_cbranch_execz .LBB50_126
; %bb.125:
	s_lshl_b32 s8, s24, 4
	s_ashr_i32 s9, s8, 31
	s_lshl_b64 s[8:9], s[8:9], 4
	v_mov_b32_e32 v11, s9
	v_add_co_u32_e64 v20, s[8:9], s8, v8
	v_addc_co_u32_e64 v21, s[8:9], v9, v11, s[8:9]
	flat_load_dwordx4 v[20:23], v[20:21]
	s_movk_i32 s8, 0x2100
	v_add3_u32 v11, v18, v14, s8
	s_waitcnt vmcnt(0) lgkmcnt(0)
	ds_write2_b64 v11, v[20:21], v[22:23] offset1:1
.LBB50_126:
	s_or_b64 exec, exec, s[12:13]
	v_add_u32_e32 v11, 24, v13
	v_cmp_le_i32_e64 s[8:9], s14, v11
	s_and_saveexec_b64 s[12:13], s[8:9]
	s_xor_b64 s[8:9], exec, s[12:13]
; %bb.127:
	v_mov_b32_e32 v20, 0
	v_mov_b32_e32 v21, v20
	v_mov_b32_e32 v22, v20
	v_mov_b32_e32 v23, v20
	ds_write_b128 v19, v[20:23] offset:12672
                                        ; implicit-def: $vgpr18
; %bb.128:
	s_andn2_saveexec_b64 s[12:13], s[8:9]
	s_cbranch_execz .LBB50_130
; %bb.129:
	s_mul_i32 s8, s24, 24
	s_ashr_i32 s9, s8, 31
	s_lshl_b64 s[8:9], s[8:9], 4
	v_mov_b32_e32 v20, s9
	v_add_co_u32_e64 v19, s[8:9], s8, v8
	v_addc_co_u32_e64 v20, s[8:9], v9, v20, s[8:9]
	flat_load_dwordx4 v[19:22], v[19:20]
	s_movk_i32 s8, 0x3180
	v_add3_u32 v18, v18, v14, s8
	s_waitcnt vmcnt(0) lgkmcnt(0)
	ds_write2_b64 v18, v[19:20], v[21:22] offset1:1
.LBB50_130:
	s_or_b64 exec, exec, s[12:13]
	v_add_co_u32_e64 v8, s[8:9], v8, v14
	v_addc_co_u32_e64 v9, s[8:9], 0, v9, s[8:9]
	v_mov_b32_e32 v18, s11
	v_subrev_co_u32_e64 v8, s[8:9], s10, v8
	v_subb_co_u32_e64 v9, s[8:9], v9, v18, s[8:9]
	v_add_co_u32_e64 v8, s[8:9], 16, v8
	v_addc_co_u32_e64 v9, s[8:9], 0, v9, s[8:9]
	v_cndmask_b32_e32 v43, v9, v7, vcc
	v_cndmask_b32_e32 v42, v8, v6, vcc
	s_branch .LBB50_137
.LBB50_131:
	s_andn2_saveexec_b64 s[12:13], s[12:13]
	s_cbranch_execz .LBB50_93
.LBB50_132:
	v_cmp_eq_u32_e32 vcc, v18, v10
	s_mov_b64 s[14:15], s[4:5]
                                        ; implicit-def: $vgpr23
	s_and_saveexec_b64 s[36:37], vcc
; %bb.133:
	v_add_u32_e32 v23, v14, v15
	s_or_b64 s[14:15], s[4:5], exec
; %bb.134:
	s_or_b64 exec, exec, s[36:37]
	v_mov_b32_e32 v8, 0
	s_andn2_b64 s[4:5], s[4:5], exec
	s_and_b64 s[14:15], s[14:15], exec
	v_mov_b32_e32 v9, 0
	s_or_b64 s[4:5], s[4:5], s[14:15]
	s_or_b64 exec, exec, s[12:13]
	s_and_saveexec_b64 s[12:13], s[4:5]
	s_cbranch_execnz .LBB50_94
	s_branch .LBB50_95
.LBB50_135:
                                        ; implicit-def: $vgpr42_vgpr43
                                        ; implicit-def: $vgpr10
                                        ; implicit-def: $vgpr12
                                        ; implicit-def: $vgpr11
	s_cbranch_execz .LBB50_137
; %bb.136:
	flat_load_dwordx4 v[8:11], v[6:7]
	s_movk_i32 s9, 0x210
	s_lshl_b32 s8, s24, 3
	v_mad_u32_u24 v14, v13, s9, v14
	s_ashr_i32 s9, s8, 31
	s_lshl_b64 s[8:9], s[8:9], 4
	v_mov_b32_e32 v12, s9
	v_add_co_u32_e32 v18, vcc, s8, v6
	v_addc_co_u32_e32 v19, vcc, v7, v12, vcc
	s_ashr_i32 s25, s24, 31
	s_lshl_b64 s[8:9], s[24:25], 7
	v_add_u32_e32 v12, 0x1080, v14
	v_mov_b32_e32 v20, s9
	v_mov_b32_e32 v43, v7
	v_mov_b32_e32 v42, v6
	s_waitcnt vmcnt(0) lgkmcnt(0)
	ds_write2_b64 v14, v[8:9], v[10:11] offset1:1
	flat_load_dwordx4 v[8:11], v[18:19]
	v_add_co_u32_e32 v18, vcc, s8, v18
	v_addc_co_u32_e32 v19, vcc, v19, v20, vcc
	s_waitcnt vmcnt(0) lgkmcnt(0)
	ds_write2_b64 v12, v[8:9], v[10:11] offset1:1
	flat_load_dwordx4 v[8:11], v[18:19]
	v_add_u32_e32 v12, 0x2100, v14
	v_add_co_u32_e32 v18, vcc, s8, v18
	v_addc_co_u32_e32 v19, vcc, v19, v20, vcc
	s_waitcnt vmcnt(0) lgkmcnt(0)
	ds_write2_b64 v12, v[8:9], v[10:11] offset1:1
	flat_load_dwordx4 v[18:21], v[18:19]
	v_add_u32_e32 v10, 8, v13
	v_add_u32_e32 v12, 16, v13
	v_add_u32_e32 v11, 24, v13
	v_add_u32_e32 v8, 0x3180, v14
	s_waitcnt vmcnt(0) lgkmcnt(0)
	ds_write2_b64 v8, v[18:19], v[20:21] offset1:1
.LBB50_137:
	v_lshlrev_b32_e32 v13, 4, v13
	v_add_u32_e32 v6, v45, v13
	s_waitcnt lgkmcnt(0)
	s_barrier
	ds_read_b128 v[6:9], v6
	ds_read_b128 v[18:21], v13 offset:18176
	v_lshlrev_b32_e32 v10, 4, v10
	v_add_u32_e32 v13, v45, v10
	ds_read_b128 v[22:25], v13
	ds_read_b128 v[26:29], v10 offset:18176
	v_lshlrev_b32_e32 v10, 4, v12
	s_waitcnt lgkmcnt(2)
	v_mul_f64 v[13:14], v[8:9], v[20:21]
	v_mul_f64 v[8:9], v[8:9], v[18:19]
	v_add_u32_e32 v12, v45, v10
	s_waitcnt lgkmcnt(0)
	v_mul_f64 v[47:48], v[24:25], v[28:29]
	ds_read_b128 v[30:33], v12
	ds_read_b128 v[34:37], v10 offset:18176
	v_lshlrev_b32_e32 v10, 4, v11
	v_fma_f64 v[12:13], v[6:7], v[18:19], v[13:14]
	v_mul_f64 v[18:19], v[24:25], v[26:27]
	v_fma_f64 v[20:21], v[6:7], v[20:21], -v[8:9]
	s_waitcnt lgkmcnt(0)
	v_mul_f64 v[24:25], v[32:33], v[36:37]
	v_fma_f64 v[26:27], v[22:23], v[26:27], v[47:48]
	v_mul_f64 v[32:33], v[32:33], v[34:35]
	v_add_u32_e32 v6, v45, v10
	v_add_f64 v[47:48], v[12:13], 0
	v_fma_f64 v[18:19], v[22:23], v[28:29], -v[18:19]
	v_add_f64 v[20:21], v[20:21], 0
	ds_read_b128 v[6:9], v6
	ds_read_b128 v[10:13], v10 offset:18176
	v_fma_f64 v[24:25], v[30:31], v[34:35], v[24:25]
	v_fma_f64 v[28:29], v[30:31], v[36:37], -v[32:33]
	v_add_f64 v[22:23], v[47:48], v[26:27]
	s_waitcnt lgkmcnt(0)
	v_mul_f64 v[26:27], v[8:9], v[12:13]
	v_mul_f64 v[8:9], v[8:9], v[10:11]
	v_add_f64 v[18:19], v[20:21], v[18:19]
	v_add_f64 v[34:35], v[22:23], v[24:25]
	v_fma_f64 v[20:21], v[6:7], v[10:11], v[26:27]
	v_fma_f64 v[26:27], v[6:7], v[12:13], -v[8:9]
	v_add_f64 v[18:19], v[18:19], v[28:29]
	ds_read_b128 v[30:33], v15 offset:512
	ds_read_b128 v[22:25], v15 offset:528
	;; [unrolled: 1-line block ×4, first 2 shown]
	v_add_f64 v[47:48], v[34:35], v[20:21]
	v_add_f64 v[49:50], v[18:19], v[26:27]
	ds_read_b128 v[26:29], v17
	ds_read_b128 v[18:21], v17 offset:528
	ds_read_b128 v[34:37], v16
	ds_read_b128 v[14:17], v17 offset:1056
	s_waitcnt lgkmcnt(0)
	s_barrier
	ds_write_b128 v46, v[47:50]
	s_waitcnt lgkmcnt(0)
	s_barrier
	s_and_saveexec_b64 s[8:9], s[4:5]
	s_cbranch_execz .LBB50_139
; %bb.138:
	ds_read_b128 v[47:50], v45
	ds_read_b128 v[51:54], v45 offset:16
	s_waitcnt lgkmcnt(1)
	v_add_f64 v[2:3], v[2:3], v[47:48]
	v_add_f64 v[4:5], v[4:5], v[49:50]
	s_waitcnt lgkmcnt(0)
	v_add_f64 v[51:52], v[2:3], v[51:52]
	v_add_f64 v[53:54], v[4:5], v[53:54]
	ds_read_b128 v[2:5], v45 offset:32
	ds_read_b128 v[47:50], v45 offset:48
	s_waitcnt lgkmcnt(1)
	v_add_f64 v[2:3], v[51:52], v[2:3]
	v_add_f64 v[4:5], v[53:54], v[4:5]
	s_waitcnt lgkmcnt(0)
	v_add_f64 v[51:52], v[2:3], v[47:48]
	v_add_f64 v[53:54], v[4:5], v[49:50]
	ds_read_b128 v[2:5], v45 offset:64
	;; [unrolled: 8-line block ×3, first 2 shown]
	ds_read_b128 v[47:50], v45 offset:112
	s_waitcnt lgkmcnt(1)
	v_add_f64 v[2:3], v[51:52], v[2:3]
	v_add_f64 v[4:5], v[53:54], v[4:5]
	s_waitcnt lgkmcnt(0)
	v_add_f64 v[2:3], v[2:3], v[47:48]
	v_add_f64 v[4:5], v[4:5], v[49:50]
.LBB50_139:
	s_or_b64 exec, exec, s[8:9]
	v_mul_f64 v[47:48], v[32:33], v[36:37]
	v_mul_f64 v[36:37], v[30:31], v[36:37]
	;; [unrolled: 1-line block ×4, first 2 shown]
	s_barrier
	v_fma_f64 v[30:31], v[30:31], v[34:35], -v[47:48]
	v_fma_f64 v[32:33], v[32:33], v[34:35], v[36:37]
	v_mul_f64 v[34:35], v[12:13], v[20:21]
	v_mul_f64 v[20:21], v[10:11], v[20:21]
	v_fma_f64 v[22:23], v[22:23], v[26:27], -v[49:50]
	v_fma_f64 v[24:25], v[24:25], v[26:27], v[28:29]
	v_add_f64 v[26:27], v[30:31], 0
	v_add_f64 v[28:29], v[32:33], 0
	v_mul_f64 v[30:31], v[8:9], v[16:17]
	v_mul_f64 v[16:17], v[6:7], v[16:17]
	v_fma_f64 v[10:11], v[10:11], v[18:19], -v[34:35]
	v_fma_f64 v[12:13], v[12:13], v[18:19], v[20:21]
	v_add_f64 v[18:19], v[26:27], v[22:23]
	v_add_f64 v[20:21], v[28:29], v[24:25]
	v_fma_f64 v[6:7], v[6:7], v[14:15], -v[30:31]
	v_fma_f64 v[8:9], v[8:9], v[14:15], v[16:17]
	v_add_f64 v[10:11], v[18:19], v[10:11]
	v_add_f64 v[12:13], v[20:21], v[12:13]
	;; [unrolled: 1-line block ×4, first 2 shown]
	ds_write_b128 v46, v[6:9]
	s_waitcnt lgkmcnt(0)
	s_barrier
	s_and_saveexec_b64 s[4:5], s[2:3]
	s_cbranch_execz .LBB50_141
; %bb.140:
	ds_read_b128 v[6:9], v45
	ds_read_b128 v[10:13], v45 offset:16
	s_waitcnt lgkmcnt(1)
	v_add_f64 v[2:3], v[2:3], v[6:7]
	v_add_f64 v[4:5], v[4:5], v[8:9]
	s_waitcnt lgkmcnt(0)
	v_add_f64 v[10:11], v[2:3], v[10:11]
	v_add_f64 v[12:13], v[4:5], v[12:13]
	ds_read_b128 v[2:5], v45 offset:32
	ds_read_b128 v[6:9], v45 offset:48
	s_waitcnt lgkmcnt(1)
	v_add_f64 v[2:3], v[10:11], v[2:3]
	v_add_f64 v[4:5], v[12:13], v[4:5]
	s_waitcnt lgkmcnt(0)
	v_add_f64 v[10:11], v[2:3], v[6:7]
	v_add_f64 v[12:13], v[4:5], v[8:9]
	ds_read_b128 v[2:5], v45 offset:64
	;; [unrolled: 8-line block ×3, first 2 shown]
	ds_read_b128 v[6:9], v45 offset:112
	s_waitcnt lgkmcnt(1)
	v_add_f64 v[2:3], v[10:11], v[2:3]
	v_add_f64 v[4:5], v[12:13], v[4:5]
	s_waitcnt lgkmcnt(0)
	v_add_f64 v[2:3], v[2:3], v[6:7]
	v_add_f64 v[4:5], v[4:5], v[8:9]
.LBB50_141:
	s_or_b64 exec, exec, s[4:5]
	s_mul_hi_u32 s2, s21, s20
	s_mul_i32 s41, s41, s20
	s_add_i32 s2, s2, s41
	s_mul_i32 s4, s21, s20
	s_mul_i32 s2, s2, s7
	s_mul_hi_u32 s3, s4, s7
	s_add_i32 s3, s3, s2
	s_mul_i32 s2, s4, s7
	s_lshl_b64 s[2:3], s[2:3], 4
	s_add_u32 s4, s22, s2
	s_addc_u32 s5, s23, s3
	s_mul_hi_i32 s3, s21, s6
	s_mul_i32 s2, s21, s6
	s_lshl_b64 s[2:3], s[2:3], 4
	s_add_u32 s17, s4, s2
	s_addc_u32 s27, s5, s3
	s_add_i32 s8, s6, 1
	s_cmp_ge_u32 s8, s7
	v_lshlrev_b32_e32 v170, 4, v0
	s_barrier
	s_cbranch_scc1 .LBB50_199
; %bb.142:
	s_mul_i32 s2, s40, s26
	s_ashr_i32 s3, s2, 31
	s_lshl_b64 s[2:3], s[2:3], 4
	v_lshlrev_b32_e32 v171, 2, v1
	v_mov_b32_e32 v8, s3
	v_subrev_co_u32_e32 v172, vcc, s2, v38
	v_mad_u64_u32 v[6:7], s[4:5], s24, v171, v[0:1]
	v_subb_co_u32_e32 v173, vcc, v39, v8, vcc
	v_lshrrev_b32_e32 v8, 4, v44
	v_mov_b32_e32 v10, 0x4300
	v_lshl_add_u32 v175, v1, 6, v10
	v_lshlrev_b32_e32 v10, 6, v8
	v_mul_i32_i24_e32 v12, 0xffffffd0, v8
	v_and_b32_e32 v8, 48, v0
	v_and_b32_e32 v9, 15, v0
	s_movk_i32 s4, 0x430
	v_lshlrev_b32_e32 v8, 4, v8
	s_lshl_b32 s30, s40, 6
	s_lshl_b32 s14, s24, 4
	v_mad_u32_u24 v179, v9, s4, v8
	v_or_b32_e32 v8, 0xf0, v170
	s_ashr_i32 s25, s24, 31
	s_lshl_b32 s20, s24, 1
	s_mul_i32 s36, s24, 3
	s_mul_i32 s40, s40, s8
	v_ashrrev_i32_e32 v7, 31, v6
	s_add_i32 s26, s7, -2
	v_mad_u32_u24 v178, v9, s4, v10
	s_ashr_i32 s15, s14, 31
	v_mad_u32_u24 v180, v9, s4, v8
	s_ashr_i32 s21, s20, 31
	s_ashr_i32 s37, s36, 31
	s_lshl_b64 s[4:5], s[24:25], 4
	s_lshl_b32 s10, s40, 6
	s_lshl_b64 s[22:23], s[24:25], 5
	v_sub_co_u32_e32 v196, vcc, 0, v40
	s_add_u32 s11, s22, s28
	v_lshlrev_b64 v[8:9], 4, v[6:7]
	v_subb_co_u32_e32 v197, vcc, 0, v41, vcc
	s_addc_u32 s31, s23, s29
	v_mov_b32_e32 v10, s31
	v_add_co_u32_e32 v11, vcc, s11, v8
	v_addc_co_u32_e32 v10, vcc, v10, v9, vcc
	v_add_co_u32_e32 v198, vcc, v42, v11
	v_addc_co_u32_e32 v199, vcc, v43, v10, vcc
	v_mov_b32_e32 v10, s35
	v_add_co_u32_e32 v6, vcc, s34, v6
	v_addc_co_u32_e32 v7, vcc, v10, v7, vcc
	v_lshlrev_b64 v[6:7], 4, v[6:7]
	s_lshl_b64 s[12:13], s[14:15], 6
	v_mad_i64_i32 v[10:11], s[8:9], s14, 48, v[6:7]
	s_lshl_b64 s[8:9], s[36:37], 4
	v_mov_b32_e32 v13, s9
	v_add_co_u32_e32 v14, vcc, s8, v10
	v_addc_co_u32_e32 v13, vcc, v11, v13, vcc
	v_add_co_u32_e32 v200, vcc, v42, v14
	s_add_u32 s34, s4, s28
	v_addc_co_u32_e32 v201, vcc, v43, v13, vcc
	s_addc_u32 s35, s5, s29
	v_mov_b32_e32 v13, s35
	v_add_co_u32_e32 v14, vcc, s34, v8
	v_addc_co_u32_e32 v13, vcc, v13, v9, vcc
	v_add_co_u32_e32 v202, vcc, v42, v14
	v_addc_co_u32_e32 v203, vcc, v43, v13, vcc
	s_lshl_b64 s[20:21], s[20:21], 4
	v_mov_b32_e32 v13, s21
	v_add_co_u32_e32 v14, vcc, s20, v10
	v_addc_co_u32_e32 v13, vcc, v11, v13, vcc
	v_add_co_u32_e32 v204, vcc, v42, v14
	v_addc_co_u32_e32 v205, vcc, v43, v13, vcc
	v_mov_b32_e32 v13, s29
	v_add_co_u32_e32 v14, vcc, s28, v8
	v_addc_co_u32_e32 v13, vcc, v13, v9, vcc
	v_add_co_u32_e32 v206, vcc, v42, v14
	v_addc_co_u32_e32 v207, vcc, v43, v13, vcc
	s_mul_i32 s38, s24, 0x300
	v_add_co_u32_e32 v208, vcc, v42, v10
	s_add_u32 s24, s28, s20
	v_addc_co_u32_e32 v209, vcc, v43, v11, vcc
	s_addc_u32 s25, s29, s21
	v_mov_b32_e32 v13, s25
	v_add_co_u32_e32 v14, vcc, s24, v8
	v_addc_co_u32_e32 v13, vcc, v13, v9, vcc
	v_add_co_u32_e32 v210, vcc, v42, v14
	v_addc_co_u32_e32 v211, vcc, v43, v13, vcc
	v_mov_b32_e32 v13, s5
	v_add_co_u32_e32 v10, vcc, s4, v10
	v_addc_co_u32_e32 v11, vcc, v11, v13, vcc
	v_add_co_u32_e32 v212, vcc, v42, v10
	s_add_u32 s24, s28, s8
	v_addc_co_u32_e32 v213, vcc, v43, v11, vcc
	s_addc_u32 s25, s29, s9
	v_mov_b32_e32 v10, s25
	v_add_co_u32_e32 v11, vcc, s24, v8
	v_addc_co_u32_e32 v10, vcc, v10, v9, vcc
	s_lshl_b64 s[24:25], s[14:15], 4
	v_add_co_u32_e32 v214, vcc, v42, v11
	s_add_u32 s36, s11, s24
	v_addc_co_u32_e32 v215, vcc, v43, v10, vcc
	s_addc_u32 s37, s31, s25
	v_mov_b32_e32 v10, s37
	v_add_co_u32_e32 v11, vcc, s36, v8
	v_addc_co_u32_e32 v10, vcc, v10, v9, vcc
	s_mul_hi_i32 s39, s14, 48
	v_add_co_u32_e32 v216, vcc, v42, v11
	s_add_u32 s22, s38, s22
	v_addc_co_u32_e32 v217, vcc, v43, v10, vcc
	s_addc_u32 s23, s39, s23
	s_lshl_b64 s[14:15], s[14:15], 5
	v_mov_b32_e32 v10, s23
	v_add_co_u32_e32 v6, vcc, s22, v6
	s_add_u32 s22, s14, s28
	v_addc_co_u32_e32 v7, vcc, v10, v7, vcc
	s_addc_u32 s23, s15, s29
	v_add_co_u32_e32 v218, vcc, v42, v6
	s_add_u32 s36, s22, s8
	v_addc_co_u32_e32 v219, vcc, v43, v7, vcc
	s_addc_u32 s37, s23, s9
	v_mov_b32_e32 v6, s37
	v_add_co_u32_e32 v7, vcc, s36, v8
	v_addc_co_u32_e32 v6, vcc, v6, v9, vcc
	v_add_co_u32_e32 v220, vcc, v42, v7
	s_add_u32 s34, s34, s24
	v_addc_co_u32_e32 v221, vcc, v43, v6, vcc
	s_addc_u32 s35, s35, s25
	v_mov_b32_e32 v6, s35
	v_add_co_u32_e32 v7, vcc, s34, v8
	v_addc_co_u32_e32 v6, vcc, v6, v9, vcc
	;; [unrolled: 7-line block ×4, first 2 shown]
	v_add_co_u32_e32 v226, vcc, v42, v7
	v_addc_co_u32_e32 v227, vcc, v43, v6, vcc
	v_mov_b32_e32 v6, s23
	v_add_co_u32_e32 v7, vcc, s22, v8
	v_addc_co_u32_e32 v6, vcc, v6, v9, vcc
	v_add_co_u32_e32 v228, vcc, v42, v7
	s_add_u32 s20, s24, s20
	v_addc_co_u32_e32 v229, vcc, v43, v6, vcc
	s_addc_u32 s21, s25, s21
	v_mov_b32_e32 v6, s21
	v_add_co_u32_e32 v7, vcc, s20, v8
	v_addc_co_u32_e32 v6, vcc, v6, v9, vcc
	v_add_co_u32_e32 v230, vcc, v42, v7
	s_add_u32 s4, s22, s4
	v_addc_co_u32_e32 v231, vcc, v43, v6, vcc
	s_addc_u32 s5, s23, s5
	;; [unrolled: 7-line block ×4, first 2 shown]
	v_mov_b32_e32 v6, s5
	v_add_co_u32_e32 v7, vcc, s4, v8
	v_addc_co_u32_e32 v6, vcc, v6, v9, vcc
	s_movk_i32 s2, 0x10c0
	v_add_co_u32_e32 v236, vcc, v42, v7
	v_add_u32_e32 v174, 0x4300, v170
	v_add_u32_e32 v176, 0x4700, v170
	v_mad_u32_u24 v177, v1, s2, v170
	v_cmp_gt_u32_e64 s[2:3], 64, v44
	v_or_b32_e32 v181, 1, v171
	v_or_b32_e32 v182, 2, v171
	;; [unrolled: 1-line block ×3, first 2 shown]
	v_add_u32_e32 v184, 16, v171
	v_add_u32_e32 v185, 17, v171
	;; [unrolled: 1-line block ×13, first 2 shown]
	v_addc_co_u32_e32 v237, vcc, v43, v6, vcc
	v_add_u32_e32 v238, v178, v12
	v_mov_b32_e32 v6, 0
	s_cmp_eq_u32 s26, s6
	s_cselect_b32 s22, s33, 0
	s_and_saveexec_b64 s[4:5], s[0:1]
	s_cbranch_execz .LBB50_148
	s_branch .LBB50_144
.LBB50_143:                             ;   in Loop: Header=BB50_148 Depth=1
	s_mov_b32 s6, s4
	s_cmp_eq_u32 s26, s6
	s_cselect_b32 s22, s33, 0
	s_and_saveexec_b64 s[4:5], s[0:1]
	s_cbranch_execz .LBB50_148
.LBB50_144:
	s_cmp_lg_u32 s22, 0
	s_cselect_b64 s[8:9], -1, 0
	v_cmp_le_i32_e32 vcc, s22, v0
	s_and_b64 s[8:9], s[8:9], vcc
	s_and_saveexec_b64 s[14:15], s[8:9]
	s_xor_b64 s[8:9], exec, s[14:15]
; %bb.145:
	v_mov_b32_e32 v7, v6
	v_mov_b32_e32 v8, v6
	;; [unrolled: 1-line block ×3, first 2 shown]
	ds_write_b128 v174, v[6:9]
; %bb.146:
	s_andn2_saveexec_b64 s[8:9], s[8:9]
	s_cbranch_execz .LBB50_148
; %bb.147:
	s_ashr_i32 s11, s10, 31
	s_lshl_b64 s[8:9], s[10:11], 4
	v_mov_b32_e32 v8, s9
	v_add_co_u32_e32 v7, vcc, s8, v172
	v_addc_co_u32_e32 v8, vcc, v173, v8, vcc
	flat_load_dwordx4 v[7:10], v[7:8]
	s_waitcnt vmcnt(0) lgkmcnt(0)
	ds_write2_b64 v174, v[7:8], v[9:10] offset1:1
.LBB50_148:                             ; =>This Inner Loop Header: Depth=1
	s_or_b64 exec, exec, s[4:5]
	s_cmp_eq_u32 s22, 0
	v_add_co_u32_e32 v19, vcc, v206, v196
	s_cselect_b64 s[14:15], -1, 0
	s_cmp_lg_u32 s22, 0
	v_addc_co_u32_e32 v20, vcc, v207, v197, vcc
	s_cselect_b64 s[8:9], -1, 0
	s_and_b64 vcc, exec, s[8:9]
	s_waitcnt lgkmcnt(0)
	s_barrier
	s_cbranch_vccz .LBB50_156
; %bb.149:                              ;   in Loop: Header=BB50_148 Depth=1
	v_mov_b32_e32 v11, 0
	v_mov_b32_e32 v7, 0
	;; [unrolled: 1-line block ×6, first 2 shown]
	v_cmp_gt_i32_e32 vcc, s22, v171
	s_and_saveexec_b64 s[4:5], vcc
	s_cbranch_execz .LBB50_151
; %bb.150:                              ;   in Loop: Header=BB50_148 Depth=1
	flat_load_dwordx4 v[7:10], v[19:20]
.LBB50_151:                             ;   in Loop: Header=BB50_148 Depth=1
	s_or_b64 exec, exec, s[4:5]
	v_mov_b32_e32 v13, 0
	v_mov_b32_e32 v14, 0
	v_cmp_gt_i32_e32 vcc, s22, v181
	s_and_saveexec_b64 s[4:5], vcc
	s_cbranch_execz .LBB50_153
; %bb.152:                              ;   in Loop: Header=BB50_148 Depth=1
	v_add_co_u32_e32 v11, vcc, v202, v196
	v_addc_co_u32_e32 v12, vcc, v203, v197, vcc
	flat_load_dwordx4 v[11:14], v[11:12]
.LBB50_153:                             ;   in Loop: Header=BB50_148 Depth=1
	s_or_b64 exec, exec, s[4:5]
	v_mov_b32_e32 v15, 0
	v_mov_b32_e32 v17, 0
	;; [unrolled: 1-line block ×4, first 2 shown]
	v_cmp_gt_i32_e32 vcc, s22, v182
	s_and_saveexec_b64 s[4:5], vcc
	s_cbranch_execz .LBB50_155
; %bb.154:                              ;   in Loop: Header=BB50_148 Depth=1
	v_add_co_u32_e32 v15, vcc, v210, v196
	v_addc_co_u32_e32 v16, vcc, v211, v197, vcc
	flat_load_dwordx4 v[15:18], v[15:16]
.LBB50_155:                             ;   in Loop: Header=BB50_148 Depth=1
	s_or_b64 exec, exec, s[4:5]
	v_cmp_gt_i32_e64 s[4:5], s22, v183
	s_branch .LBB50_158
.LBB50_156:                             ;   in Loop: Header=BB50_148 Depth=1
	s_mov_b64 s[4:5], 0
                                        ; implicit-def: $vgpr17_vgpr18
                                        ; implicit-def: $vgpr13_vgpr14
                                        ; implicit-def: $vgpr9_vgpr10
	s_cbranch_execz .LBB50_158
; %bb.157:                              ;   in Loop: Header=BB50_148 Depth=1
	s_waitcnt vmcnt(0) lgkmcnt(0)
	v_add_co_u32_e32 v11, vcc, v202, v196
	v_addc_co_u32_e32 v12, vcc, v203, v197, vcc
	v_add_co_u32_e32 v15, vcc, v198, v196
	v_addc_co_u32_e32 v16, vcc, v199, v197, vcc
	flat_load_dwordx4 v[7:10], v[19:20]
	s_or_b64 s[4:5], s[4:5], exec
	flat_load_dwordx4 v[11:14], v[11:12]
	s_nop 0
	flat_load_dwordx4 v[15:18], v[15:16]
.LBB50_158:                             ;   in Loop: Header=BB50_148 Depth=1
	v_mov_b32_e32 v19, 0
	v_mov_b32_e32 v21, 0
	;; [unrolled: 1-line block ×4, first 2 shown]
	s_and_saveexec_b64 s[20:21], s[4:5]
	s_cbranch_execz .LBB50_160
; %bb.159:                              ;   in Loop: Header=BB50_148 Depth=1
	v_add_co_u32_e32 v19, vcc, v214, v196
	v_addc_co_u32_e32 v20, vcc, v215, v197, vcc
	flat_load_dwordx4 v[19:22], v[19:20]
.LBB50_160:                             ;   in Loop: Header=BB50_148 Depth=1
	s_or_b64 exec, exec, s[20:21]
	ds_read_b128 v[23:26], v176
	s_andn2_b64 vcc, exec, s[8:9]
	s_waitcnt vmcnt(0) lgkmcnt(0)
	v_mul_f64 v[27:28], v[9:10], v[25:26]
	v_mul_f64 v[29:30], v[9:10], v[23:24]
	;; [unrolled: 1-line block ×8, first 2 shown]
	v_fma_f64 v[27:28], v[7:8], v[23:24], v[27:28]
	v_fma_f64 v[29:30], v[7:8], v[25:26], -v[29:30]
	v_fma_f64 v[31:32], v[11:12], v[23:24], v[31:32]
	v_fma_f64 v[33:34], v[11:12], v[25:26], -v[33:34]
	;; [unrolled: 2-line block ×4, first 2 shown]
	ds_read_b128 v[47:50], v175
	ds_read_b128 v[43:46], v175 offset:16
	ds_read_b128 v[35:38], v175 offset:32
	;; [unrolled: 1-line block ×3, first 2 shown]
	ds_write_b128 v177, v[27:30]
	ds_write_b128 v177, v[31:34] offset:1072
	ds_write_b128 v177, v[39:42] offset:2144
	;; [unrolled: 1-line block ×3, first 2 shown]
	s_waitcnt lgkmcnt(0)
	s_barrier
	ds_read_b128 v[131:134], v178
	ds_read_b128 v[127:130], v178 offset:16
	ds_read_b128 v[123:126], v178 offset:32
	;; [unrolled: 1-line block ×3, first 2 shown]
	v_cndmask_b32_e64 v27, 0, 1, s[8:9]
	v_add_co_u32_e64 v51, s[8:9], v226, v196
	v_cmp_ne_u32_e64 s[4:5], 1, v27
	v_addc_co_u32_e64 v52, s[8:9], v227, v197, s[8:9]
	s_waitcnt lgkmcnt(0)
	s_barrier
	s_cbranch_vccnz .LBB50_168
; %bb.161:                              ;   in Loop: Header=BB50_148 Depth=1
	v_mov_b32_e32 v27, 0
	v_mov_b32_e32 v31, 0
	;; [unrolled: 1-line block ×6, first 2 shown]
	v_cmp_gt_i32_e32 vcc, s22, v184
	s_and_saveexec_b64 s[8:9], vcc
	s_cbranch_execz .LBB50_163
; %bb.162:                              ;   in Loop: Header=BB50_148 Depth=1
	flat_load_dwordx4 v[31:34], v[51:52]
.LBB50_163:                             ;   in Loop: Header=BB50_148 Depth=1
	s_or_b64 exec, exec, s[8:9]
	v_mov_b32_e32 v29, 0
	v_mov_b32_e32 v30, 0
	v_cmp_gt_i32_e32 vcc, s22, v185
	s_and_saveexec_b64 s[8:9], vcc
	s_cbranch_execz .LBB50_165
; %bb.164:                              ;   in Loop: Header=BB50_148 Depth=1
	v_add_co_u32_e32 v27, vcc, v222, v196
	v_addc_co_u32_e32 v28, vcc, v223, v197, vcc
	flat_load_dwordx4 v[27:30], v[27:28]
.LBB50_165:                             ;   in Loop: Header=BB50_148 Depth=1
	s_or_b64 exec, exec, s[8:9]
	v_mov_b32_e32 v39, 0
	v_mov_b32_e32 v41, 0
	;; [unrolled: 1-line block ×4, first 2 shown]
	v_cmp_gt_i32_e32 vcc, s22, v186
	s_and_saveexec_b64 s[8:9], vcc
	s_cbranch_execz .LBB50_167
; %bb.166:                              ;   in Loop: Header=BB50_148 Depth=1
	v_add_co_u32_e32 v39, vcc, v230, v196
	v_addc_co_u32_e32 v40, vcc, v231, v197, vcc
	flat_load_dwordx4 v[39:42], v[39:40]
.LBB50_167:                             ;   in Loop: Header=BB50_148 Depth=1
	s_or_b64 exec, exec, s[8:9]
	v_cmp_gt_i32_e64 s[8:9], s22, v187
	s_branch .LBB50_170
.LBB50_168:                             ;   in Loop: Header=BB50_148 Depth=1
	s_mov_b64 s[8:9], 0
                                        ; implicit-def: $vgpr41_vgpr42
                                        ; implicit-def: $vgpr29_vgpr30
                                        ; implicit-def: $vgpr33_vgpr34
	s_cbranch_execz .LBB50_170
; %bb.169:                              ;   in Loop: Header=BB50_148 Depth=1
	s_waitcnt vmcnt(0) lgkmcnt(0)
	v_add_co_u32_e32 v27, vcc, v222, v196
	v_addc_co_u32_e32 v28, vcc, v223, v197, vcc
	v_add_co_u32_e32 v39, vcc, v216, v196
	v_addc_co_u32_e32 v40, vcc, v217, v197, vcc
	flat_load_dwordx4 v[31:34], v[51:52]
	s_or_b64 s[8:9], s[8:9], exec
	flat_load_dwordx4 v[27:30], v[27:28]
	s_nop 0
	flat_load_dwordx4 v[39:42], v[39:40]
.LBB50_170:                             ;   in Loop: Header=BB50_148 Depth=1
	v_mov_b32_e32 v51, 0
	v_mov_b32_e32 v53, 0
	;; [unrolled: 1-line block ×4, first 2 shown]
	s_and_saveexec_b64 s[20:21], s[8:9]
	s_cbranch_execz .LBB50_172
; %bb.171:                              ;   in Loop: Header=BB50_148 Depth=1
	v_add_co_u32_e32 v51, vcc, v234, v196
	v_addc_co_u32_e32 v52, vcc, v235, v197, vcc
	flat_load_dwordx4 v[51:54], v[51:52]
.LBB50_172:                             ;   in Loop: Header=BB50_148 Depth=1
	s_or_b64 exec, exec, s[20:21]
	ds_read_b128 v[55:58], v176
	s_and_b64 vcc, exec, s[4:5]
	s_waitcnt vmcnt(0) lgkmcnt(0)
	v_mul_f64 v[59:60], v[33:34], v[57:58]
	v_mul_f64 v[61:62], v[33:34], v[55:56]
	;; [unrolled: 1-line block ×8, first 2 shown]
	v_fma_f64 v[63:64], v[31:32], v[55:56], v[59:60]
	v_fma_f64 v[65:66], v[31:32], v[57:58], -v[61:62]
	v_fma_f64 v[67:68], v[27:28], v[55:56], v[67:68]
	v_fma_f64 v[69:70], v[27:28], v[57:58], -v[69:70]
	;; [unrolled: 2-line block ×4, first 2 shown]
	ds_read_b128 v[75:78], v175 offset:256
	ds_read_b128 v[71:74], v175 offset:272
	;; [unrolled: 1-line block ×4, first 2 shown]
	ds_write_b128 v177, v[63:66]
	ds_write_b128 v177, v[67:70] offset:1072
	ds_write_b128 v177, v[79:82] offset:2144
	;; [unrolled: 1-line block ×3, first 2 shown]
	s_waitcnt lgkmcnt(0)
	s_barrier
	ds_read_b128 v[147:150], v178
	ds_read_b128 v[143:146], v178 offset:16
	ds_read_b128 v[139:142], v178 offset:32
	;; [unrolled: 1-line block ×3, first 2 shown]
	v_add_co_u32_e64 v83, s[8:9], v228, v196
	v_addc_co_u32_e64 v84, s[8:9], v229, v197, s[8:9]
	s_waitcnt lgkmcnt(0)
	s_barrier
	s_cbranch_vccnz .LBB50_180
; %bb.173:                              ;   in Loop: Header=BB50_148 Depth=1
	v_mov_b32_e32 v67, 0
	v_mov_b32_e32 v63, 0
	v_mov_b32_e32 v65, 0
	v_mov_b32_e32 v68, 0
	v_mov_b32_e32 v64, 0
	v_mov_b32_e32 v66, 0
	v_cmp_gt_i32_e32 vcc, s22, v188
	s_and_saveexec_b64 s[8:9], vcc
	s_cbranch_execz .LBB50_175
; %bb.174:                              ;   in Loop: Header=BB50_148 Depth=1
	flat_load_dwordx4 v[63:66], v[83:84]
.LBB50_175:                             ;   in Loop: Header=BB50_148 Depth=1
	s_or_b64 exec, exec, s[8:9]
	v_mov_b32_e32 v69, 0
	v_mov_b32_e32 v70, 0
	v_cmp_gt_i32_e32 vcc, s22, v189
	s_and_saveexec_b64 s[8:9], vcc
	s_cbranch_execz .LBB50_177
; %bb.176:                              ;   in Loop: Header=BB50_148 Depth=1
	v_add_co_u32_e32 v67, vcc, v232, v196
	v_addc_co_u32_e32 v68, vcc, v233, v197, vcc
	flat_load_dwordx4 v[67:70], v[67:68]
.LBB50_177:                             ;   in Loop: Header=BB50_148 Depth=1
	s_or_b64 exec, exec, s[8:9]
	v_mov_b32_e32 v79, 0
	v_mov_b32_e32 v81, 0
	;; [unrolled: 1-line block ×4, first 2 shown]
	v_cmp_gt_i32_e32 vcc, s22, v190
	s_and_saveexec_b64 s[8:9], vcc
	s_cbranch_execz .LBB50_179
; %bb.178:                              ;   in Loop: Header=BB50_148 Depth=1
	v_add_co_u32_e32 v79, vcc, v224, v196
	v_addc_co_u32_e32 v80, vcc, v225, v197, vcc
	flat_load_dwordx4 v[79:82], v[79:80]
.LBB50_179:                             ;   in Loop: Header=BB50_148 Depth=1
	s_or_b64 exec, exec, s[8:9]
	v_cmp_gt_i32_e64 s[8:9], s22, v191
	s_branch .LBB50_182
.LBB50_180:                             ;   in Loop: Header=BB50_148 Depth=1
	s_mov_b64 s[8:9], 0
                                        ; implicit-def: $vgpr81_vgpr82
                                        ; implicit-def: $vgpr69_vgpr70
                                        ; implicit-def: $vgpr65_vgpr66
	s_cbranch_execz .LBB50_182
; %bb.181:                              ;   in Loop: Header=BB50_148 Depth=1
	s_waitcnt vmcnt(0) lgkmcnt(0)
	v_add_co_u32_e32 v67, vcc, v232, v196
	v_addc_co_u32_e32 v68, vcc, v233, v197, vcc
	v_add_co_u32_e32 v79, vcc, v236, v196
	v_addc_co_u32_e32 v80, vcc, v237, v197, vcc
	flat_load_dwordx4 v[63:66], v[83:84]
	s_or_b64 s[8:9], s[8:9], exec
	flat_load_dwordx4 v[67:70], v[67:68]
	s_nop 0
	flat_load_dwordx4 v[79:82], v[79:80]
.LBB50_182:                             ;   in Loop: Header=BB50_148 Depth=1
	v_mov_b32_e32 v83, 0
	v_mov_b32_e32 v85, 0
	v_mov_b32_e32 v84, 0
	v_mov_b32_e32 v86, 0
	s_and_saveexec_b64 s[20:21], s[8:9]
	s_cbranch_execz .LBB50_184
; %bb.183:                              ;   in Loop: Header=BB50_148 Depth=1
	v_add_co_u32_e32 v83, vcc, v220, v196
	v_addc_co_u32_e32 v84, vcc, v221, v197, vcc
	flat_load_dwordx4 v[83:86], v[83:84]
.LBB50_184:                             ;   in Loop: Header=BB50_148 Depth=1
	s_or_b64 exec, exec, s[20:21]
	ds_read_b128 v[87:90], v176
	s_and_b64 vcc, exec, s[4:5]
	s_waitcnt vmcnt(0) lgkmcnt(0)
	v_mul_f64 v[91:92], v[65:66], v[89:90]
	v_mul_f64 v[93:94], v[65:66], v[87:88]
	;; [unrolled: 1-line block ×8, first 2 shown]
	v_fma_f64 v[103:104], v[63:64], v[87:88], v[91:92]
	v_fma_f64 v[105:106], v[63:64], v[89:90], -v[93:94]
	v_fma_f64 v[107:108], v[67:68], v[87:88], v[95:96]
	v_fma_f64 v[109:110], v[67:68], v[89:90], -v[97:98]
	;; [unrolled: 2-line block ×4, first 2 shown]
	ds_read_b128 v[99:102], v175 offset:512
	ds_read_b128 v[95:98], v175 offset:528
	;; [unrolled: 1-line block ×4, first 2 shown]
	ds_write_b128 v177, v[103:106]
	ds_write_b128 v177, v[107:110] offset:1072
	ds_write_b128 v177, v[111:114] offset:2144
	;; [unrolled: 1-line block ×3, first 2 shown]
	s_waitcnt lgkmcnt(0)
	s_barrier
	ds_read_b128 v[163:166], v178
	ds_read_b128 v[159:162], v178 offset:16
	ds_read_b128 v[155:158], v178 offset:32
	ds_read_b128 v[151:154], v178 offset:48
	v_add_co_u32_e64 v115, s[4:5], v208, v196
	v_addc_co_u32_e64 v116, s[4:5], v209, v197, s[4:5]
	s_waitcnt lgkmcnt(0)
	s_barrier
	s_cbranch_vccnz .LBB50_192
; %bb.185:                              ;   in Loop: Header=BB50_148 Depth=1
	v_mov_b32_e32 v107, 0
	v_mov_b32_e32 v103, 0
	;; [unrolled: 1-line block ×6, first 2 shown]
	v_cmp_gt_i32_e32 vcc, s22, v192
	s_and_saveexec_b64 s[4:5], vcc
	s_cbranch_execz .LBB50_187
; %bb.186:                              ;   in Loop: Header=BB50_148 Depth=1
	flat_load_dwordx4 v[103:106], v[115:116]
.LBB50_187:                             ;   in Loop: Header=BB50_148 Depth=1
	s_or_b64 exec, exec, s[4:5]
	v_mov_b32_e32 v109, 0
	v_mov_b32_e32 v110, 0
	v_cmp_gt_i32_e32 vcc, s22, v193
	s_and_saveexec_b64 s[4:5], vcc
	s_cbranch_execz .LBB50_189
; %bb.188:                              ;   in Loop: Header=BB50_148 Depth=1
	v_add_co_u32_e32 v107, vcc, v212, v196
	v_addc_co_u32_e32 v108, vcc, v213, v197, vcc
	flat_load_dwordx4 v[107:110], v[107:108]
.LBB50_189:                             ;   in Loop: Header=BB50_148 Depth=1
	s_or_b64 exec, exec, s[4:5]
	v_mov_b32_e32 v111, 0
	v_mov_b32_e32 v113, 0
	;; [unrolled: 1-line block ×4, first 2 shown]
	v_cmp_gt_i32_e32 vcc, s22, v194
	s_and_saveexec_b64 s[4:5], vcc
	s_cbranch_execz .LBB50_191
; %bb.190:                              ;   in Loop: Header=BB50_148 Depth=1
	v_add_co_u32_e32 v111, vcc, v204, v196
	v_addc_co_u32_e32 v112, vcc, v205, v197, vcc
	flat_load_dwordx4 v[111:114], v[111:112]
.LBB50_191:                             ;   in Loop: Header=BB50_148 Depth=1
	s_or_b64 exec, exec, s[4:5]
	v_cmp_gt_i32_e64 s[4:5], s22, v195
	s_branch .LBB50_194
.LBB50_192:                             ;   in Loop: Header=BB50_148 Depth=1
	s_mov_b64 s[4:5], 0
                                        ; implicit-def: $vgpr113_vgpr114
                                        ; implicit-def: $vgpr109_vgpr110
                                        ; implicit-def: $vgpr105_vgpr106
	s_cbranch_execz .LBB50_194
; %bb.193:                              ;   in Loop: Header=BB50_148 Depth=1
	s_waitcnt vmcnt(0) lgkmcnt(0)
	v_add_co_u32_e32 v107, vcc, v212, v196
	v_addc_co_u32_e32 v108, vcc, v213, v197, vcc
	v_add_co_u32_e32 v111, vcc, v218, v196
	v_addc_co_u32_e32 v112, vcc, v219, v197, vcc
	flat_load_dwordx4 v[103:106], v[115:116]
	s_or_b64 s[4:5], s[4:5], exec
	flat_load_dwordx4 v[107:110], v[107:108]
	s_nop 0
	flat_load_dwordx4 v[111:114], v[111:112]
.LBB50_194:                             ;   in Loop: Header=BB50_148 Depth=1
	v_mov_b32_e32 v115, 0
	v_mov_b32_e32 v117, 0
	;; [unrolled: 1-line block ×4, first 2 shown]
	s_and_saveexec_b64 s[8:9], s[4:5]
	s_cbranch_execz .LBB50_196
; %bb.195:                              ;   in Loop: Header=BB50_148 Depth=1
	v_add_co_u32_e32 v115, vcc, v200, v196
	v_addc_co_u32_e32 v116, vcc, v201, v197, vcc
	flat_load_dwordx4 v[115:118], v[115:116]
.LBB50_196:                             ;   in Loop: Header=BB50_148 Depth=1
	s_or_b64 exec, exec, s[8:9]
	v_add_f64 v[147:148], v[147:148], 0
	v_add_f64 v[149:150], v[149:150], 0
	v_add_f64 v[131:132], v[131:132], 0
	v_add_f64 v[133:134], v[133:134], 0
	v_add_f64 v[163:164], v[163:164], 0
	v_add_f64 v[165:166], v[165:166], 0
	v_cmp_gt_i32_e32 vcc, s22, v0
	s_or_b64 s[4:5], s[14:15], vcc
	v_add_f64 v[143:144], v[147:148], v[143:144]
	v_add_f64 v[145:146], v[149:150], v[145:146]
	v_add_f64 v[127:128], v[131:132], v[127:128]
	v_add_f64 v[129:130], v[133:134], v[129:130]
	v_add_f64 v[159:160], v[163:164], v[159:160]
	v_add_f64 v[161:162], v[165:166], v[161:162]
	s_and_b64 s[8:9], s[2:3], s[4:5]
	v_add_f64 v[139:140], v[143:144], v[139:140]
	v_add_f64 v[141:142], v[145:146], v[141:142]
	;; [unrolled: 1-line block ×10, first 2 shown]
	ds_read_b128 v[143:146], v176
	ds_read_b128 v[131:134], v175 offset:768
	ds_read_b128 v[127:130], v175 offset:784
	;; [unrolled: 1-line block ×4, first 2 shown]
	s_waitcnt vmcnt(0) lgkmcnt(0)
	v_mul_f64 v[147:148], v[105:106], v[145:146]
	v_mul_f64 v[149:150], v[105:106], v[143:144]
	v_add_f64 v[151:152], v[155:156], v[151:152]
	v_add_f64 v[153:154], v[157:158], v[153:154]
	v_fma_f64 v[147:148], v[103:104], v[143:144], v[147:148]
	v_fma_f64 v[149:150], v[103:104], v[145:146], -v[149:150]
	ds_write_b128 v177, v[147:150]
	v_mul_f64 v[147:148], v[109:110], v[145:146]
	v_mul_f64 v[149:150], v[109:110], v[143:144]
	v_fma_f64 v[147:148], v[107:108], v[143:144], v[147:148]
	v_fma_f64 v[149:150], v[107:108], v[145:146], -v[149:150]
	ds_write_b128 v177, v[147:150] offset:1072
	v_mul_f64 v[147:148], v[113:114], v[145:146]
	v_mul_f64 v[149:150], v[113:114], v[143:144]
	v_fma_f64 v[147:148], v[111:112], v[143:144], v[147:148]
	v_fma_f64 v[149:150], v[111:112], v[145:146], -v[149:150]
	ds_write_b128 v177, v[147:150] offset:2144
	v_mul_f64 v[147:148], v[117:118], v[145:146]
	v_fma_f64 v[147:148], v[115:116], v[143:144], v[147:148]
	v_mul_f64 v[143:144], v[117:118], v[143:144]
	v_fma_f64 v[149:150], v[115:116], v[145:146], -v[143:144]
	ds_write_b128 v177, v[147:150] offset:3216
	s_waitcnt lgkmcnt(0)
	s_barrier
	ds_read_b128 v[143:146], v178
	ds_read_b128 v[147:150], v178 offset:16
	ds_read_b128 v[155:158], v178 offset:32
	;; [unrolled: 1-line block ×3, first 2 shown]
	s_waitcnt lgkmcnt(0)
	v_add_f64 v[143:144], v[143:144], 0
	v_add_f64 v[145:146], v[145:146], 0
	s_barrier
	v_add_f64 v[143:144], v[143:144], v[147:148]
	v_add_f64 v[145:146], v[145:146], v[149:150]
	;; [unrolled: 1-line block ×6, first 2 shown]
	ds_write_b128 v238, v[139:142]
	ds_write_b128 v238, v[135:138] offset:256
	ds_write_b128 v238, v[151:154] offset:512
	;; [unrolled: 1-line block ×3, first 2 shown]
	s_waitcnt lgkmcnt(0)
	s_barrier
	s_and_saveexec_b64 s[4:5], s[8:9]
	s_cbranch_execz .LBB50_198
; %bb.197:                              ;   in Loop: Header=BB50_148 Depth=1
	ds_read_b128 v[135:138], v179
	ds_read_b128 v[139:142], v179 offset:16
	v_ashrrev_i32_e32 v169, 31, v168
	s_waitcnt lgkmcnt(0)
	v_add_f64 v[143:144], v[139:140], v[135:136]
	v_add_f64 v[145:146], v[141:142], v[137:138]
	ds_read_b128 v[135:138], v179 offset:32
	ds_read_b128 v[139:142], v179 offset:48
	s_waitcnt lgkmcnt(1)
	v_add_f64 v[135:136], v[143:144], v[135:136]
	v_add_f64 v[137:138], v[145:146], v[137:138]
	s_waitcnt lgkmcnt(0)
	v_add_f64 v[143:144], v[135:136], v[139:140]
	v_add_f64 v[145:146], v[137:138], v[141:142]
	ds_read_b128 v[135:138], v179 offset:64
	ds_read_b128 v[139:142], v179 offset:80
	s_waitcnt lgkmcnt(1)
	v_add_f64 v[135:136], v[143:144], v[135:136]
	v_add_f64 v[137:138], v[145:146], v[137:138]
	;; [unrolled: 8-line block ×6, first 2 shown]
	s_waitcnt lgkmcnt(0)
	v_add_f64 v[143:144], v[135:136], v[139:140]
	v_add_f64 v[145:146], v[137:138], v[141:142]
	ds_read_b128 v[135:138], v179 offset:224
	ds_read_b128 v[139:142], v180
	s_waitcnt lgkmcnt(1)
	v_add_f64 v[135:136], v[143:144], v[135:136]
	v_add_f64 v[137:138], v[145:146], v[137:138]
	s_waitcnt lgkmcnt(0)
	v_add_f64 v[135:136], v[135:136], v[139:140]
	v_add_f64 v[137:138], v[137:138], v[141:142]
	v_lshlrev_b64 v[139:140], 4, v[168:169]
	v_mov_b32_e32 v141, s27
	v_add_co_u32_e32 v139, vcc, s17, v139
	v_addc_co_u32_e32 v140, vcc, v141, v140, vcc
	global_store_dwordx4 v[139:140], v[135:138], off
.LBB50_198:                             ;   in Loop: Header=BB50_148 Depth=1
	s_or_b64 exec, exec, s[4:5]
	v_mul_f64 v[135:136], v[9:10], v[49:50]
	v_mul_f64 v[49:50], v[7:8], v[49:50]
	;; [unrolled: 1-line block ×4, first 2 shown]
	v_add_co_u32_e32 v198, vcc, s12, v198
	s_add_i32 s4, s6, 1
	s_add_i32 s10, s10, s30
	v_fma_f64 v[7:8], v[7:8], v[47:48], -v[135:136]
	v_fma_f64 v[9:10], v[9:10], v[47:48], v[49:50]
	v_mul_f64 v[47:48], v[17:18], v[37:38]
	v_mul_f64 v[37:38], v[15:16], v[37:38]
	v_fma_f64 v[11:12], v[11:12], v[43:44], -v[137:138]
	v_fma_f64 v[13:14], v[13:14], v[43:44], v[45:46]
	v_mul_f64 v[49:50], v[21:22], v[25:26]
	v_mul_f64 v[25:26], v[19:20], v[25:26]
	v_add_f64 v[2:3], v[2:3], v[7:8]
	v_add_f64 v[4:5], v[4:5], v[9:10]
	v_fma_f64 v[15:16], v[15:16], v[35:36], -v[47:48]
	v_fma_f64 v[17:18], v[17:18], v[35:36], v[37:38]
	v_mul_f64 v[7:8], v[33:34], v[77:78]
	v_mul_f64 v[9:10], v[31:32], v[77:78]
	v_fma_f64 v[19:20], v[19:20], v[23:24], -v[49:50]
	v_fma_f64 v[21:22], v[21:22], v[23:24], v[25:26]
	v_add_f64 v[2:3], v[2:3], v[11:12]
	v_add_f64 v[4:5], v[4:5], v[13:14]
	v_mul_f64 v[43:44], v[29:30], v[73:74]
	v_mul_f64 v[45:46], v[27:28], v[73:74]
	v_fma_f64 v[7:8], v[31:32], v[75:76], -v[7:8]
	v_fma_f64 v[9:10], v[33:34], v[75:76], v[9:10]
	v_mul_f64 v[11:12], v[41:42], v[61:62]
	v_mul_f64 v[13:14], v[39:40], v[61:62]
	v_add_f64 v[2:3], v[2:3], v[15:16]
	v_add_f64 v[4:5], v[4:5], v[17:18]
	v_fma_f64 v[27:28], v[27:28], v[71:72], -v[43:44]
	v_fma_f64 v[29:30], v[29:30], v[71:72], v[45:46]
	v_mul_f64 v[35:36], v[53:54], v[57:58]
	v_mul_f64 v[37:38], v[51:52], v[57:58]
	v_fma_f64 v[11:12], v[39:40], v[59:60], -v[11:12]
	v_fma_f64 v[13:14], v[41:42], v[59:60], v[13:14]
	v_add_f64 v[2:3], v[2:3], v[19:20]
	v_add_f64 v[4:5], v[4:5], v[21:22]
	v_mul_f64 v[15:16], v[65:66], v[101:102]
	v_mul_f64 v[17:18], v[63:64], v[101:102]
	v_fma_f64 v[35:36], v[51:52], v[55:56], -v[35:36]
	v_fma_f64 v[37:38], v[53:54], v[55:56], v[37:38]
	v_mul_f64 v[23:24], v[69:70], v[97:98]
	v_mul_f64 v[25:26], v[67:68], v[97:98]
	v_add_f64 v[2:3], v[2:3], v[7:8]
	v_add_f64 v[4:5], v[4:5], v[9:10]
	v_mul_f64 v[19:20], v[81:82], v[93:94]
	v_mul_f64 v[21:22], v[79:80], v[93:94]
	;; [unrolled: 1-line block ×6, first 2 shown]
	v_add_f64 v[2:3], v[2:3], v[27:28]
	v_add_f64 v[4:5], v[4:5], v[29:30]
	v_mul_f64 v[43:44], v[109:110], v[129:130]
	v_mul_f64 v[45:46], v[107:108], v[129:130]
	;; [unrolled: 1-line block ×4, first 2 shown]
	v_fma_f64 v[7:8], v[103:104], v[131:132], -v[7:8]
	v_fma_f64 v[9:10], v[105:106], v[131:132], v[9:10]
	v_add_f64 v[2:3], v[2:3], v[11:12]
	v_add_f64 v[4:5], v[4:5], v[13:14]
	v_fma_f64 v[11:12], v[63:64], v[99:100], -v[15:16]
	v_fma_f64 v[13:14], v[65:66], v[99:100], v[17:18]
	v_fma_f64 v[15:16], v[67:68], v[95:96], -v[23:24]
	v_fma_f64 v[17:18], v[69:70], v[95:96], v[25:26]
	v_mul_f64 v[39:40], v[117:118], v[121:122]
	v_mul_f64 v[41:42], v[115:116], v[121:122]
	v_add_f64 v[2:3], v[2:3], v[35:36]
	v_add_f64 v[4:5], v[4:5], v[37:38]
	v_mov_b32_e32 v35, s13
	v_addc_co_u32_e32 v199, vcc, v199, v35, vcc
	v_add_co_u32_e32 v200, vcc, s12, v200
	v_addc_co_u32_e32 v201, vcc, v201, v35, vcc
	v_add_f64 v[2:3], v[2:3], v[11:12]
	v_add_f64 v[4:5], v[4:5], v[13:14]
	v_fma_f64 v[11:12], v[79:80], v[91:92], -v[19:20]
	v_fma_f64 v[13:14], v[81:82], v[91:92], v[21:22]
	v_add_co_u32_e32 v202, vcc, s12, v202
	v_addc_co_u32_e32 v203, vcc, v203, v35, vcc
	v_add_f64 v[2:3], v[2:3], v[15:16]
	v_add_f64 v[4:5], v[4:5], v[17:18]
	v_fma_f64 v[15:16], v[83:84], v[87:88], -v[31:32]
	v_fma_f64 v[17:18], v[85:86], v[87:88], v[33:34]
	;; [unrolled: 6-line block ×3, first 2 shown]
	v_add_co_u32_e32 v206, vcc, s12, v206
	v_addc_co_u32_e32 v207, vcc, v207, v35, vcc
	v_add_f64 v[2:3], v[2:3], v[15:16]
	v_add_f64 v[4:5], v[4:5], v[17:18]
	v_add_co_u32_e32 v208, vcc, s12, v208
	v_addc_co_u32_e32 v209, vcc, v209, v35, vcc
	v_add_co_u32_e32 v210, vcc, s12, v210
	v_add_f64 v[2:3], v[2:3], v[7:8]
	v_add_f64 v[4:5], v[4:5], v[9:10]
	v_addc_co_u32_e32 v211, vcc, v211, v35, vcc
	v_add_co_u32_e32 v212, vcc, s12, v212
	v_addc_co_u32_e32 v213, vcc, v213, v35, vcc
	v_fma_f64 v[7:8], v[111:112], v[123:124], -v[27:28]
	v_fma_f64 v[9:10], v[113:114], v[123:124], v[29:30]
	v_add_f64 v[2:3], v[2:3], v[11:12]
	v_add_f64 v[4:5], v[4:5], v[13:14]
	v_add_co_u32_e32 v214, vcc, s12, v214
	v_addc_co_u32_e32 v215, vcc, v215, v35, vcc
	v_add_co_u32_e32 v216, vcc, s12, v216
	v_addc_co_u32_e32 v217, vcc, v217, v35, vcc
	;; [unrolled: 2-line block ×4, first 2 shown]
	v_fma_f64 v[11:12], v[115:116], v[119:120], -v[39:40]
	v_fma_f64 v[13:14], v[117:118], v[119:120], v[41:42]
	v_add_f64 v[2:3], v[2:3], v[7:8]
	v_add_f64 v[4:5], v[4:5], v[9:10]
	v_add_co_u32_e32 v222, vcc, s12, v222
	v_addc_co_u32_e32 v223, vcc, v223, v35, vcc
	v_add_co_u32_e32 v224, vcc, s12, v224
	v_addc_co_u32_e32 v225, vcc, v225, v35, vcc
	;; [unrolled: 2-line block ×4, first 2 shown]
	v_add_f64 v[2:3], v[2:3], v[11:12]
	v_add_f64 v[4:5], v[4:5], v[13:14]
	v_add_co_u32_e32 v230, vcc, s12, v230
	v_addc_co_u32_e32 v231, vcc, v231, v35, vcc
	v_add_co_u32_e32 v232, vcc, s12, v232
	v_addc_co_u32_e32 v233, vcc, v233, v35, vcc
	;; [unrolled: 2-line block ×3, first 2 shown]
	s_add_i32 s5, s6, 2
	v_add_co_u32_e32 v236, vcc, s12, v236
	v_add_u32_e32 v168, 64, v168
	s_cmp_ge_u32 s5, s7
	v_addc_co_u32_e32 v237, vcc, v237, v35, vcc
	s_waitcnt vmcnt(0)
	s_barrier
	s_cbranch_scc0 .LBB50_143
.LBB50_199:
	s_movk_i32 s2, 0x430
	v_cmp_gt_i32_e32 vcc, s16, v0
	v_mad_u32_u24 v1, v1, s2, v170
	s_or_b64 s[2:3], s[18:19], vcc
	s_and_b64 s[0:1], s[0:1], s[2:3]
	ds_write_b128 v1, v[2:5]
	s_waitcnt lgkmcnt(0)
	s_barrier
	s_and_saveexec_b64 s[2:3], s[0:1]
	s_cbranch_execz .LBB50_201
; %bb.200:
	ds_read_b128 v[0:3], v170 offset:1072
	ds_read_b128 v[4:7], v170
	v_ashrrev_i32_e32 v168, 31, v167
	s_waitcnt lgkmcnt(0)
	v_add_f64 v[8:9], v[0:1], v[4:5]
	v_add_f64 v[10:11], v[2:3], v[6:7]
	ds_read_b128 v[0:3], v170 offset:2144
	ds_read_b128 v[4:7], v170 offset:3216
	s_waitcnt lgkmcnt(1)
	v_add_f64 v[0:1], v[8:9], v[0:1]
	v_add_f64 v[2:3], v[10:11], v[2:3]
	s_waitcnt lgkmcnt(0)
	v_add_f64 v[0:1], v[0:1], v[4:5]
	v_add_f64 v[2:3], v[2:3], v[6:7]
	v_lshlrev_b64 v[4:5], 4, v[167:168]
	v_mov_b32_e32 v6, s27
	v_add_co_u32_e32 v4, vcc, s17, v4
	v_addc_co_u32_e32 v5, vcc, v6, v5, vcc
	global_store_dwordx4 v[4:5], v[0:3], off
.LBB50_201:
	s_endpgm
	.section	.rodata,"a",@progbits
	.p2align	6, 0x0
	.amdhsa_kernel _ZL26rocblas_hemvn_kernel_upperILb1ELi64ELi4ELi33ELi32ELi16EiPK19rocblas_complex_numIdEPKS3_PS1_EviT6_lT7_lT5_lS8_lS9_lS7_lT8_i
		.amdhsa_group_segment_fixed_size 19200
		.amdhsa_private_segment_fixed_size 0
		.amdhsa_kernarg_size 376
		.amdhsa_user_sgpr_count 6
		.amdhsa_user_sgpr_private_segment_buffer 1
		.amdhsa_user_sgpr_dispatch_ptr 0
		.amdhsa_user_sgpr_queue_ptr 0
		.amdhsa_user_sgpr_kernarg_segment_ptr 1
		.amdhsa_user_sgpr_dispatch_id 0
		.amdhsa_user_sgpr_flat_scratch_init 0
		.amdhsa_user_sgpr_private_segment_size 0
		.amdhsa_uses_dynamic_stack 0
		.amdhsa_system_sgpr_private_segment_wavefront_offset 0
		.amdhsa_system_sgpr_workgroup_id_x 1
		.amdhsa_system_sgpr_workgroup_id_y 0
		.amdhsa_system_sgpr_workgroup_id_z 1
		.amdhsa_system_sgpr_workgroup_info 0
		.amdhsa_system_vgpr_workitem_id 1
		.amdhsa_next_free_vgpr 239
		.amdhsa_next_free_sgpr 98
		.amdhsa_reserve_vcc 1
		.amdhsa_reserve_flat_scratch 0
		.amdhsa_float_round_mode_32 0
		.amdhsa_float_round_mode_16_64 0
		.amdhsa_float_denorm_mode_32 3
		.amdhsa_float_denorm_mode_16_64 3
		.amdhsa_dx10_clamp 1
		.amdhsa_ieee_mode 1
		.amdhsa_fp16_overflow 0
		.amdhsa_exception_fp_ieee_invalid_op 0
		.amdhsa_exception_fp_denorm_src 0
		.amdhsa_exception_fp_ieee_div_zero 0
		.amdhsa_exception_fp_ieee_overflow 0
		.amdhsa_exception_fp_ieee_underflow 0
		.amdhsa_exception_fp_ieee_inexact 0
		.amdhsa_exception_int_div_zero 0
	.end_amdhsa_kernel
	.section	.text._ZL26rocblas_hemvn_kernel_upperILb1ELi64ELi4ELi33ELi32ELi16EiPK19rocblas_complex_numIdEPKS3_PS1_EviT6_lT7_lT5_lS8_lS9_lS7_lT8_i,"axG",@progbits,_ZL26rocblas_hemvn_kernel_upperILb1ELi64ELi4ELi33ELi32ELi16EiPK19rocblas_complex_numIdEPKS3_PS1_EviT6_lT7_lT5_lS8_lS9_lS7_lT8_i,comdat
.Lfunc_end50:
	.size	_ZL26rocblas_hemvn_kernel_upperILb1ELi64ELi4ELi33ELi32ELi16EiPK19rocblas_complex_numIdEPKS3_PS1_EviT6_lT7_lT5_lS8_lS9_lS7_lT8_i, .Lfunc_end50-_ZL26rocblas_hemvn_kernel_upperILb1ELi64ELi4ELi33ELi32ELi16EiPK19rocblas_complex_numIdEPKS3_PS1_EviT6_lT7_lT5_lS8_lS9_lS7_lT8_i
                                        ; -- End function
	.set _ZL26rocblas_hemvn_kernel_upperILb1ELi64ELi4ELi33ELi32ELi16EiPK19rocblas_complex_numIdEPKS3_PS1_EviT6_lT7_lT5_lS8_lS9_lS7_lT8_i.num_vgpr, 239
	.set _ZL26rocblas_hemvn_kernel_upperILb1ELi64ELi4ELi33ELi32ELi16EiPK19rocblas_complex_numIdEPKS3_PS1_EviT6_lT7_lT5_lS8_lS9_lS7_lT8_i.num_agpr, 0
	.set _ZL26rocblas_hemvn_kernel_upperILb1ELi64ELi4ELi33ELi32ELi16EiPK19rocblas_complex_numIdEPKS3_PS1_EviT6_lT7_lT5_lS8_lS9_lS7_lT8_i.numbered_sgpr, 44
	.set _ZL26rocblas_hemvn_kernel_upperILb1ELi64ELi4ELi33ELi32ELi16EiPK19rocblas_complex_numIdEPKS3_PS1_EviT6_lT7_lT5_lS8_lS9_lS7_lT8_i.num_named_barrier, 0
	.set _ZL26rocblas_hemvn_kernel_upperILb1ELi64ELi4ELi33ELi32ELi16EiPK19rocblas_complex_numIdEPKS3_PS1_EviT6_lT7_lT5_lS8_lS9_lS7_lT8_i.private_seg_size, 0
	.set _ZL26rocblas_hemvn_kernel_upperILb1ELi64ELi4ELi33ELi32ELi16EiPK19rocblas_complex_numIdEPKS3_PS1_EviT6_lT7_lT5_lS8_lS9_lS7_lT8_i.uses_vcc, 1
	.set _ZL26rocblas_hemvn_kernel_upperILb1ELi64ELi4ELi33ELi32ELi16EiPK19rocblas_complex_numIdEPKS3_PS1_EviT6_lT7_lT5_lS8_lS9_lS7_lT8_i.uses_flat_scratch, 0
	.set _ZL26rocblas_hemvn_kernel_upperILb1ELi64ELi4ELi33ELi32ELi16EiPK19rocblas_complex_numIdEPKS3_PS1_EviT6_lT7_lT5_lS8_lS9_lS7_lT8_i.has_dyn_sized_stack, 0
	.set _ZL26rocblas_hemvn_kernel_upperILb1ELi64ELi4ELi33ELi32ELi16EiPK19rocblas_complex_numIdEPKS3_PS1_EviT6_lT7_lT5_lS8_lS9_lS7_lT8_i.has_recursion, 0
	.set _ZL26rocblas_hemvn_kernel_upperILb1ELi64ELi4ELi33ELi32ELi16EiPK19rocblas_complex_numIdEPKS3_PS1_EviT6_lT7_lT5_lS8_lS9_lS7_lT8_i.has_indirect_call, 0
	.section	.AMDGPU.csdata,"",@progbits
; Kernel info:
; codeLenInByte = 11448
; TotalNumSgprs: 48
; NumVgprs: 239
; ScratchSize: 0
; MemoryBound: 1
; FloatMode: 240
; IeeeMode: 1
; LDSByteSize: 19200 bytes/workgroup (compile time only)
; SGPRBlocks: 12
; VGPRBlocks: 59
; NumSGPRsForWavesPerEU: 102
; NumVGPRsForWavesPerEU: 239
; Occupancy: 1
; WaveLimiterHint : 1
; COMPUTE_PGM_RSRC2:SCRATCH_EN: 0
; COMPUTE_PGM_RSRC2:USER_SGPR: 6
; COMPUTE_PGM_RSRC2:TRAP_HANDLER: 0
; COMPUTE_PGM_RSRC2:TGID_X_EN: 1
; COMPUTE_PGM_RSRC2:TGID_Y_EN: 0
; COMPUTE_PGM_RSRC2:TGID_Z_EN: 1
; COMPUTE_PGM_RSRC2:TIDIG_COMP_CNT: 1
	.section	.text._ZL36rocblas_hemvn_kernel_upper_block_sumILi64EiPK19rocblas_complex_numIdEPKPS1_S1_EviT1_lS7_lT2_lT0_lPT3_i,"axG",@progbits,_ZL36rocblas_hemvn_kernel_upper_block_sumILi64EiPK19rocblas_complex_numIdEPKPS1_S1_EviT1_lS7_lT2_lT0_lPT3_i,comdat
	.globl	_ZL36rocblas_hemvn_kernel_upper_block_sumILi64EiPK19rocblas_complex_numIdEPKPS1_S1_EviT1_lS7_lT2_lT0_lPT3_i ; -- Begin function _ZL36rocblas_hemvn_kernel_upper_block_sumILi64EiPK19rocblas_complex_numIdEPKPS1_S1_EviT1_lS7_lT2_lT0_lPT3_i
	.p2align	8
	.type	_ZL36rocblas_hemvn_kernel_upper_block_sumILi64EiPK19rocblas_complex_numIdEPKPS1_S1_EviT1_lS7_lT2_lT0_lPT3_i,@function
_ZL36rocblas_hemvn_kernel_upper_block_sumILi64EiPK19rocblas_complex_numIdEPKPS1_S1_EviT1_lS7_lT2_lT0_lPT3_i: ; @_ZL36rocblas_hemvn_kernel_upper_block_sumILi64EiPK19rocblas_complex_numIdEPKPS1_S1_EviT1_lS7_lT2_lT0_lPT3_i
; %bb.0:
	s_load_dwordx8 s[20:27], s[4:5], 0x8
	s_mov_b32 s16, s7
	s_waitcnt lgkmcnt(0)
	s_mul_i32 s0, s23, s7
	s_mul_hi_u32 s1, s22, s7
	s_add_i32 s1, s1, s0
	s_mul_i32 s0, s22, s7
	s_lshl_b64 s[0:1], s[0:1], 4
	s_add_u32 s0, s20, s0
	s_addc_u32 s1, s21, s1
	s_load_dwordx4 s[12:15], s[0:1], 0x0
	s_mul_i32 s7, s27, s7
	s_mul_hi_u32 s9, s26, s16
	s_mul_i32 s8, s26, s16
	s_add_i32 s9, s9, s7
	s_waitcnt lgkmcnt(0)
	v_cmp_neq_f64_e64 s[0:1], s[12:13], 0
	v_cmp_neq_f64_e64 s[2:3], s[14:15], 0
	s_lshl_b64 s[8:9], s[8:9], 4
	s_add_u32 s18, s24, s8
	s_addc_u32 s19, s25, s9
	s_load_dwordx4 s[8:11], s[18:19], 0x0
	s_or_b64 s[0:1], s[0:1], s[2:3]
	s_mov_b64 s[2:3], -1
	s_and_b64 vcc, exec, s[0:1]
	s_cbranch_vccnz .LBB51_2
; %bb.1:
	s_waitcnt lgkmcnt(0)
	v_cmp_neq_f64_e64 s[2:3], s[8:9], 1.0
	v_cmp_neq_f64_e64 s[18:19], s[10:11], 0
	s_or_b64 s[2:3], s[2:3], s[18:19]
.LBB51_2:
	s_andn2_b64 vcc, exec, s[2:3]
	s_cbranch_vccnz .LBB51_22
; %bb.3:
	s_load_dwordx4 s[20:23], s[4:5], 0x28
	s_mov_b32 s17, 0
	s_xor_b64 s[0:1], s[0:1], -1
	s_lshl_b64 s[2:3], s[16:17], 3
	s_load_dword s24, s[4:5], 0x38
	s_load_dword s18, s[4:5], 0x0
	s_waitcnt lgkmcnt(0)
	s_add_u32 s2, s20, s2
	s_addc_u32 s3, s21, s3
	s_load_dwordx2 s[2:3], s[2:3], 0x0
	s_lshl_b64 s[20:21], s[22:23], 4
	v_lshl_or_b32 v4, s6, 6, v0
	s_waitcnt lgkmcnt(0)
	s_add_u32 s7, s2, s20
	s_addc_u32 s17, s3, s21
	s_andn2_b64 vcc, exec, s[0:1]
	v_cmp_gt_i32_e64 s[0:1], s18, v4
	s_cbranch_vccnz .LBB51_8
; %bb.4:
	s_mov_b64 s[20:21], 0
	s_mov_b64 s[2:3], 0
                                        ; implicit-def: $vgpr2_vgpr3
                                        ; implicit-def: $vgpr5_vgpr6
	s_and_saveexec_b64 s[22:23], s[0:1]
	s_cbranch_execz .LBB51_9
; %bb.5:
	v_cmp_neq_f64_e64 s[0:1], s[8:9], 0
	v_cmp_neq_f64_e64 s[2:3], s[10:11], 0
	v_mul_lo_u32 v5, s24, v4
	v_mov_b32_e32 v2, 0
	v_mov_b32_e32 v0, 0
	;; [unrolled: 1-line block ×4, first 2 shown]
	v_ashrrev_i32_e32 v6, 31, v5
	s_or_b64 s[0:1], s[0:1], s[2:3]
	s_andn2_b64 vcc, exec, s[0:1]
	s_cbranch_vccnz .LBB51_7
; %bb.6:
	v_lshlrev_b64 v[0:1], 4, v[5:6]
	v_mov_b32_e32 v2, s17
	v_add_co_u32_e32 v0, vcc, s7, v0
	v_addc_co_u32_e32 v1, vcc, v2, v1, vcc
	flat_load_dwordx4 v[7:10], v[0:1]
	s_waitcnt vmcnt(0) lgkmcnt(0)
	v_mul_f64 v[0:1], s[10:11], v[9:10]
	v_mul_f64 v[2:3], s[8:9], v[9:10]
	v_fma_f64 v[0:1], s[8:9], v[7:8], -v[0:1]
	v_fma_f64 v[2:3], s[10:11], v[7:8], v[2:3]
.LBB51_7:
	s_mov_b64 s[2:3], exec
	s_or_b64 exec, exec, s[22:23]
	s_and_b64 vcc, exec, s[20:21]
	s_cbranch_vccnz .LBB51_10
	s_branch .LBB51_20
.LBB51_8:
	s_mov_b64 s[2:3], 0
                                        ; implicit-def: $vgpr2_vgpr3
                                        ; implicit-def: $vgpr5_vgpr6
	s_cbranch_execnz .LBB51_10
	s_branch .LBB51_20
.LBB51_9:
	s_or_b64 exec, exec, s[22:23]
	s_and_b64 vcc, exec, s[20:21]
	s_cbranch_vccz .LBB51_20
.LBB51_10:
	v_cmp_gt_i32_e32 vcc, s18, v4
                                        ; implicit-def: $vgpr2_vgpr3
                                        ; implicit-def: $vgpr5_vgpr6
	s_and_saveexec_b64 s[0:1], vcc
	s_cbranch_execz .LBB51_19
; %bb.11:
	v_mov_b32_e32 v0, 0
	v_mov_b32_e32 v2, 0
	;; [unrolled: 1-line block ×3, first 2 shown]
	s_cmp_lt_i32 s6, 0
	v_mov_b32_e32 v3, 0
	s_cbranch_scc1 .LBB51_14
; %bb.12:
	s_load_dwordx2 s[20:21], s[4:5], 0x48
	s_load_dword s22, s[4:5], 0x58
	s_ashr_i32 s19, s18, 31
	s_mul_hi_u32 s4, s18, s16
	s_mul_i32 s5, s19, s16
	s_add_i32 s4, s4, s5
	s_mul_i32 s16, s18, s16
	s_waitcnt lgkmcnt(0)
	s_mul_i32 s4, s4, s22
	s_mul_hi_u32 s5, s16, s22
	s_add_i32 s5, s5, s4
	s_mul_i32 s4, s16, s22
	v_mov_b32_e32 v5, 0
	s_add_i32 s6, s6, 1
	s_lshl_b64 s[4:5], s[4:5], 4
	v_lshlrev_b64 v[0:1], 4, v[4:5]
	s_add_u32 s4, s20, s4
	s_addc_u32 s5, s21, s5
	v_mov_b32_e32 v2, s5
	v_add_co_u32_e32 v0, vcc, s4, v0
	v_addc_co_u32_e32 v1, vcc, v2, v1, vcc
	v_add_co_u32_e32 v5, vcc, 8, v0
	v_addc_co_u32_e32 v6, vcc, 0, v1, vcc
	s_lshl_b64 s[4:5], s[18:19], 4
	v_mov_b32_e32 v0, 0
	v_mov_b32_e32 v2, 0
	;; [unrolled: 1-line block ×5, first 2 shown]
.LBB51_13:                              ; =>This Inner Loop Header: Depth=1
	global_load_dwordx4 v[8:11], v[5:6], off offset:-8
	s_add_i32 s6, s6, -1
	v_add_co_u32_e32 v5, vcc, s4, v5
	s_cmp_eq_u32 s6, 0
	v_addc_co_u32_e32 v6, vcc, v6, v7, vcc
	s_waitcnt vmcnt(0)
	v_add_f64 v[2:3], v[2:3], v[8:9]
	v_add_f64 v[0:1], v[0:1], v[10:11]
	s_cbranch_scc0 .LBB51_13
.LBB51_14:
	v_mul_f64 v[5:6], s[14:15], v[0:1]
	v_mul_f64 v[7:8], s[12:13], v[0:1]
	v_cmp_neq_f64_e64 s[18:19], s[8:9], 0
	v_cmp_neq_f64_e64 s[20:21], s[10:11], 0
	s_mov_b64 s[4:5], 0
	v_fma_f64 v[0:1], s[12:13], v[2:3], -v[5:6]
	v_fma_f64 v[2:3], s[14:15], v[2:3], v[7:8]
	v_mul_lo_u32 v5, s24, v4
	s_or_b64 s[12:13], s[18:19], s[20:21]
	s_andn2_b64 vcc, exec, s[12:13]
	v_ashrrev_i32_e32 v6, 31, v5
	s_cbranch_vccnz .LBB51_16
; %bb.15:
	s_mov_b64 s[4:5], -1
.LBB51_16:
	s_andn2_b64 vcc, exec, s[4:5]
	s_cbranch_vccnz .LBB51_18
; %bb.17:
	v_lshlrev_b64 v[7:8], 4, v[5:6]
	v_mov_b32_e32 v4, s17
	v_add_co_u32_e32 v7, vcc, s7, v7
	v_addc_co_u32_e32 v8, vcc, v4, v8, vcc
	flat_load_dwordx4 v[7:10], v[7:8]
	s_waitcnt vmcnt(0) lgkmcnt(0)
	v_mul_f64 v[11:12], s[10:11], v[9:10]
	v_mul_f64 v[9:10], s[8:9], v[9:10]
	v_fma_f64 v[11:12], s[8:9], v[7:8], -v[11:12]
	v_fma_f64 v[7:8], s[10:11], v[7:8], v[9:10]
	v_add_f64 v[0:1], v[0:1], v[11:12]
	v_add_f64 v[2:3], v[2:3], v[7:8]
.LBB51_18:
	s_or_b64 s[2:3], s[2:3], exec
.LBB51_19:
	s_or_b64 exec, exec, s[0:1]
.LBB51_20:
	s_and_saveexec_b64 s[0:1], s[2:3]
	s_cbranch_execz .LBB51_22
; %bb.21:
	v_lshlrev_b64 v[4:5], 4, v[5:6]
	v_mov_b32_e32 v6, s17
	v_add_co_u32_e32 v4, vcc, s7, v4
	v_addc_co_u32_e32 v5, vcc, v6, v5, vcc
	flat_store_dwordx4 v[4:5], v[0:3]
.LBB51_22:
	s_endpgm
	.section	.rodata,"a",@progbits
	.p2align	6, 0x0
	.amdhsa_kernel _ZL36rocblas_hemvn_kernel_upper_block_sumILi64EiPK19rocblas_complex_numIdEPKPS1_S1_EviT1_lS7_lT2_lT0_lPT3_i
		.amdhsa_group_segment_fixed_size 0
		.amdhsa_private_segment_fixed_size 0
		.amdhsa_kernarg_size 344
		.amdhsa_user_sgpr_count 6
		.amdhsa_user_sgpr_private_segment_buffer 1
		.amdhsa_user_sgpr_dispatch_ptr 0
		.amdhsa_user_sgpr_queue_ptr 0
		.amdhsa_user_sgpr_kernarg_segment_ptr 1
		.amdhsa_user_sgpr_dispatch_id 0
		.amdhsa_user_sgpr_flat_scratch_init 0
		.amdhsa_user_sgpr_private_segment_size 0
		.amdhsa_uses_dynamic_stack 0
		.amdhsa_system_sgpr_private_segment_wavefront_offset 0
		.amdhsa_system_sgpr_workgroup_id_x 1
		.amdhsa_system_sgpr_workgroup_id_y 0
		.amdhsa_system_sgpr_workgroup_id_z 1
		.amdhsa_system_sgpr_workgroup_info 0
		.amdhsa_system_vgpr_workitem_id 0
		.amdhsa_next_free_vgpr 13
		.amdhsa_next_free_sgpr 28
		.amdhsa_reserve_vcc 1
		.amdhsa_reserve_flat_scratch 0
		.amdhsa_float_round_mode_32 0
		.amdhsa_float_round_mode_16_64 0
		.amdhsa_float_denorm_mode_32 3
		.amdhsa_float_denorm_mode_16_64 3
		.amdhsa_dx10_clamp 1
		.amdhsa_ieee_mode 1
		.amdhsa_fp16_overflow 0
		.amdhsa_exception_fp_ieee_invalid_op 0
		.amdhsa_exception_fp_denorm_src 0
		.amdhsa_exception_fp_ieee_div_zero 0
		.amdhsa_exception_fp_ieee_overflow 0
		.amdhsa_exception_fp_ieee_underflow 0
		.amdhsa_exception_fp_ieee_inexact 0
		.amdhsa_exception_int_div_zero 0
	.end_amdhsa_kernel
	.section	.text._ZL36rocblas_hemvn_kernel_upper_block_sumILi64EiPK19rocblas_complex_numIdEPKPS1_S1_EviT1_lS7_lT2_lT0_lPT3_i,"axG",@progbits,_ZL36rocblas_hemvn_kernel_upper_block_sumILi64EiPK19rocblas_complex_numIdEPKPS1_S1_EviT1_lS7_lT2_lT0_lPT3_i,comdat
.Lfunc_end51:
	.size	_ZL36rocblas_hemvn_kernel_upper_block_sumILi64EiPK19rocblas_complex_numIdEPKPS1_S1_EviT1_lS7_lT2_lT0_lPT3_i, .Lfunc_end51-_ZL36rocblas_hemvn_kernel_upper_block_sumILi64EiPK19rocblas_complex_numIdEPKPS1_S1_EviT1_lS7_lT2_lT0_lPT3_i
                                        ; -- End function
	.set _ZL36rocblas_hemvn_kernel_upper_block_sumILi64EiPK19rocblas_complex_numIdEPKPS1_S1_EviT1_lS7_lT2_lT0_lPT3_i.num_vgpr, 13
	.set _ZL36rocblas_hemvn_kernel_upper_block_sumILi64EiPK19rocblas_complex_numIdEPKPS1_S1_EviT1_lS7_lT2_lT0_lPT3_i.num_agpr, 0
	.set _ZL36rocblas_hemvn_kernel_upper_block_sumILi64EiPK19rocblas_complex_numIdEPKPS1_S1_EviT1_lS7_lT2_lT0_lPT3_i.numbered_sgpr, 28
	.set _ZL36rocblas_hemvn_kernel_upper_block_sumILi64EiPK19rocblas_complex_numIdEPKPS1_S1_EviT1_lS7_lT2_lT0_lPT3_i.num_named_barrier, 0
	.set _ZL36rocblas_hemvn_kernel_upper_block_sumILi64EiPK19rocblas_complex_numIdEPKPS1_S1_EviT1_lS7_lT2_lT0_lPT3_i.private_seg_size, 0
	.set _ZL36rocblas_hemvn_kernel_upper_block_sumILi64EiPK19rocblas_complex_numIdEPKPS1_S1_EviT1_lS7_lT2_lT0_lPT3_i.uses_vcc, 1
	.set _ZL36rocblas_hemvn_kernel_upper_block_sumILi64EiPK19rocblas_complex_numIdEPKPS1_S1_EviT1_lS7_lT2_lT0_lPT3_i.uses_flat_scratch, 0
	.set _ZL36rocblas_hemvn_kernel_upper_block_sumILi64EiPK19rocblas_complex_numIdEPKPS1_S1_EviT1_lS7_lT2_lT0_lPT3_i.has_dyn_sized_stack, 0
	.set _ZL36rocblas_hemvn_kernel_upper_block_sumILi64EiPK19rocblas_complex_numIdEPKPS1_S1_EviT1_lS7_lT2_lT0_lPT3_i.has_recursion, 0
	.set _ZL36rocblas_hemvn_kernel_upper_block_sumILi64EiPK19rocblas_complex_numIdEPKPS1_S1_EviT1_lS7_lT2_lT0_lPT3_i.has_indirect_call, 0
	.section	.AMDGPU.csdata,"",@progbits
; Kernel info:
; codeLenInByte = 860
; TotalNumSgprs: 32
; NumVgprs: 13
; ScratchSize: 0
; MemoryBound: 0
; FloatMode: 240
; IeeeMode: 1
; LDSByteSize: 0 bytes/workgroup (compile time only)
; SGPRBlocks: 3
; VGPRBlocks: 3
; NumSGPRsForWavesPerEU: 32
; NumVGPRsForWavesPerEU: 13
; Occupancy: 10
; WaveLimiterHint : 1
; COMPUTE_PGM_RSRC2:SCRATCH_EN: 0
; COMPUTE_PGM_RSRC2:USER_SGPR: 6
; COMPUTE_PGM_RSRC2:TRAP_HANDLER: 0
; COMPUTE_PGM_RSRC2:TGID_X_EN: 1
; COMPUTE_PGM_RSRC2:TGID_Y_EN: 0
; COMPUTE_PGM_RSRC2:TGID_Z_EN: 1
; COMPUTE_PGM_RSRC2:TIDIG_COMP_CNT: 0
	.section	.text._ZL26rocblas_hemvn_kernel_upperILb1ELi64ELi4ELi33ELi32ELi16El19rocblas_complex_numIdEPKPKS1_PS1_EviT6_lT7_lT5_lS8_lS9_lS7_lT8_i,"axG",@progbits,_ZL26rocblas_hemvn_kernel_upperILb1ELi64ELi4ELi33ELi32ELi16El19rocblas_complex_numIdEPKPKS1_PS1_EviT6_lT7_lT5_lS8_lS9_lS7_lT8_i,comdat
	.globl	_ZL26rocblas_hemvn_kernel_upperILb1ELi64ELi4ELi33ELi32ELi16El19rocblas_complex_numIdEPKPKS1_PS1_EviT6_lT7_lT5_lS8_lS9_lS7_lT8_i ; -- Begin function _ZL26rocblas_hemvn_kernel_upperILb1ELi64ELi4ELi33ELi32ELi16El19rocblas_complex_numIdEPKPKS1_PS1_EviT6_lT7_lT5_lS8_lS9_lS7_lT8_i
	.p2align	8
	.type	_ZL26rocblas_hemvn_kernel_upperILb1ELi64ELi4ELi33ELi32ELi16El19rocblas_complex_numIdEPKPKS1_PS1_EviT6_lT7_lT5_lS8_lS9_lS7_lT8_i,@function
_ZL26rocblas_hemvn_kernel_upperILb1ELi64ELi4ELi33ELi32ELi16El19rocblas_complex_numIdEPKPKS1_PS1_EviT6_lT7_lT5_lS8_lS9_lS7_lT8_i: ; @_ZL26rocblas_hemvn_kernel_upperILb1ELi64ELi4ELi33ELi32ELi16El19rocblas_complex_numIdEPKPKS1_PS1_EviT6_lT7_lT5_lS8_lS9_lS7_lT8_i
; %bb.0:
	s_load_dwordx2 s[0:1], s[4:5], 0x94
	s_add_u32 s10, s4, 0x88
	s_addc_u32 s11, s5, 0
	s_waitcnt lgkmcnt(0)
	s_lshr_b32 s2, s0, 16
	s_and_b32 s0, s0, 0xffff
	s_and_b32 s1, s1, 0xffff
	s_mul_i32 s0, s2, s0
	s_mul_i32 s0, s0, s1
	s_cmpk_lg_i32 s0, 0x100
	s_cbranch_scc1 .LBB52_201
; %bb.1:
	s_load_dwordx4 s[0:3], s[4:5], 0x8
	s_mov_b32 s26, s7
	s_waitcnt lgkmcnt(0)
	v_cmp_neq_f64_e64 s[0:1], s[0:1], 0
	v_cmp_neq_f64_e64 s[2:3], s[2:3], 0
	s_or_b64 s[2:3], s[0:1], s[2:3]
	s_mov_b64 s[0:1], -1
	s_and_b64 vcc, exec, s[2:3]
	s_cbranch_vccnz .LBB52_3
; %bb.2:
	s_load_dwordx4 s[0:3], s[4:5], 0x60
	s_waitcnt lgkmcnt(0)
	v_cmp_eq_f64_e64 s[0:1], s[0:1], 1.0
	v_cmp_eq_f64_e64 s[2:3], s[2:3], 0
	s_and_b64 s[0:1], s[0:1], s[2:3]
	s_andn2_b64 vcc, exec, s[0:1]
	s_mov_b64 s[0:1], 0
.LBB52_3:
	s_andn2_b64 vcc, exec, s[0:1]
	s_cbranch_vccnz .LBB52_201
; %bb.4:
	s_load_dword s33, s[4:5], 0x0
	s_load_dwordx4 s[0:3], s[4:5], 0x20
	s_load_dwordx2 s[24:25], s[4:5], 0x30
	s_load_dwordx4 s[12:15], s[4:5], 0x40
	s_mov_b32 s27, 0
	s_lshl_b64 s[8:9], s[26:27], 3
	s_waitcnt lgkmcnt(0)
	s_add_u32 s0, s0, s8
	s_addc_u32 s1, s1, s9
	s_add_u32 s12, s12, s8
	s_addc_u32 s13, s13, s9
	s_load_dwordx2 s[16:17], s[12:13], 0x0
	s_load_dword s7, s[10:11], 0x0
	s_load_dwordx2 s[18:19], s[4:5], 0x50
	s_load_dwordx2 s[8:9], s[0:1], 0x0
	s_lshl_b64 s[0:1], s[14:15], 4
	s_waitcnt lgkmcnt(0)
	s_add_u32 s10, s16, s0
	s_addc_u32 s11, s17, s1
	s_lshl_b32 s28, s6, 6
	s_ashr_i32 s38, s33, 31
	s_lshr_b32 s0, s38, 26
	v_add_u32_e32 v175, s28, v0
	s_add_i32 s0, s33, s0
	v_ashrrev_i32_e32 v176, 31, v175
	s_and_b32 s13, s0, 0xffffffc0
	v_mul_lo_u32 v4, s18, v176
	v_mul_lo_u32 v5, s19, v175
	v_mad_u64_u32 v[2:3], s[0:1], s18, v175, 0
	s_add_i32 s12, s7, -1
	s_sub_i32 s27, s33, s13
	v_add3_u32 v3, v3, v4, v5
	v_lshlrev_b64 v[2:3], 4, v[2:3]
	s_cmp_eq_u32 s6, s12
	v_mov_b32_e32 v4, s11
	v_add_co_u32_e32 v40, vcc, s10, v2
	s_cselect_b32 s20, s27, 0
	v_addc_co_u32_e32 v41, vcc, v4, v3, vcc
	v_cmp_eq_u32_e64 s[0:1], 0, v1
	s_and_saveexec_b64 s[10:11], s[0:1]
	s_cbranch_execz .LBB52_9
; %bb.5:
	s_cmp_lg_u32 s20, 0
	s_cselect_b64 s[12:13], -1, 0
	v_cmp_le_i32_e32 vcc, s20, v0
	v_mov_b32_e32 v2, 0x4700
	s_and_b64 s[12:13], s[12:13], vcc
	v_lshl_add_u32 v2, v0, 4, v2
	s_and_saveexec_b64 s[14:15], s[12:13]
	s_xor_b64 s[12:13], exec, s[14:15]
; %bb.6:
	v_mov_b32_e32 v3, 0
	v_mov_b32_e32 v4, v3
	;; [unrolled: 1-line block ×4, first 2 shown]
	ds_write_b128 v2, v[3:6]
                                        ; implicit-def: $vgpr2
; %bb.7:
	s_andn2_saveexec_b64 s[12:13], s[12:13]
	s_cbranch_execz .LBB52_9
; %bb.8:
	flat_load_dwordx4 v[3:6], v[40:41]
	s_waitcnt vmcnt(0) lgkmcnt(0)
	ds_write2_b64 v2, v[3:4], v[5:6] offset1:1
.LBB52_9:
	s_or_b64 exec, exec, s[10:11]
	v_lshl_add_u32 v44, v1, 6, v0
	v_and_b32_e32 v10, 31, v0
	v_lshrrev_b32_e32 v13, 5, v44
	v_mov_b32_e32 v11, 0
	v_mad_u64_u32 v[2:3], s[10:11], s24, v13, v[10:11]
	s_lshl_b64 s[2:3], s[2:3], 4
	s_add_u32 s8, s8, s2
	s_addc_u32 s9, s9, s3
	v_mad_u64_u32 v[3:4], s[2:3], s25, v13, v[3:4]
	s_ashr_i32 s29, s28, 31
	s_lshl_b64 s[2:3], s[28:29], 4
	s_add_u32 s2, s8, s2
	v_lshlrev_b64 v[38:39], 4, v[2:3]
	s_addc_u32 s3, s9, s3
	v_mov_b32_e32 v2, s3
	v_add_co_u32_e32 v3, vcc, s2, v38
	s_mul_hi_u32 s2, s24, s28
	s_mul_i32 s3, s24, s29
	s_add_i32 s2, s2, s3
	s_mul_i32 s3, s25, s28
	s_add_i32 s3, s2, s3
	s_mul_i32 s2, s24, s28
	s_lshl_b64 s[2:3], s[2:3], 4
	v_addc_co_u32_e32 v4, vcc, v2, v39, vcc
	s_cmp_eq_u32 s20, 0
	v_mov_b32_e32 v5, s3
	v_add_co_u32_e32 v2, vcc, s2, v3
	s_cselect_b64 s[22:23], -1, 0
	s_cmp_lg_u32 s20, 0
	v_addc_co_u32_e32 v3, vcc, v4, v5, vcc
	s_cselect_b64 s[30:31], -1, 0
	s_and_b64 vcc, exec, s[30:31]
	v_cmp_gt_i32_e64 s[2:3], s20, v10
	v_lshlrev_b32_e32 v15, 4, v10
	v_lshlrev_b32_e32 v14, 4, v10
	s_cbranch_vccz .LBB52_27
; %bb.10:
	v_sub_co_u32_e32 v4, vcc, v2, v15
	s_ashr_i32 s21, s20, 31
	v_subbrev_co_u32_e32 v5, vcc, 0, v3, vcc
	s_lshl_b64 s[8:9], s[20:21], 4
	v_mov_b32_e32 v6, s9
	v_add_co_u32_e32 v4, vcc, s8, v4
	v_addc_co_u32_e32 v5, vcc, v5, v6, vcc
	v_add_co_u32_e32 v4, vcc, -16, v4
	v_addc_co_u32_e32 v5, vcc, -1, v5, vcc
	s_movk_i32 s10, 0x210
	v_cndmask_b32_e64 v5, v5, v3, s[2:3]
	v_cndmask_b32_e64 v4, v4, v2, s[2:3]
	v_cmp_le_i32_e32 vcc, s20, v13
	v_mad_u32_u24 v7, v13, s10, v14
	s_and_saveexec_b64 s[10:11], vcc
	s_xor_b64 s[10:11], exec, s[10:11]
; %bb.11:
	v_mov_b32_e32 v16, 0
	v_mov_b32_e32 v17, v16
	;; [unrolled: 1-line block ×4, first 2 shown]
	ds_write_b128 v7, v[16:19]
                                        ; implicit-def: $vgpr7
; %bb.12:
	s_or_saveexec_b64 s[10:11], s[10:11]
	v_mul_u32_u24_e32 v6, 0x210, v13
	s_xor_b64 exec, exec, s[10:11]
	s_cbranch_execz .LBB52_14
; %bb.13:
	flat_load_dwordx4 v[16:19], v[4:5]
	s_waitcnt vmcnt(0) lgkmcnt(0)
	ds_write2_b64 v7, v[16:17], v[18:19] offset1:1
.LBB52_14:
	s_or_b64 exec, exec, s[10:11]
	v_add_u32_e32 v7, 8, v13
	v_cmp_le_i32_e32 vcc, s20, v7
	v_add_u32_e32 v7, v6, v14
	s_and_saveexec_b64 s[10:11], vcc
	s_xor_b64 s[10:11], exec, s[10:11]
; %bb.15:
	v_mov_b32_e32 v16, 0
	v_mov_b32_e32 v17, v16
	;; [unrolled: 1-line block ×4, first 2 shown]
	ds_write_b128 v7, v[16:19] offset:4224
; %bb.16:
	s_andn2_saveexec_b64 s[10:11], s[10:11]
	s_cbranch_execz .LBB52_18
; %bb.17:
	s_lshl_b64 s[12:13], s[24:25], 7
	v_mov_b32_e32 v9, s13
	v_add_co_u32_e32 v8, vcc, s12, v4
	v_addc_co_u32_e32 v9, vcc, v5, v9, vcc
	flat_load_dwordx4 v[16:19], v[8:9]
	s_movk_i32 s12, 0x1080
	v_add3_u32 v8, v6, v14, s12
	s_waitcnt vmcnt(0) lgkmcnt(0)
	ds_write2_b64 v8, v[16:17], v[18:19] offset1:1
.LBB52_18:
	s_or_b64 exec, exec, s[10:11]
	v_add_u32_e32 v8, 16, v13
	v_cmp_le_i32_e32 vcc, s20, v8
	s_and_saveexec_b64 s[10:11], vcc
	s_xor_b64 s[10:11], exec, s[10:11]
; %bb.19:
	v_mov_b32_e32 v16, 0
	v_mov_b32_e32 v17, v16
	;; [unrolled: 1-line block ×4, first 2 shown]
	ds_write_b128 v7, v[16:19] offset:8448
; %bb.20:
	s_andn2_saveexec_b64 s[10:11], s[10:11]
	s_cbranch_execz .LBB52_22
; %bb.21:
	s_lshl_b64 s[12:13], s[24:25], 8
	v_mov_b32_e32 v9, s13
	v_add_co_u32_e32 v8, vcc, s12, v4
	v_addc_co_u32_e32 v9, vcc, v5, v9, vcc
	flat_load_dwordx4 v[16:19], v[8:9]
	s_movk_i32 s12, 0x2100
	v_add3_u32 v8, v6, v14, s12
	s_waitcnt vmcnt(0) lgkmcnt(0)
	ds_write2_b64 v8, v[16:17], v[18:19] offset1:1
.LBB52_22:
	s_or_b64 exec, exec, s[10:11]
	v_add_u32_e32 v8, 24, v13
	v_cmp_le_i32_e32 vcc, s20, v8
	s_and_saveexec_b64 s[10:11], vcc
	s_xor_b64 s[10:11], exec, s[10:11]
; %bb.23:
	v_mov_b32_e32 v16, 0
	v_mov_b32_e32 v17, v16
	;; [unrolled: 1-line block ×4, first 2 shown]
	ds_write_b128 v7, v[16:19] offset:12672
                                        ; implicit-def: $vgpr6
; %bb.24:
	s_andn2_saveexec_b64 s[10:11], s[10:11]
	s_cbranch_execz .LBB52_26
; %bb.25:
	v_mov_b32_e32 v7, 0x180
	v_mad_u64_u32 v[7:8], s[12:13], s24, v7, v[4:5]
	s_mul_i32 s12, s25, 0x180
	v_add_u32_e32 v8, s12, v8
	flat_load_dwordx4 v[16:19], v[7:8]
	s_movk_i32 s12, 0x3180
	v_add3_u32 v6, v6, v14, s12
	s_waitcnt vmcnt(0) lgkmcnt(0)
	ds_write2_b64 v6, v[16:17], v[18:19] offset1:1
.LBB52_26:
	s_or_b64 exec, exec, s[10:11]
	v_add_co_u32_e32 v4, vcc, v4, v15
	v_addc_co_u32_e32 v5, vcc, 0, v5, vcc
	v_mov_b32_e32 v6, s9
	v_subrev_co_u32_e32 v4, vcc, s8, v4
	v_subb_co_u32_e32 v5, vcc, v5, v6, vcc
	v_add_co_u32_e32 v4, vcc, 16, v4
	v_addc_co_u32_e32 v5, vcc, 0, v5, vcc
	v_cndmask_b32_e64 v7, v5, v3, s[2:3]
	v_cndmask_b32_e64 v6, v4, v2, s[2:3]
	s_branch .LBB52_29
.LBB52_27:
                                        ; implicit-def: $vgpr6_vgpr7
	s_cbranch_execz .LBB52_29
; %bb.28:
	flat_load_dwordx4 v[4:7], v[2:3]
	v_mul_u32_u24_e32 v8, 0x210, v13
	s_lshl_b64 s[2:3], s[24:25], 7
	v_lshl_add_u32 v11, v10, 4, v8
	v_mov_b32_e32 v12, s3
	v_add_co_u32_e32 v8, vcc, s2, v2
	v_addc_co_u32_e32 v9, vcc, v3, v12, vcc
	v_add_u32_e32 v16, 0x1080, v11
	s_waitcnt vmcnt(0) lgkmcnt(0)
	ds_write2_b64 v11, v[4:5], v[6:7] offset1:1
	flat_load_dwordx4 v[4:7], v[8:9]
	v_add_co_u32_e32 v8, vcc, s2, v8
	v_addc_co_u32_e32 v9, vcc, v9, v12, vcc
	s_waitcnt vmcnt(0) lgkmcnt(0)
	ds_write2_b64 v16, v[4:5], v[6:7] offset1:1
	flat_load_dwordx4 v[4:7], v[8:9]
	v_add_u32_e32 v16, 0x2100, v11
	v_add_co_u32_e32 v8, vcc, s2, v8
	v_addc_co_u32_e32 v9, vcc, v9, v12, vcc
	s_waitcnt vmcnt(0) lgkmcnt(0)
	ds_write2_b64 v16, v[4:5], v[6:7] offset1:1
	flat_load_dwordx4 v[4:7], v[8:9]
	v_add_u32_e32 v8, 0x3180, v11
	s_waitcnt vmcnt(0) lgkmcnt(0)
	ds_write2_b64 v8, v[4:5], v[6:7] offset1:1
	v_mov_b32_e32 v7, v3
	v_mov_b32_e32 v6, v2
.LBB52_29:
	v_lshlrev_b32_e32 v18, 2, v13
	v_mul_u32_u24_e32 v16, 0x210, v10
	v_cmp_le_u32_e64 s[16:17], v18, v10
	s_mov_b64 s[2:3], 0
	s_waitcnt lgkmcnt(0)
	s_barrier
                                        ; implicit-def: $vgpr2
	s_and_saveexec_b64 s[8:9], s[16:17]
	s_xor_b64 s[8:9], exec, s[8:9]
	s_cbranch_execz .LBB52_33
; %bb.30:
	v_cmp_eq_u32_e32 vcc, v18, v10
                                        ; implicit-def: $vgpr2
	s_and_saveexec_b64 s[10:11], vcc
	s_xor_b64 s[10:11], exec, s[10:11]
; %bb.31:
	s_mov_b64 s[2:3], exec
	v_add_u32_e32 v2, v14, v16
; %bb.32:
	s_or_b64 exec, exec, s[10:11]
	s_and_b64 s[2:3], s[2:3], exec
.LBB52_33:
	s_or_saveexec_b64 s[8:9], s[8:9]
	v_lshl_or_b32 v3, v10, 9, v14
	v_mov_b32_e32 v4, 0
	v_mov_b32_e32 v5, 0
	v_lshl_add_u32 v8, v18, 4, v3
	s_xor_b64 exec, exec, s[8:9]
	s_cbranch_execz .LBB52_35
; %bb.34:
	s_movk_i32 s10, 0x840
	v_mad_u32_u24 v2, v13, s10, v14
	ds_read_b128 v[2:5], v2
	s_or_b64 s[2:3], s[2:3], exec
	s_waitcnt lgkmcnt(0)
	v_xor_b32_e32 v5, 0x80000000, v5
	ds_write_b64 v8, v[2:3]
	v_mov_b32_e32 v2, v8
.LBB52_35:
	s_or_b64 exec, exec, s[8:9]
	s_and_saveexec_b64 s[8:9], s[2:3]
; %bb.36:
	ds_write_b64 v2, v[4:5] offset:8
; %bb.37:
	s_or_b64 exec, exec, s[8:9]
	v_or_b32_e32 v19, 1, v18
	v_cmp_ge_u32_e64 s[8:9], v18, v10
	s_mov_b64 s[2:3], 0
                                        ; implicit-def: $vgpr4_vgpr5
                                        ; implicit-def: $vgpr9
	s_and_saveexec_b64 s[10:11], s[8:9]
	s_xor_b64 s[10:11], exec, s[10:11]
	s_cbranch_execz .LBB52_77
; %bb.38:
	s_movk_i32 s12, 0x210
	v_mad_u32_u24 v2, v19, s12, v14
	ds_read_b128 v[2:5], v2
	s_mov_b64 s[2:3], exec
	v_add_u32_e32 v9, 16, v8
	s_waitcnt lgkmcnt(0)
	v_xor_b32_e32 v5, 0x80000000, v5
	ds_write_b64 v8, v[2:3] offset:16
	s_andn2_saveexec_b64 s[10:11], s[10:11]
	s_cbranch_execnz .LBB52_78
.LBB52_39:
	s_or_b64 exec, exec, s[10:11]
	s_and_saveexec_b64 s[10:11], s[2:3]
.LBB52_40:
	ds_write_b64 v9, v[4:5] offset:8
.LBB52_41:
	s_or_b64 exec, exec, s[10:11]
	v_or_b32_e32 v20, 2, v18
	v_cmp_le_u32_e64 s[10:11], v20, v10
	s_mov_b64 s[2:3], 0
                                        ; implicit-def: $vgpr9
	s_and_saveexec_b64 s[12:13], s[10:11]
	s_xor_b64 s[12:13], exec, s[12:13]
	s_cbranch_execz .LBB52_45
; %bb.42:
	v_cmp_eq_u32_e32 vcc, v20, v10
                                        ; implicit-def: $vgpr9
	s_and_saveexec_b64 s[14:15], vcc
; %bb.43:
	s_mov_b64 s[2:3], exec
	v_add_u32_e32 v9, v14, v16
; %bb.44:
	s_or_b64 exec, exec, s[14:15]
	s_and_b64 s[2:3], s[2:3], exec
.LBB52_45:
	s_or_saveexec_b64 s[12:13], s[12:13]
	v_mov_b32_e32 v4, 0
	v_mov_b32_e32 v5, 0
	s_xor_b64 exec, exec, s[12:13]
	s_cbranch_execz .LBB52_47
; %bb.46:
	s_movk_i32 s14, 0x210
	v_mad_u32_u24 v2, v20, s14, v14
	ds_read_b128 v[2:5], v2
	v_add_u32_e32 v9, 32, v8
	s_or_b64 s[2:3], s[2:3], exec
	s_waitcnt lgkmcnt(0)
	v_xor_b32_e32 v5, 0x80000000, v5
	ds_write_b64 v8, v[2:3] offset:32
.LBB52_47:
	s_or_b64 exec, exec, s[12:13]
	s_and_saveexec_b64 s[12:13], s[2:3]
; %bb.48:
	ds_write_b64 v9, v[4:5] offset:8
; %bb.49:
	s_or_b64 exec, exec, s[12:13]
	v_or_b32_e32 v21, 3, v18
	v_cmp_le_u32_e64 s[12:13], v21, v10
	s_mov_b64 s[2:3], 0
                                        ; implicit-def: $vgpr9
	s_and_saveexec_b64 s[14:15], s[12:13]
	s_xor_b64 s[14:15], exec, s[14:15]
	s_cbranch_execz .LBB52_53
; %bb.50:
	v_cmp_eq_u32_e32 vcc, v21, v10
                                        ; implicit-def: $vgpr9
	s_and_saveexec_b64 s[34:35], vcc
; %bb.51:
	s_mov_b64 s[2:3], exec
	v_add_u32_e32 v9, v14, v16
; %bb.52:
	s_or_b64 exec, exec, s[34:35]
	s_and_b64 s[2:3], s[2:3], exec
                                        ; implicit-def: $vgpr8
.LBB52_53:
	s_or_saveexec_b64 s[14:15], s[14:15]
	v_mov_b32_e32 v4, 0
	v_mov_b32_e32 v5, 0
	s_xor_b64 exec, exec, s[14:15]
	s_cbranch_execz .LBB52_55
; %bb.54:
	s_movk_i32 s21, 0x210
	v_mad_u32_u24 v2, v21, s21, v14
	ds_read_b128 v[2:5], v2
	v_add_u32_e32 v9, 48, v8
	s_or_b64 s[2:3], s[2:3], exec
	s_waitcnt lgkmcnt(0)
	v_xor_b32_e32 v5, 0x80000000, v5
	ds_write_b64 v8, v[2:3] offset:48
.LBB52_55:
	s_or_b64 exec, exec, s[14:15]
	s_and_saveexec_b64 s[14:15], s[2:3]
; %bb.56:
	ds_write_b64 v9, v[4:5] offset:8
; %bb.57:
	s_or_b64 exec, exec, s[14:15]
	s_movk_i32 s2, 0x840
	v_lshlrev_b32_e32 v22, 4, v18
	s_waitcnt lgkmcnt(0)
	s_barrier
	v_mad_u32_u24 v8, v13, s2, v14
	ds_read_b128 v[2:5], v22 offset:18176
	ds_read_b128 v[23:26], v8
	ds_read_b128 v[27:30], v22 offset:18192
	s_movk_i32 s21, 0x210
	v_mad_u32_u24 v17, v19, s21, v14
	ds_read_b128 v[31:34], v17
	ds_read_b128 v[45:48], v22 offset:18208
	s_waitcnt lgkmcnt(3)
	v_mul_f64 v[8:9], v[4:5], v[25:26]
	v_mul_f64 v[11:12], v[2:3], v[25:26]
	v_cmp_gt_u32_e64 s[2:3], 32, v44
	s_waitcnt lgkmcnt(1)
	v_mul_f64 v[42:43], v[29:30], v[33:34]
	v_mul_f64 v[49:50], v[27:28], v[33:34]
	ds_read_b128 v[33:36], v17 offset:528
	v_fma_f64 v[8:9], v[2:3], v[23:24], -v[8:9]
	v_fma_f64 v[11:12], v[4:5], v[23:24], v[11:12]
	ds_read_b128 v[2:5], v22 offset:18224
	ds_read_b128 v[23:26], v17 offset:1056
	v_fma_f64 v[27:28], v[27:28], v[31:32], -v[42:43]
	s_waitcnt lgkmcnt(2)
	v_mul_f64 v[42:43], v[47:48], v[35:36]
	v_fma_f64 v[29:30], v[29:30], v[31:32], v[49:50]
	v_mul_f64 v[31:32], v[45:46], v[35:36]
	s_waitcnt lgkmcnt(0)
	v_mul_f64 v[35:36], v[4:5], v[25:26]
	v_add_f64 v[8:9], v[8:9], 0
	v_add_f64 v[11:12], v[11:12], 0
	v_mul_f64 v[25:26], v[2:3], v[25:26]
	v_fma_f64 v[42:43], v[45:46], v[33:34], -v[42:43]
	s_barrier
	v_add_f64 v[8:9], v[8:9], v[27:28]
	v_fma_f64 v[27:28], v[47:48], v[33:34], v[31:32]
	v_add_f64 v[11:12], v[11:12], v[29:30]
	v_fma_f64 v[29:30], v[2:3], v[23:24], -v[35:36]
	v_fma_f64 v[4:5], v[4:5], v[23:24], v[25:26]
	v_mov_b32_e32 v2, 0
	v_mov_b32_e32 v3, 0
	v_add_f64 v[8:9], v[8:9], v[42:43]
	v_add_f64 v[11:12], v[11:12], v[27:28]
	;; [unrolled: 1-line block ×3, first 2 shown]
	v_mul_u32_u24_e32 v8, 33, v10
	v_add_f64 v[25:26], v[11:12], v[4:5]
	v_mov_b32_e32 v4, 0
	v_lshlrev_b32_e32 v45, 4, v8
	v_mov_b32_e32 v5, 0
	v_lshl_add_u32 v46, v13, 4, v45
	ds_write_b128 v46, v[23:26]
	s_waitcnt lgkmcnt(0)
	s_barrier
	s_and_saveexec_b64 s[14:15], s[2:3]
	s_cbranch_execz .LBB52_59
; %bb.58:
	ds_read_b128 v[2:5], v45
	ds_read_b128 v[23:26], v45 offset:16
	s_waitcnt lgkmcnt(0)
	v_add_f64 v[8:9], v[23:24], v[2:3]
	v_add_f64 v[11:12], v[25:26], v[4:5]
	ds_read_b128 v[2:5], v45 offset:32
	ds_read_b128 v[23:26], v45 offset:48
	s_waitcnt lgkmcnt(1)
	v_add_f64 v[2:3], v[8:9], v[2:3]
	v_add_f64 v[4:5], v[11:12], v[4:5]
	s_waitcnt lgkmcnt(0)
	v_add_f64 v[8:9], v[2:3], v[23:24]
	v_add_f64 v[11:12], v[4:5], v[25:26]
	ds_read_b128 v[2:5], v45 offset:64
	ds_read_b128 v[23:26], v45 offset:80
	s_waitcnt lgkmcnt(1)
	v_add_f64 v[2:3], v[8:9], v[2:3]
	v_add_f64 v[4:5], v[11:12], v[4:5]
	;; [unrolled: 8-line block ×3, first 2 shown]
	s_waitcnt lgkmcnt(0)
	v_add_f64 v[2:3], v[2:3], v[23:24]
	v_add_f64 v[4:5], v[4:5], v[25:26]
.LBB52_59:
	s_or_b64 exec, exec, s[14:15]
	s_lshl_b64 s[14:15], s[24:25], 9
	v_mov_b32_e32 v8, s15
	v_add_co_u32_e32 v23, vcc, s14, v6
	v_addc_co_u32_e32 v24, vcc, v7, v8, vcc
	v_add_co_u32_e32 v6, vcc, 0x200, v23
	v_addc_co_u32_e32 v7, vcc, 0, v24, vcc
	v_mad_u32_u24 v17, v13, s21, v14
	s_and_b64 vcc, exec, s[30:31]
	s_barrier
	s_cbranch_vccz .LBB52_81
; %bb.60:
	v_sub_co_u32_e32 v9, vcc, v23, v15
	s_ashr_i32 s21, s20, 31
	v_subbrev_co_u32_e32 v11, vcc, 0, v24, vcc
	s_lshl_b64 s[34:35], s[20:21], 4
	v_mov_b32_e32 v12, s35
	v_add_co_u32_e32 v9, vcc, s34, v9
	v_addc_co_u32_e32 v11, vcc, v11, v12, vcc
	v_or_b32_e32 v8, 32, v10
	v_add_co_u32_e32 v12, vcc, -16, v9
	v_addc_co_u32_e32 v9, vcc, -1, v11, vcc
	v_cmp_gt_i32_e64 s[14:15], s20, v8
	s_sub_i32 s21, s20, 32
	v_cndmask_b32_e64 v9, v9, v7, s[14:15]
	v_cndmask_b32_e64 v8, v12, v6, s[14:15]
	v_cmp_le_i32_e32 vcc, s21, v13
	s_and_saveexec_b64 s[36:37], vcc
	s_xor_b64 s[36:37], exec, s[36:37]
; %bb.61:
	v_mov_b32_e32 v25, 0
	v_mov_b32_e32 v26, v25
	;; [unrolled: 1-line block ×4, first 2 shown]
	ds_write_b128 v17, v[25:28]
; %bb.62:
	s_andn2_saveexec_b64 s[36:37], s[36:37]
	s_cbranch_execz .LBB52_64
; %bb.63:
	flat_load_dwordx4 v[25:28], v[8:9]
	s_waitcnt vmcnt(0) lgkmcnt(0)
	ds_write2_b64 v17, v[25:26], v[27:28] offset1:1
.LBB52_64:
	s_or_b64 exec, exec, s[36:37]
	v_add_u32_e32 v11, 8, v13
	v_cmp_le_i32_e32 vcc, s21, v11
	s_and_saveexec_b64 s[36:37], vcc
	s_xor_b64 s[36:37], exec, s[36:37]
	s_cbranch_execz .LBB52_66
; %bb.65:
	s_movk_i32 s39, 0x210
	v_mov_b32_e32 v25, 0
	v_mad_u32_u24 v11, v11, s39, v14
	v_mov_b32_e32 v26, v25
	v_mov_b32_e32 v27, v25
	;; [unrolled: 1-line block ×3, first 2 shown]
	ds_write_b128 v11, v[25:28]
                                        ; implicit-def: $vgpr11
.LBB52_66:
	s_andn2_saveexec_b64 s[36:37], s[36:37]
	s_cbranch_execz .LBB52_68
; %bb.67:
	s_lshl_b64 s[40:41], s[24:25], 7
	v_mov_b32_e32 v12, s41
	v_add_co_u32_e32 v25, vcc, s40, v8
	v_addc_co_u32_e32 v26, vcc, v9, v12, vcc
	flat_load_dwordx4 v[25:28], v[25:26]
	s_movk_i32 s39, 0x210
	v_mad_u32_u24 v11, v11, s39, v14
	s_waitcnt vmcnt(0) lgkmcnt(0)
	ds_write2_b64 v11, v[25:26], v[27:28] offset1:1
.LBB52_68:
	s_or_b64 exec, exec, s[36:37]
	v_add_u32_e32 v11, 16, v13
	v_cmp_le_i32_e32 vcc, s21, v11
	s_and_saveexec_b64 s[36:37], vcc
	s_xor_b64 s[36:37], exec, s[36:37]
	s_cbranch_execz .LBB52_70
; %bb.69:
	s_movk_i32 s39, 0x210
	v_mov_b32_e32 v25, 0
	v_mad_u32_u24 v11, v11, s39, v14
	v_mov_b32_e32 v26, v25
	v_mov_b32_e32 v27, v25
	;; [unrolled: 1-line block ×3, first 2 shown]
	ds_write_b128 v11, v[25:28]
                                        ; implicit-def: $vgpr11
.LBB52_70:
	s_andn2_saveexec_b64 s[36:37], s[36:37]
	s_cbranch_execz .LBB52_72
; %bb.71:
	s_lshl_b64 s[40:41], s[24:25], 8
	v_mov_b32_e32 v12, s41
	v_add_co_u32_e32 v25, vcc, s40, v8
	v_addc_co_u32_e32 v26, vcc, v9, v12, vcc
	flat_load_dwordx4 v[25:28], v[25:26]
	s_movk_i32 s39, 0x210
	v_mad_u32_u24 v11, v11, s39, v14
	s_waitcnt vmcnt(0) lgkmcnt(0)
	ds_write2_b64 v11, v[25:26], v[27:28] offset1:1
.LBB52_72:
	s_or_b64 exec, exec, s[36:37]
	v_add_u32_e32 v11, 24, v13
	v_cmp_le_i32_e32 vcc, s21, v11
	s_and_saveexec_b64 s[36:37], vcc
	s_xor_b64 s[36:37], exec, s[36:37]
	s_cbranch_execz .LBB52_74
; %bb.73:
	s_movk_i32 s21, 0x210
	v_mov_b32_e32 v25, 0
	v_mad_u32_u24 v11, v11, s21, v14
	v_mov_b32_e32 v26, v25
	v_mov_b32_e32 v27, v25
	;; [unrolled: 1-line block ×3, first 2 shown]
	ds_write_b128 v11, v[25:28]
                                        ; implicit-def: $vgpr11
.LBB52_74:
	s_andn2_saveexec_b64 s[36:37], s[36:37]
	s_cbranch_execz .LBB52_76
; %bb.75:
	v_mov_b32_e32 v12, 0x180
	v_mad_u64_u32 v[25:26], s[40:41], s24, v12, v[8:9]
	s_mul_i32 s21, s25, 0x180
	v_add_u32_e32 v26, s21, v26
	flat_load_dwordx4 v[25:28], v[25:26]
	s_movk_i32 s21, 0x210
	v_mad_u32_u24 v11, v11, s21, v14
	s_waitcnt vmcnt(0) lgkmcnt(0)
	ds_write2_b64 v11, v[25:26], v[27:28] offset1:1
.LBB52_76:
	s_or_b64 exec, exec, s[36:37]
	v_add_co_u32_e32 v8, vcc, v8, v15
	v_addc_co_u32_e32 v9, vcc, 0, v9, vcc
	v_mov_b32_e32 v11, s35
	v_subrev_co_u32_e32 v8, vcc, s34, v8
	v_subb_co_u32_e32 v9, vcc, v9, v11, vcc
	v_add_co_u32_e32 v8, vcc, 0x210, v8
	v_addc_co_u32_e32 v9, vcc, 0, v9, vcc
	v_cndmask_b32_e64 v12, v9, v7, s[14:15]
	v_cndmask_b32_e64 v11, v8, v6, s[14:15]
	s_branch .LBB52_83
.LBB52_77:
	s_andn2_saveexec_b64 s[10:11], s[10:11]
	s_cbranch_execz .LBB52_39
.LBB52_78:
	v_cmp_eq_u32_e32 vcc, v19, v10
	s_mov_b64 s[12:13], s[2:3]
                                        ; implicit-def: $vgpr9
	s_and_saveexec_b64 s[14:15], vcc
; %bb.79:
	v_add_u32_e32 v9, v14, v16
	s_or_b64 s[12:13], s[2:3], exec
; %bb.80:
	s_or_b64 exec, exec, s[14:15]
	v_mov_b32_e32 v4, 0
	s_andn2_b64 s[2:3], s[2:3], exec
	s_and_b64 s[12:13], s[12:13], exec
	v_mov_b32_e32 v5, 0
	s_or_b64 s[2:3], s[2:3], s[12:13]
	s_or_b64 exec, exec, s[10:11]
	s_and_saveexec_b64 s[10:11], s[2:3]
	s_cbranch_execnz .LBB52_40
	s_branch .LBB52_41
.LBB52_81:
                                        ; implicit-def: $vgpr11_vgpr12
	s_cbranch_execz .LBB52_83
; %bb.82:
	flat_load_dwordx4 v[25:28], v[6:7]
	s_lshl_b64 s[14:15], s[24:25], 7
	v_mov_b32_e32 v11, s15
	v_add_co_u32_e32 v8, vcc, s14, v23
	v_addc_co_u32_e32 v9, vcc, v24, v11, vcc
	v_add_u32_e32 v12, 0x1080, v17
	s_waitcnt vmcnt(0) lgkmcnt(0)
	ds_write2_b64 v17, v[25:26], v[27:28] offset1:1
	flat_load_dwordx4 v[23:26], v[8:9] offset:512
	v_add_co_u32_e32 v8, vcc, s14, v8
	v_addc_co_u32_e32 v9, vcc, v9, v11, vcc
	s_waitcnt vmcnt(0) lgkmcnt(0)
	ds_write2_b64 v12, v[23:24], v[25:26] offset1:1
	flat_load_dwordx4 v[23:26], v[8:9] offset:512
	v_add_u32_e32 v12, 0x2100, v17
	v_add_co_u32_e32 v8, vcc, s14, v8
	v_addc_co_u32_e32 v9, vcc, v9, v11, vcc
	s_waitcnt vmcnt(0) lgkmcnt(0)
	ds_write2_b64 v12, v[23:24], v[25:26] offset1:1
	flat_load_dwordx4 v[23:26], v[8:9] offset:512
	v_mov_b32_e32 v12, v7
	v_add_u32_e32 v8, 0x3180, v17
	v_mov_b32_e32 v11, v6
	s_waitcnt vmcnt(0) lgkmcnt(0)
	ds_write2_b64 v8, v[23:24], v[25:26] offset1:1
.LBB52_83:
	v_mul_u32_u24_e32 v7, 0x840, v13
	s_mov_b64 s[14:15], 0
	s_waitcnt lgkmcnt(0)
	s_barrier
                                        ; implicit-def: $vgpr6
	s_and_saveexec_b64 s[34:35], s[16:17]
	s_xor_b64 s[16:17], exec, s[34:35]
	s_cbranch_execz .LBB52_87
; %bb.84:
	v_cmp_eq_u32_e32 vcc, v18, v10
                                        ; implicit-def: $vgpr6
	s_and_saveexec_b64 s[34:35], vcc
	s_xor_b64 s[34:35], exec, s[34:35]
; %bb.85:
	s_mov_b64 s[14:15], exec
	v_add_u32_e32 v6, v14, v16
; %bb.86:
	s_or_b64 exec, exec, s[34:35]
	s_and_b64 s[14:15], s[14:15], exec
.LBB52_87:
	s_or_saveexec_b64 s[16:17], s[16:17]
	v_mov_b32_e32 v8, 0
	v_mov_b32_e32 v9, 0
	v_add_u32_e32 v34, v14, v7
	v_lshl_add_u32 v18, v18, 4, v45
	s_xor_b64 exec, exec, s[16:17]
	s_cbranch_execz .LBB52_89
; %bb.88:
	ds_read_b128 v[6:9], v34
	s_or_b64 s[14:15], s[14:15], exec
	s_waitcnt lgkmcnt(0)
	v_xor_b32_e32 v9, 0x80000000, v9
	ds_write_b64 v18, v[6:7]
	v_mov_b32_e32 v6, v18
.LBB52_89:
	s_or_b64 exec, exec, s[16:17]
	v_mul_u32_u24_e32 v7, 0x210, v19
	s_and_saveexec_b64 s[16:17], s[14:15]
; %bb.90:
	ds_write_b64 v6, v[8:9] offset:8
; %bb.91:
	s_or_b64 exec, exec, s[16:17]
	s_mov_b64 s[14:15], 0
	v_add_u32_e32 v47, v14, v7
                                        ; implicit-def: $vgpr8_vgpr9
                                        ; implicit-def: $vgpr23
	s_and_saveexec_b64 s[16:17], s[8:9]
	s_xor_b64 s[8:9], exec, s[16:17]
	s_cbranch_execz .LBB52_131
; %bb.92:
	ds_read_b128 v[6:9], v47
	s_mov_b64 s[14:15], exec
	v_add_u32_e32 v23, 16, v18
                                        ; implicit-def: $vgpr19
	s_waitcnt lgkmcnt(0)
	v_xor_b32_e32 v9, 0x80000000, v9
	ds_write_b64 v18, v[6:7] offset:16
	s_andn2_saveexec_b64 s[8:9], s[8:9]
	s_cbranch_execnz .LBB52_132
.LBB52_93:
	s_or_b64 exec, exec, s[8:9]
	s_and_saveexec_b64 s[8:9], s[14:15]
.LBB52_94:
	ds_write_b64 v23, v[8:9] offset:8
.LBB52_95:
	s_or_b64 exec, exec, s[8:9]
	s_mov_b64 s[8:9], 0
                                        ; implicit-def: $vgpr19
	s_and_saveexec_b64 s[14:15], s[10:11]
	s_xor_b64 s[10:11], exec, s[14:15]
	s_cbranch_execz .LBB52_99
; %bb.96:
	v_cmp_eq_u32_e32 vcc, v20, v10
                                        ; implicit-def: $vgpr19
	s_and_saveexec_b64 s[14:15], vcc
; %bb.97:
	s_mov_b64 s[8:9], exec
	v_add_u32_e32 v19, v14, v16
; %bb.98:
	s_or_b64 exec, exec, s[14:15]
	s_and_b64 s[8:9], s[8:9], exec
.LBB52_99:
	s_or_saveexec_b64 s[10:11], s[10:11]
	v_mov_b32_e32 v8, 0
	v_mov_b32_e32 v9, 0
	s_xor_b64 exec, exec, s[10:11]
	s_cbranch_execz .LBB52_101
; %bb.100:
	ds_read_b128 v[6:9], v47 offset:528
	v_add_u32_e32 v19, 32, v18
	s_or_b64 s[8:9], s[8:9], exec
	s_waitcnt lgkmcnt(0)
	v_xor_b32_e32 v9, 0x80000000, v9
	ds_write_b64 v18, v[6:7] offset:32
.LBB52_101:
	s_or_b64 exec, exec, s[10:11]
	s_and_saveexec_b64 s[10:11], s[8:9]
; %bb.102:
	ds_write_b64 v19, v[8:9] offset:8
; %bb.103:
	s_or_b64 exec, exec, s[10:11]
	s_mov_b64 s[8:9], 0
                                        ; implicit-def: $vgpr19
	s_and_saveexec_b64 s[10:11], s[12:13]
	s_xor_b64 s[10:11], exec, s[10:11]
	s_cbranch_execz .LBB52_107
; %bb.104:
	v_cmp_eq_u32_e32 vcc, v21, v10
                                        ; implicit-def: $vgpr19
	s_and_saveexec_b64 s[12:13], vcc
; %bb.105:
	s_mov_b64 s[8:9], exec
	v_add_u32_e32 v19, v14, v16
; %bb.106:
	s_or_b64 exec, exec, s[12:13]
	s_and_b64 s[8:9], s[8:9], exec
                                        ; implicit-def: $vgpr18
.LBB52_107:
	s_or_saveexec_b64 s[10:11], s[10:11]
	v_mov_b32_e32 v8, 0
	v_mov_b32_e32 v9, 0
	s_xor_b64 exec, exec, s[10:11]
	s_cbranch_execz .LBB52_109
; %bb.108:
	ds_read_b128 v[6:9], v47 offset:1056
	v_add_u32_e32 v19, 48, v18
	s_or_b64 s[8:9], s[8:9], exec
	s_waitcnt lgkmcnt(0)
	v_xor_b32_e32 v9, 0x80000000, v9
	ds_write_b64 v18, v[6:7] offset:48
.LBB52_109:
	s_or_b64 exec, exec, s[10:11]
	v_add_u32_e32 v16, 0x4700, v22
	s_and_saveexec_b64 s[10:11], s[8:9]
; %bb.110:
	ds_write_b64 v19, v[8:9] offset:8
; %bb.111:
	s_or_b64 exec, exec, s[10:11]
	s_waitcnt lgkmcnt(0)
	s_barrier
	ds_read_b128 v[6:9], v34
	ds_read_b128 v[18:21], v16 offset:512
	ds_read_b128 v[22:25], v16 offset:528
	;; [unrolled: 1-line block ×3, first 2 shown]
	ds_read_b128 v[30:33], v47
	ds_read_b128 v[48:51], v16 offset:544
	ds_read_b128 v[52:55], v47 offset:528
	v_cmp_eq_u32_e64 s[8:9], 1, v13
	s_waitcnt lgkmcnt(5)
	v_mul_f64 v[35:36], v[20:21], v[8:9]
	v_mul_f64 v[8:9], v[18:19], v[8:9]
	s_waitcnt lgkmcnt(2)
	v_mul_f64 v[42:43], v[24:25], v[32:33]
	v_mul_f64 v[32:33], v[22:23], v[32:33]
	v_fma_f64 v[18:19], v[18:19], v[6:7], -v[35:36]
	v_fma_f64 v[20:21], v[20:21], v[6:7], v[8:9]
	s_waitcnt lgkmcnt(0)
	v_mul_f64 v[35:36], v[50:51], v[54:55]
	v_mul_f64 v[54:55], v[48:49], v[54:55]
	v_fma_f64 v[22:23], v[22:23], v[30:31], -v[42:43]
	v_fma_f64 v[24:25], v[24:25], v[30:31], v[32:33]
	ds_read_b128 v[6:9], v16 offset:560
	s_waitcnt lgkmcnt(0)
	v_add_f64 v[18:19], v[18:19], 0
	v_add_f64 v[20:21], v[20:21], 0
	v_fma_f64 v[32:33], v[48:49], v[52:53], -v[35:36]
	v_mul_f64 v[30:31], v[8:9], v[28:29]
	v_mul_f64 v[28:29], v[6:7], v[28:29]
	v_fma_f64 v[35:36], v[50:51], v[52:53], v[54:55]
	s_barrier
	v_add_f64 v[18:19], v[18:19], v[22:23]
	v_add_f64 v[20:21], v[20:21], v[24:25]
	v_fma_f64 v[6:7], v[6:7], v[26:27], -v[30:31]
	v_fma_f64 v[8:9], v[8:9], v[26:27], v[28:29]
	v_add_f64 v[18:19], v[18:19], v[32:33]
	v_add_f64 v[20:21], v[20:21], v[35:36]
	v_add_f64 v[6:7], v[18:19], v[6:7]
	v_add_f64 v[8:9], v[20:21], v[8:9]
	ds_write_b128 v46, v[6:9]
	s_waitcnt lgkmcnt(0)
	s_barrier
	s_and_saveexec_b64 s[10:11], s[8:9]
	s_cbranch_execz .LBB52_113
; %bb.112:
	ds_read_b128 v[2:5], v45
	ds_read_b128 v[6:9], v45 offset:16
	s_waitcnt lgkmcnt(0)
	v_add_f64 v[18:19], v[6:7], v[2:3]
	v_add_f64 v[20:21], v[8:9], v[4:5]
	ds_read_b128 v[2:5], v45 offset:32
	ds_read_b128 v[6:9], v45 offset:48
	s_waitcnt lgkmcnt(1)
	v_add_f64 v[2:3], v[18:19], v[2:3]
	v_add_f64 v[4:5], v[20:21], v[4:5]
	s_waitcnt lgkmcnt(0)
	v_add_f64 v[18:19], v[2:3], v[6:7]
	v_add_f64 v[20:21], v[4:5], v[8:9]
	ds_read_b128 v[2:5], v45 offset:64
	ds_read_b128 v[6:9], v45 offset:80
	s_waitcnt lgkmcnt(1)
	v_add_f64 v[2:3], v[18:19], v[2:3]
	v_add_f64 v[4:5], v[20:21], v[4:5]
	s_waitcnt lgkmcnt(0)
	v_add_f64 v[18:19], v[2:3], v[6:7]
	v_add_f64 v[20:21], v[4:5], v[8:9]
	ds_read_b128 v[2:5], v45 offset:96
	ds_read_b128 v[6:9], v45 offset:112
	s_waitcnt lgkmcnt(1)
	v_add_f64 v[2:3], v[18:19], v[2:3]
	v_add_f64 v[4:5], v[20:21], v[4:5]
	s_waitcnt lgkmcnt(0)
	v_add_f64 v[2:3], v[2:3], v[6:7]
	v_add_f64 v[4:5], v[4:5], v[8:9]
.LBB52_113:
	s_or_b64 exec, exec, s[10:11]
	v_add_co_u32_e32 v6, vcc, 0xfffffe00, v11
	v_addc_co_u32_e32 v7, vcc, -1, v12, vcc
	s_and_b64 vcc, exec, s[30:31]
	s_barrier
	s_cbranch_vccz .LBB52_135
; %bb.114:
	v_sub_co_u32_e32 v8, vcc, v6, v15
	s_ashr_i32 s21, s20, 31
	v_subbrev_co_u32_e32 v9, vcc, 0, v7, vcc
	s_lshl_b64 s[12:13], s[20:21], 4
	v_mov_b32_e32 v11, s13
	v_add_co_u32_e32 v8, vcc, s12, v8
	v_addc_co_u32_e32 v9, vcc, v9, v11, vcc
	v_add_co_u32_e32 v8, vcc, -16, v8
	v_addc_co_u32_e32 v9, vcc, -1, v9, vcc
	v_cmp_gt_i32_e32 vcc, s20, v10
	s_sub_i32 s16, s20, 32
	v_cndmask_b32_e32 v9, v9, v7, vcc
	v_cndmask_b32_e32 v8, v8, v6, vcc
	v_cmp_le_i32_e64 s[10:11], s16, v13
	s_and_saveexec_b64 s[14:15], s[10:11]
	s_xor_b64 s[10:11], exec, s[14:15]
; %bb.115:
	v_mov_b32_e32 v18, 0
	v_mov_b32_e32 v19, v18
	;; [unrolled: 1-line block ×4, first 2 shown]
	ds_write_b128 v17, v[18:21]
; %bb.116:
	s_andn2_saveexec_b64 s[10:11], s[10:11]
	s_cbranch_execz .LBB52_118
; %bb.117:
	flat_load_dwordx4 v[18:21], v[8:9]
	s_waitcnt vmcnt(0) lgkmcnt(0)
	ds_write2_b64 v17, v[18:19], v[20:21] offset1:1
.LBB52_118:
	s_or_b64 exec, exec, s[10:11]
	v_add_u32_e32 v10, 8, v13
	v_cmp_le_i32_e64 s[10:11], s16, v10
	s_and_saveexec_b64 s[14:15], s[10:11]
	s_xor_b64 s[10:11], exec, s[14:15]
	s_cbranch_execz .LBB52_120
; %bb.119:
	s_movk_i32 s14, 0x210
	v_mov_b32_e32 v18, 0
	v_mad_u32_u24 v11, v10, s14, v14
	v_mov_b32_e32 v19, v18
	v_mov_b32_e32 v20, v18
	;; [unrolled: 1-line block ×3, first 2 shown]
	ds_write_b128 v11, v[18:21]
.LBB52_120:
	s_andn2_saveexec_b64 s[14:15], s[10:11]
	s_cbranch_execz .LBB52_122
; %bb.121:
	s_lshl_b64 s[10:11], s[24:25], 7
	v_mov_b32_e32 v12, s11
	v_add_co_u32_e64 v11, s[10:11], s10, v8
	v_addc_co_u32_e64 v12, s[10:11], v9, v12, s[10:11]
	flat_load_dwordx4 v[18:21], v[11:12]
	s_movk_i32 s10, 0x210
	v_mad_u32_u24 v11, v10, s10, v14
	s_waitcnt vmcnt(0) lgkmcnt(0)
	ds_write2_b64 v11, v[18:19], v[20:21] offset1:1
.LBB52_122:
	s_or_b64 exec, exec, s[14:15]
	v_add_u32_e32 v12, 16, v13
	v_cmp_le_i32_e64 s[10:11], s16, v12
	s_and_saveexec_b64 s[14:15], s[10:11]
	s_xor_b64 s[10:11], exec, s[14:15]
	s_cbranch_execz .LBB52_124
; %bb.123:
	s_movk_i32 s14, 0x210
	v_mov_b32_e32 v18, 0
	v_mad_u32_u24 v11, v12, s14, v14
	v_mov_b32_e32 v19, v18
	v_mov_b32_e32 v20, v18
	;; [unrolled: 1-line block ×3, first 2 shown]
	ds_write_b128 v11, v[18:21]
.LBB52_124:
	s_andn2_saveexec_b64 s[14:15], s[10:11]
	s_cbranch_execz .LBB52_126
; %bb.125:
	s_lshl_b64 s[10:11], s[24:25], 8
	v_mov_b32_e32 v11, s11
	v_add_co_u32_e64 v18, s[10:11], s10, v8
	v_addc_co_u32_e64 v19, s[10:11], v9, v11, s[10:11]
	flat_load_dwordx4 v[18:21], v[18:19]
	s_movk_i32 s10, 0x210
	v_mad_u32_u24 v11, v12, s10, v14
	s_waitcnt vmcnt(0) lgkmcnt(0)
	ds_write2_b64 v11, v[18:19], v[20:21] offset1:1
.LBB52_126:
	s_or_b64 exec, exec, s[14:15]
	v_add_u32_e32 v11, 24, v13
	v_cmp_le_i32_e64 s[10:11], s16, v11
	s_and_saveexec_b64 s[14:15], s[10:11]
	s_xor_b64 s[10:11], exec, s[14:15]
	s_cbranch_execz .LBB52_128
; %bb.127:
	s_movk_i32 s14, 0x210
	v_mov_b32_e32 v18, 0
	v_mad_u32_u24 v22, v11, s14, v14
	v_mov_b32_e32 v19, v18
	v_mov_b32_e32 v20, v18
	;; [unrolled: 1-line block ×3, first 2 shown]
	ds_write_b128 v22, v[18:21]
.LBB52_128:
	s_andn2_saveexec_b64 s[10:11], s[10:11]
	s_cbranch_execz .LBB52_130
; %bb.129:
	v_mov_b32_e32 v18, 0x180
	v_mad_u64_u32 v[18:19], s[14:15], s24, v18, v[8:9]
	s_mul_i32 s14, s25, 0x180
	v_add_u32_e32 v19, s14, v19
	flat_load_dwordx4 v[18:21], v[18:19]
	s_movk_i32 s14, 0x210
	v_mad_u32_u24 v22, v11, s14, v14
	s_waitcnt vmcnt(0) lgkmcnt(0)
	ds_write2_b64 v22, v[18:19], v[20:21] offset1:1
.LBB52_130:
	s_or_b64 exec, exec, s[10:11]
	v_add_co_u32_e64 v8, s[10:11], v8, v15
	v_addc_co_u32_e64 v9, s[10:11], 0, v9, s[10:11]
	v_mov_b32_e32 v15, s13
	v_subrev_co_u32_e64 v8, s[10:11], s12, v8
	v_subb_co_u32_e64 v9, s[10:11], v9, v15, s[10:11]
	v_add_co_u32_e64 v8, s[10:11], 16, v8
	v_addc_co_u32_e64 v9, s[10:11], 0, v9, s[10:11]
	v_cndmask_b32_e32 v43, v9, v7, vcc
	v_cndmask_b32_e32 v42, v8, v6, vcc
	s_branch .LBB52_137
.LBB52_131:
	s_andn2_saveexec_b64 s[8:9], s[8:9]
	s_cbranch_execz .LBB52_93
.LBB52_132:
	v_cmp_eq_u32_e32 vcc, v19, v10
	s_mov_b64 s[16:17], s[14:15]
                                        ; implicit-def: $vgpr23
	s_and_saveexec_b64 s[34:35], vcc
; %bb.133:
	v_add_u32_e32 v23, v14, v16
	s_or_b64 s[16:17], s[14:15], exec
; %bb.134:
	s_or_b64 exec, exec, s[34:35]
	v_mov_b32_e32 v8, 0
	s_andn2_b64 s[14:15], s[14:15], exec
	s_and_b64 s[16:17], s[16:17], exec
	v_mov_b32_e32 v9, 0
	s_or_b64 s[14:15], s[14:15], s[16:17]
	s_or_b64 exec, exec, s[8:9]
	s_and_saveexec_b64 s[8:9], s[14:15]
	s_cbranch_execnz .LBB52_94
	s_branch .LBB52_95
.LBB52_135:
                                        ; implicit-def: $vgpr42_vgpr43
                                        ; implicit-def: $vgpr10
                                        ; implicit-def: $vgpr12
                                        ; implicit-def: $vgpr11
	s_cbranch_execz .LBB52_137
; %bb.136:
	flat_load_dwordx4 v[8:11], v[6:7]
	s_lshl_b64 s[10:11], s[24:25], 7
	v_mov_b32_e32 v12, s11
	v_add_co_u32_e32 v21, vcc, s10, v6
	v_addc_co_u32_e32 v22, vcc, v7, v12, vcc
	s_movk_i32 s11, 0x210
	v_mov_b32_e32 v43, v7
	v_mov_b32_e32 v42, v6
	s_waitcnt vmcnt(0) lgkmcnt(0)
	ds_write2_b64 v17, v[8:9], v[10:11] offset1:1
	flat_load_dwordx4 v[17:20], v[21:22]
	v_add_u32_e32 v10, 8, v13
	v_mad_u32_u24 v14, v10, s11, v14
	v_add_co_u32_e32 v8, vcc, s10, v21
	v_addc_co_u32_e32 v9, vcc, v22, v12, vcc
	v_add_u32_e32 v11, 0x1080, v14
	s_waitcnt vmcnt(0) lgkmcnt(0)
	ds_write2_b64 v14, v[17:18], v[19:20] offset1:1
	flat_load_dwordx4 v[17:20], v[8:9]
	v_add_co_u32_e32 v8, vcc, s10, v8
	v_addc_co_u32_e32 v9, vcc, v9, v12, vcc
	v_add_u32_e32 v12, 16, v13
	s_waitcnt vmcnt(0) lgkmcnt(0)
	ds_write2_b64 v11, v[17:18], v[19:20] offset1:1
	flat_load_dwordx4 v[17:20], v[8:9]
	v_add_u32_e32 v11, 24, v13
	v_add_u32_e32 v8, 0x2100, v14
	s_waitcnt vmcnt(0) lgkmcnt(0)
	ds_write2_b64 v8, v[17:18], v[19:20] offset1:1
.LBB52_137:
	v_lshlrev_b32_e32 v13, 4, v13
	v_add_u32_e32 v6, v45, v13
	v_lshlrev_b32_e32 v10, 4, v10
	s_waitcnt lgkmcnt(0)
	s_barrier
	ds_read_b128 v[6:9], v6
	ds_read_b128 v[17:20], v13 offset:18176
	v_add_u32_e32 v13, v45, v10
	ds_read_b128 v[21:24], v13
	ds_read_b128 v[25:28], v10 offset:18176
	v_lshlrev_b32_e32 v10, 4, v12
	v_add_u32_e32 v12, v45, v10
	s_waitcnt lgkmcnt(2)
	v_mul_f64 v[35:36], v[8:9], v[19:20]
	v_mul_f64 v[8:9], v[8:9], v[17:18]
	s_waitcnt lgkmcnt(0)
	v_mul_f64 v[48:49], v[23:24], v[27:28]
	v_mul_f64 v[23:24], v[23:24], v[25:26]
	ds_read_b128 v[12:15], v12
	ds_read_b128 v[29:32], v10 offset:18176
	v_lshlrev_b32_e32 v10, 4, v11
	v_fma_f64 v[17:18], v[6:7], v[17:18], v[35:36]
	s_waitcnt lgkmcnt(0)
	v_mul_f64 v[35:36], v[14:15], v[31:32]
	v_fma_f64 v[25:26], v[21:22], v[25:26], v[48:49]
	v_fma_f64 v[48:49], v[6:7], v[19:20], -v[8:9]
	v_add_u32_e32 v6, v45, v10
	v_mul_f64 v[14:15], v[14:15], v[29:30]
	v_add_f64 v[50:51], v[17:18], 0
	ds_read_b128 v[6:9], v6
	ds_read_b128 v[17:20], v10 offset:18176
	v_fma_f64 v[10:11], v[21:22], v[27:28], -v[23:24]
	v_add_f64 v[21:22], v[48:49], 0
	s_waitcnt lgkmcnt(0)
	v_mul_f64 v[27:28], v[8:9], v[19:20]
	v_mul_f64 v[8:9], v[8:9], v[17:18]
	v_add_f64 v[23:24], v[50:51], v[25:26]
	v_fma_f64 v[25:26], v[12:13], v[29:30], v[35:36]
	v_fma_f64 v[12:13], v[12:13], v[31:32], -v[14:15]
	v_add_f64 v[10:11], v[21:22], v[10:11]
	v_fma_f64 v[14:15], v[6:7], v[17:18], v[27:28]
	v_fma_f64 v[17:18], v[6:7], v[19:20], -v[8:9]
	v_add_f64 v[19:20], v[23:24], v[25:26]
	v_add_f64 v[26:27], v[10:11], v[12:13]
	ds_read_b128 v[30:33], v16 offset:512
	ds_read_b128 v[22:25], v16 offset:528
	;; [unrolled: 1-line block ×4, first 2 shown]
	v_add_f64 v[48:49], v[19:20], v[14:15]
	v_add_f64 v[50:51], v[26:27], v[17:18]
	ds_read_b128 v[26:29], v47
	ds_read_b128 v[18:21], v47 offset:528
	ds_read_b128 v[34:37], v34
	ds_read_b128 v[14:17], v47 offset:1056
	s_waitcnt lgkmcnt(0)
	s_barrier
	ds_write_b128 v46, v[48:51]
	s_waitcnt lgkmcnt(0)
	s_barrier
	s_and_saveexec_b64 s[10:11], s[8:9]
	s_cbranch_execz .LBB52_139
; %bb.138:
	ds_read_b128 v[47:50], v45
	ds_read_b128 v[51:54], v45 offset:16
	s_waitcnt lgkmcnt(1)
	v_add_f64 v[2:3], v[2:3], v[47:48]
	v_add_f64 v[4:5], v[4:5], v[49:50]
	s_waitcnt lgkmcnt(0)
	v_add_f64 v[51:52], v[2:3], v[51:52]
	v_add_f64 v[53:54], v[4:5], v[53:54]
	ds_read_b128 v[2:5], v45 offset:32
	ds_read_b128 v[47:50], v45 offset:48
	s_waitcnt lgkmcnt(1)
	v_add_f64 v[2:3], v[51:52], v[2:3]
	v_add_f64 v[4:5], v[53:54], v[4:5]
	s_waitcnt lgkmcnt(0)
	v_add_f64 v[51:52], v[2:3], v[47:48]
	v_add_f64 v[53:54], v[4:5], v[49:50]
	ds_read_b128 v[2:5], v45 offset:64
	;; [unrolled: 8-line block ×3, first 2 shown]
	ds_read_b128 v[47:50], v45 offset:112
	s_waitcnt lgkmcnt(1)
	v_add_f64 v[2:3], v[51:52], v[2:3]
	v_add_f64 v[4:5], v[53:54], v[4:5]
	s_waitcnt lgkmcnt(0)
	v_add_f64 v[2:3], v[2:3], v[47:48]
	v_add_f64 v[4:5], v[4:5], v[49:50]
.LBB52_139:
	s_or_b64 exec, exec, s[10:11]
	v_mul_f64 v[47:48], v[32:33], v[36:37]
	v_mul_f64 v[36:37], v[30:31], v[36:37]
	v_mul_f64 v[49:50], v[24:25], v[28:29]
	v_mul_f64 v[28:29], v[22:23], v[28:29]
	s_barrier
	v_fma_f64 v[30:31], v[30:31], v[34:35], -v[47:48]
	v_fma_f64 v[32:33], v[32:33], v[34:35], v[36:37]
	v_mul_f64 v[34:35], v[12:13], v[20:21]
	v_mul_f64 v[20:21], v[10:11], v[20:21]
	v_fma_f64 v[22:23], v[22:23], v[26:27], -v[49:50]
	v_fma_f64 v[24:25], v[24:25], v[26:27], v[28:29]
	v_add_f64 v[26:27], v[30:31], 0
	v_add_f64 v[28:29], v[32:33], 0
	v_mul_f64 v[30:31], v[8:9], v[16:17]
	v_mul_f64 v[16:17], v[6:7], v[16:17]
	v_fma_f64 v[10:11], v[10:11], v[18:19], -v[34:35]
	v_fma_f64 v[12:13], v[12:13], v[18:19], v[20:21]
	v_add_f64 v[18:19], v[26:27], v[22:23]
	v_add_f64 v[20:21], v[28:29], v[24:25]
	v_fma_f64 v[6:7], v[6:7], v[14:15], -v[30:31]
	v_fma_f64 v[8:9], v[8:9], v[14:15], v[16:17]
	v_add_f64 v[10:11], v[18:19], v[10:11]
	v_add_f64 v[12:13], v[20:21], v[12:13]
	;; [unrolled: 1-line block ×4, first 2 shown]
	ds_write_b128 v46, v[6:9]
	s_waitcnt lgkmcnt(0)
	s_barrier
	s_and_saveexec_b64 s[8:9], s[2:3]
	s_cbranch_execz .LBB52_141
; %bb.140:
	ds_read_b128 v[6:9], v45
	ds_read_b128 v[10:13], v45 offset:16
	s_waitcnt lgkmcnt(1)
	v_add_f64 v[2:3], v[2:3], v[6:7]
	v_add_f64 v[4:5], v[4:5], v[8:9]
	s_waitcnt lgkmcnt(0)
	v_add_f64 v[10:11], v[2:3], v[10:11]
	v_add_f64 v[12:13], v[4:5], v[12:13]
	ds_read_b128 v[2:5], v45 offset:32
	ds_read_b128 v[6:9], v45 offset:48
	s_waitcnt lgkmcnt(1)
	v_add_f64 v[2:3], v[10:11], v[2:3]
	v_add_f64 v[4:5], v[12:13], v[4:5]
	s_waitcnt lgkmcnt(0)
	v_add_f64 v[10:11], v[2:3], v[6:7]
	v_add_f64 v[12:13], v[4:5], v[8:9]
	ds_read_b128 v[2:5], v45 offset:64
	;; [unrolled: 8-line block ×3, first 2 shown]
	ds_read_b128 v[6:9], v45 offset:112
	s_waitcnt lgkmcnt(1)
	v_add_f64 v[2:3], v[10:11], v[2:3]
	v_add_f64 v[4:5], v[12:13], v[4:5]
	s_waitcnt lgkmcnt(0)
	v_add_f64 v[2:3], v[2:3], v[6:7]
	v_add_f64 v[4:5], v[4:5], v[8:9]
.LBB52_141:
	s_or_b64 exec, exec, s[8:9]
	s_load_dwordx2 s[2:3], s[4:5], 0x78
	s_mul_hi_u32 s4, s33, s26
	s_mul_i32 s38, s38, s26
	s_add_i32 s4, s4, s38
	s_mul_i32 s8, s33, s26
	s_mul_i32 s4, s4, s7
	s_mul_hi_u32 s5, s8, s7
	s_add_i32 s5, s5, s4
	s_mul_i32 s4, s8, s7
	s_lshl_b64 s[4:5], s[4:5], 4
	s_waitcnt lgkmcnt(0)
	s_add_u32 s4, s2, s4
	s_addc_u32 s5, s3, s5
	s_mul_hi_i32 s3, s33, s6
	s_mul_i32 s2, s33, s6
	s_lshl_b64 s[2:3], s[2:3], 4
	s_add_u32 s16, s4, s2
	s_addc_u32 s17, s5, s3
	s_add_i32 s2, s6, 1
	s_cmp_ge_u32 s2, s7
	v_lshlrev_b32_e32 v177, 4, v0
	s_barrier
	s_cbranch_scc1 .LBB52_199
; %bb.142:
	s_mul_i32 s2, s18, s29
	s_mul_hi_u32 s3, s18, s28
	s_add_i32 s2, s3, s2
	s_mul_i32 s3, s19, s28
	s_add_i32 s3, s2, s3
	s_mul_i32 s2, s18, s28
	s_lshl_b64 s[2:3], s[2:3], 4
	v_mov_b32_e32 v6, s3
	v_subrev_co_u32_e32 v179, vcc, s2, v40
	v_subb_co_u32_e32 v180, vcc, v41, v6, vcc
	v_lshrrev_b32_e32 v6, 4, v44
	v_lshlrev_b32_e32 v8, 6, v6
	v_mul_i32_i24_e32 v11, 0xffffffd0, v6
	v_and_b32_e32 v6, 48, v0
	v_and_b32_e32 v7, 15, v0
	v_lshlrev_b32_e32 v10, 6, v1
	s_movk_i32 s4, 0x430
	v_lshlrev_b32_e32 v6, 4, v6
	v_mad_u32_u24 v186, v7, s4, v6
	v_or_b32_e32 v6, 0xf0, v177
	v_add_u32_e32 v9, 0x220, v10
	v_mad_u32_u24 v185, v7, s4, v8
	v_mad_u32_u24 v187, v7, s4, v6
	v_mad_u64_u32 v[7:8], s[4:5], s24, v9, 0
	v_add_u32_e32 v13, 0x530, v10
	v_add_u32_e32 v182, 0x4300, v10
	v_mad_u64_u32 v[8:9], s[4:5], s25, v9, v[8:9]
	v_sub_co_u32_e32 v9, vcc, v7, v38
	v_subb_co_u32_e32 v12, vcc, v8, v39, vcc
	v_mad_u64_u32 v[7:8], s[4:5], s24, v13, 0
	v_add_co_u32_e32 v203, vcc, v42, v9
	v_mad_u64_u32 v[8:9], s[4:5], s25, v13, v[8:9]
	v_addc_co_u32_e32 v204, vcc, v43, v12, vcc
	v_sub_co_u32_e32 v9, vcc, v7, v38
	v_add_u32_e32 v13, 0x210, v10
	v_subb_co_u32_e32 v12, vcc, v8, v39, vcc
	v_mad_u64_u32 v[7:8], s[4:5], s24, v13, 0
	v_add_co_u32_e32 v205, vcc, v42, v9
	v_mad_u64_u32 v[8:9], s[4:5], s25, v13, v[8:9]
	v_addc_co_u32_e32 v206, vcc, v43, v12, vcc
	v_sub_co_u32_e32 v9, vcc, v7, v38
	v_add_u32_e32 v13, 0x500, v10
	;; [unrolled: 7-line block ×14, first 2 shown]
	v_subb_co_u32_e32 v12, vcc, v8, v39, vcc
	v_mad_u64_u32 v[7:8], s[4:5], s24, v10, 0
	v_add_co_u32_e32 v231, vcc, v42, v9
	v_mad_u64_u32 v[8:9], s[4:5], s25, v10, v[8:9]
	v_addc_co_u32_e32 v232, vcc, v43, v12, vcc
	v_sub_co_u32_e32 v7, vcc, v7, v38
	v_subb_co_u32_e32 v8, vcc, v8, v39, vcc
	v_lshlrev_b32_e32 v178, 2, v1
	s_movk_i32 s2, 0x10c0
	v_add_co_u32_e32 v233, vcc, v42, v7
	s_add_i32 s21, s7, -2
	v_add_u32_e32 v181, 0x4300, v177
	v_add_u32_e32 v183, 0x4700, v177
	v_mad_u32_u24 v184, v1, s2, v177
	v_cmp_gt_u32_e64 s[2:3], 64, v44
	v_or_b32_e32 v188, 1, v178
	v_or_b32_e32 v189, 2, v178
	;; [unrolled: 1-line block ×3, first 2 shown]
	v_add_u32_e32 v191, 16, v178
	v_add_u32_e32 v192, 17, v178
	;; [unrolled: 1-line block ×12, first 2 shown]
	s_add_i32 s26, s28, 64
	v_mov_b32_e32 v6, 0
	s_lshl_b64 s[10:11], s[24:25], 10
	v_addc_co_u32_e32 v234, vcc, v43, v8, vcc
	v_add_u32_e32 v235, v185, v11
	s_cmp_eq_u32 s21, s6
	s_cselect_b32 s24, s27, 0
	s_and_saveexec_b64 s[4:5], s[0:1]
	s_cbranch_execz .LBB52_148
	s_branch .LBB52_144
.LBB52_143:                             ;   in Loop: Header=BB52_148 Depth=1
	s_mov_b32 s6, s4
	s_cmp_eq_u32 s21, s6
	s_cselect_b32 s24, s27, 0
	s_and_saveexec_b64 s[4:5], s[0:1]
	s_cbranch_execz .LBB52_148
.LBB52_144:
	s_cmp_lg_u32 s24, 0
	s_cselect_b64 s[8:9], -1, 0
	v_cmp_le_i32_e32 vcc, s24, v0
	s_and_b64 s[8:9], s[8:9], vcc
	s_and_saveexec_b64 s[12:13], s[8:9]
	s_xor_b64 s[8:9], exec, s[12:13]
; %bb.145:
	v_mov_b32_e32 v7, v6
	v_mov_b32_e32 v8, v6
	;; [unrolled: 1-line block ×3, first 2 shown]
	ds_write_b128 v181, v[6:9]
; %bb.146:
	s_andn2_saveexec_b64 s[8:9], s[8:9]
	s_cbranch_execz .LBB52_148
; %bb.147:
	s_ashr_i32 s8, s26, 31
	s_mul_hi_u32 s9, s18, s26
	s_mul_i32 s8, s18, s8
	s_add_i32 s8, s9, s8
	s_mul_i32 s9, s19, s26
	s_add_i32 s9, s8, s9
	s_mul_i32 s8, s18, s26
	s_lshl_b64 s[8:9], s[8:9], 4
	v_mov_b32_e32 v8, s9
	v_add_co_u32_e32 v7, vcc, s8, v179
	v_addc_co_u32_e32 v8, vcc, v180, v8, vcc
	flat_load_dwordx4 v[7:10], v[7:8]
	s_waitcnt vmcnt(0) lgkmcnt(0)
	ds_write2_b64 v181, v[7:8], v[9:10] offset1:1
.LBB52_148:                             ; =>This Inner Loop Header: Depth=1
	s_or_b64 exec, exec, s[4:5]
	s_cmp_eq_u32 s24, 0
	v_add_co_u32_e32 v19, vcc, v211, v177
	s_cselect_b64 s[12:13], -1, 0
	s_cmp_lg_u32 s24, 0
	v_addc_co_u32_e32 v20, vcc, 0, v212, vcc
	s_cselect_b64 s[8:9], -1, 0
	s_and_b64 vcc, exec, s[8:9]
	s_waitcnt lgkmcnt(0)
	s_barrier
	s_cbranch_vccz .LBB52_156
; %bb.149:                              ;   in Loop: Header=BB52_148 Depth=1
	v_mov_b32_e32 v11, 0
	v_mov_b32_e32 v7, 0
	;; [unrolled: 1-line block ×6, first 2 shown]
	v_cmp_gt_i32_e32 vcc, s24, v178
	s_and_saveexec_b64 s[4:5], vcc
	s_cbranch_execz .LBB52_151
; %bb.150:                              ;   in Loop: Header=BB52_148 Depth=1
	flat_load_dwordx4 v[7:10], v[19:20]
.LBB52_151:                             ;   in Loop: Header=BB52_148 Depth=1
	s_or_b64 exec, exec, s[4:5]
	v_mov_b32_e32 v13, 0
	v_mov_b32_e32 v14, 0
	v_cmp_gt_i32_e32 vcc, s24, v188
	s_and_saveexec_b64 s[4:5], vcc
	s_cbranch_execz .LBB52_153
; %bb.152:                              ;   in Loop: Header=BB52_148 Depth=1
	v_add_co_u32_e32 v11, vcc, v207, v177
	v_addc_co_u32_e32 v12, vcc, 0, v208, vcc
	flat_load_dwordx4 v[11:14], v[11:12]
.LBB52_153:                             ;   in Loop: Header=BB52_148 Depth=1
	s_or_b64 exec, exec, s[4:5]
	v_mov_b32_e32 v15, 0
	v_mov_b32_e32 v17, 0
	;; [unrolled: 1-line block ×4, first 2 shown]
	v_cmp_gt_i32_e32 vcc, s24, v189
	s_and_saveexec_b64 s[4:5], vcc
	s_cbranch_execz .LBB52_155
; %bb.154:                              ;   in Loop: Header=BB52_148 Depth=1
	v_add_co_u32_e32 v15, vcc, v203, v177
	v_addc_co_u32_e32 v16, vcc, 0, v204, vcc
	flat_load_dwordx4 v[15:18], v[15:16]
.LBB52_155:                             ;   in Loop: Header=BB52_148 Depth=1
	s_or_b64 exec, exec, s[4:5]
	v_cmp_gt_i32_e64 s[4:5], s24, v190
	s_branch .LBB52_158
.LBB52_156:                             ;   in Loop: Header=BB52_148 Depth=1
	s_mov_b64 s[4:5], 0
                                        ; implicit-def: $vgpr17_vgpr18
                                        ; implicit-def: $vgpr13_vgpr14
                                        ; implicit-def: $vgpr9_vgpr10
	s_cbranch_execz .LBB52_158
; %bb.157:                              ;   in Loop: Header=BB52_148 Depth=1
	s_waitcnt vmcnt(0) lgkmcnt(0)
	v_add_co_u32_e32 v11, vcc, v207, v177
	v_addc_co_u32_e32 v12, vcc, 0, v208, vcc
	v_add_co_u32_e32 v15, vcc, v203, v177
	v_addc_co_u32_e32 v16, vcc, 0, v204, vcc
	flat_load_dwordx4 v[7:10], v[19:20]
	s_or_b64 s[4:5], s[4:5], exec
	flat_load_dwordx4 v[11:14], v[11:12]
	s_nop 0
	flat_load_dwordx4 v[15:18], v[15:16]
.LBB52_158:                             ;   in Loop: Header=BB52_148 Depth=1
	v_mov_b32_e32 v19, 0
	v_mov_b32_e32 v21, 0
	;; [unrolled: 1-line block ×4, first 2 shown]
	s_and_saveexec_b64 s[14:15], s[4:5]
	s_cbranch_execz .LBB52_160
; %bb.159:                              ;   in Loop: Header=BB52_148 Depth=1
	v_add_co_u32_e32 v19, vcc, v215, v177
	v_addc_co_u32_e32 v20, vcc, 0, v216, vcc
	flat_load_dwordx4 v[19:22], v[19:20]
.LBB52_160:                             ;   in Loop: Header=BB52_148 Depth=1
	s_or_b64 exec, exec, s[14:15]
	ds_read_b128 v[23:26], v183
	s_andn2_b64 vcc, exec, s[8:9]
	s_waitcnt vmcnt(0) lgkmcnt(0)
	v_mul_f64 v[27:28], v[9:10], v[25:26]
	v_mul_f64 v[29:30], v[9:10], v[23:24]
	;; [unrolled: 1-line block ×8, first 2 shown]
	v_fma_f64 v[27:28], v[7:8], v[23:24], v[27:28]
	v_fma_f64 v[29:30], v[7:8], v[25:26], -v[29:30]
	v_fma_f64 v[31:32], v[11:12], v[23:24], v[31:32]
	v_fma_f64 v[33:34], v[11:12], v[25:26], -v[33:34]
	;; [unrolled: 2-line block ×4, first 2 shown]
	ds_read_b128 v[47:50], v182
	ds_read_b128 v[43:46], v182 offset:16
	ds_read_b128 v[35:38], v182 offset:32
	;; [unrolled: 1-line block ×3, first 2 shown]
	ds_write_b128 v184, v[27:30]
	ds_write_b128 v184, v[31:34] offset:1072
	ds_write_b128 v184, v[39:42] offset:2144
	;; [unrolled: 1-line block ×3, first 2 shown]
	s_waitcnt lgkmcnt(0)
	s_barrier
	ds_read_b128 v[95:98], v185
	ds_read_b128 v[91:94], v185 offset:16
	ds_read_b128 v[87:90], v185 offset:32
	;; [unrolled: 1-line block ×3, first 2 shown]
	v_cndmask_b32_e64 v27, 0, 1, s[8:9]
	v_add_co_u32_e64 v51, s[8:9], v227, v177
	v_cmp_ne_u32_e64 s[4:5], 1, v27
	v_addc_co_u32_e64 v52, s[8:9], 0, v228, s[8:9]
	s_waitcnt lgkmcnt(0)
	s_barrier
	s_cbranch_vccnz .LBB52_168
; %bb.161:                              ;   in Loop: Header=BB52_148 Depth=1
	v_mov_b32_e32 v27, 0
	v_mov_b32_e32 v31, 0
	;; [unrolled: 1-line block ×6, first 2 shown]
	v_cmp_gt_i32_e32 vcc, s24, v191
	s_and_saveexec_b64 s[8:9], vcc
	s_cbranch_execz .LBB52_163
; %bb.162:                              ;   in Loop: Header=BB52_148 Depth=1
	flat_load_dwordx4 v[31:34], v[51:52]
.LBB52_163:                             ;   in Loop: Header=BB52_148 Depth=1
	s_or_b64 exec, exec, s[8:9]
	v_mov_b32_e32 v29, 0
	v_mov_b32_e32 v30, 0
	v_cmp_gt_i32_e32 vcc, s24, v192
	s_and_saveexec_b64 s[8:9], vcc
	s_cbranch_execz .LBB52_165
; %bb.164:                              ;   in Loop: Header=BB52_148 Depth=1
	v_add_co_u32_e32 v27, vcc, v223, v177
	v_addc_co_u32_e32 v28, vcc, 0, v224, vcc
	flat_load_dwordx4 v[27:30], v[27:28]
.LBB52_165:                             ;   in Loop: Header=BB52_148 Depth=1
	s_or_b64 exec, exec, s[8:9]
	v_mov_b32_e32 v39, 0
	v_mov_b32_e32 v41, 0
	;; [unrolled: 1-line block ×4, first 2 shown]
	v_cmp_gt_i32_e32 vcc, s24, v193
	s_and_saveexec_b64 s[8:9], vcc
	s_cbranch_execz .LBB52_167
; %bb.166:                              ;   in Loop: Header=BB52_148 Depth=1
	v_add_co_u32_e32 v39, vcc, v217, v177
	v_addc_co_u32_e32 v40, vcc, 0, v218, vcc
	flat_load_dwordx4 v[39:42], v[39:40]
.LBB52_167:                             ;   in Loop: Header=BB52_148 Depth=1
	s_or_b64 exec, exec, s[8:9]
	v_cmp_gt_i32_e64 s[8:9], s24, v194
	s_branch .LBB52_170
.LBB52_168:                             ;   in Loop: Header=BB52_148 Depth=1
	s_mov_b64 s[8:9], 0
                                        ; implicit-def: $vgpr41_vgpr42
                                        ; implicit-def: $vgpr29_vgpr30
                                        ; implicit-def: $vgpr33_vgpr34
	s_cbranch_execz .LBB52_170
; %bb.169:                              ;   in Loop: Header=BB52_148 Depth=1
	s_waitcnt vmcnt(0) lgkmcnt(0)
	v_add_co_u32_e32 v27, vcc, v223, v177
	v_addc_co_u32_e32 v28, vcc, 0, v224, vcc
	v_add_co_u32_e32 v39, vcc, v217, v177
	v_addc_co_u32_e32 v40, vcc, 0, v218, vcc
	flat_load_dwordx4 v[31:34], v[51:52]
	s_or_b64 s[8:9], s[8:9], exec
	flat_load_dwordx4 v[27:30], v[27:28]
	s_nop 0
	flat_load_dwordx4 v[39:42], v[39:40]
.LBB52_170:                             ;   in Loop: Header=BB52_148 Depth=1
	v_mov_b32_e32 v51, 0
	v_mov_b32_e32 v53, 0
	;; [unrolled: 1-line block ×4, first 2 shown]
	s_and_saveexec_b64 s[14:15], s[8:9]
	s_cbranch_execz .LBB52_172
; %bb.171:                              ;   in Loop: Header=BB52_148 Depth=1
	v_add_co_u32_e32 v51, vcc, v231, v177
	v_addc_co_u32_e32 v52, vcc, 0, v232, vcc
	flat_load_dwordx4 v[51:54], v[51:52]
.LBB52_172:                             ;   in Loop: Header=BB52_148 Depth=1
	s_or_b64 exec, exec, s[14:15]
	ds_read_b128 v[55:58], v183
	s_and_b64 vcc, exec, s[4:5]
	s_waitcnt vmcnt(0) lgkmcnt(0)
	v_mul_f64 v[59:60], v[33:34], v[57:58]
	v_mul_f64 v[61:62], v[33:34], v[55:56]
	;; [unrolled: 1-line block ×8, first 2 shown]
	v_fma_f64 v[63:64], v[31:32], v[55:56], v[59:60]
	v_fma_f64 v[65:66], v[31:32], v[57:58], -v[61:62]
	v_fma_f64 v[67:68], v[27:28], v[55:56], v[67:68]
	v_fma_f64 v[69:70], v[27:28], v[57:58], -v[69:70]
	;; [unrolled: 2-line block ×4, first 2 shown]
	ds_read_b128 v[75:78], v182 offset:256
	ds_read_b128 v[71:74], v182 offset:272
	;; [unrolled: 1-line block ×4, first 2 shown]
	ds_write_b128 v184, v[63:66]
	ds_write_b128 v184, v[67:70] offset:1072
	ds_write_b128 v184, v[79:82] offset:2144
	;; [unrolled: 1-line block ×3, first 2 shown]
	s_waitcnt lgkmcnt(0)
	s_barrier
	ds_read_b128 v[147:150], v185
	ds_read_b128 v[139:142], v185 offset:16
	ds_read_b128 v[135:138], v185 offset:32
	;; [unrolled: 1-line block ×3, first 2 shown]
	v_add_co_u32_e64 v99, s[8:9], v225, v177
	v_addc_co_u32_e64 v100, s[8:9], 0, v226, s[8:9]
	s_waitcnt lgkmcnt(0)
	s_barrier
	s_cbranch_vccnz .LBB52_180
; %bb.173:                              ;   in Loop: Header=BB52_148 Depth=1
	v_mov_b32_e32 v67, 0
	v_mov_b32_e32 v63, 0
	;; [unrolled: 1-line block ×6, first 2 shown]
	v_cmp_gt_i32_e32 vcc, s24, v195
	s_and_saveexec_b64 s[8:9], vcc
	s_cbranch_execz .LBB52_175
; %bb.174:                              ;   in Loop: Header=BB52_148 Depth=1
	flat_load_dwordx4 v[63:66], v[99:100]
.LBB52_175:                             ;   in Loop: Header=BB52_148 Depth=1
	s_or_b64 exec, exec, s[8:9]
	v_mov_b32_e32 v69, 0
	v_mov_b32_e32 v70, 0
	v_cmp_gt_i32_e32 vcc, s24, v196
	s_and_saveexec_b64 s[8:9], vcc
	s_cbranch_execz .LBB52_177
; %bb.176:                              ;   in Loop: Header=BB52_148 Depth=1
	v_add_co_u32_e32 v67, vcc, v229, v177
	v_addc_co_u32_e32 v68, vcc, 0, v230, vcc
	flat_load_dwordx4 v[67:70], v[67:68]
.LBB52_177:                             ;   in Loop: Header=BB52_148 Depth=1
	s_or_b64 exec, exec, s[8:9]
	v_mov_b32_e32 v79, 0
	v_mov_b32_e32 v81, 0
	;; [unrolled: 1-line block ×4, first 2 shown]
	v_cmp_gt_i32_e32 vcc, s24, v197
	s_and_saveexec_b64 s[8:9], vcc
	s_cbranch_execz .LBB52_179
; %bb.178:                              ;   in Loop: Header=BB52_148 Depth=1
	v_add_co_u32_e32 v79, vcc, v233, v177
	v_addc_co_u32_e32 v80, vcc, 0, v234, vcc
	flat_load_dwordx4 v[79:82], v[79:80]
.LBB52_179:                             ;   in Loop: Header=BB52_148 Depth=1
	s_or_b64 exec, exec, s[8:9]
	v_cmp_gt_i32_e64 s[8:9], s24, v198
	s_branch .LBB52_182
.LBB52_180:                             ;   in Loop: Header=BB52_148 Depth=1
	s_mov_b64 s[8:9], 0
                                        ; implicit-def: $vgpr81_vgpr82
                                        ; implicit-def: $vgpr69_vgpr70
                                        ; implicit-def: $vgpr65_vgpr66
	s_cbranch_execz .LBB52_182
; %bb.181:                              ;   in Loop: Header=BB52_148 Depth=1
	s_waitcnt vmcnt(0) lgkmcnt(0)
	v_add_co_u32_e32 v67, vcc, v229, v177
	v_addc_co_u32_e32 v68, vcc, 0, v230, vcc
	v_add_co_u32_e32 v79, vcc, v233, v177
	v_addc_co_u32_e32 v80, vcc, 0, v234, vcc
	flat_load_dwordx4 v[63:66], v[99:100]
	s_or_b64 s[8:9], s[8:9], exec
	flat_load_dwordx4 v[67:70], v[67:68]
	s_nop 0
	flat_load_dwordx4 v[79:82], v[79:80]
.LBB52_182:                             ;   in Loop: Header=BB52_148 Depth=1
	v_mov_b32_e32 v99, 0
	v_mov_b32_e32 v101, 0
	v_mov_b32_e32 v100, 0
	v_mov_b32_e32 v102, 0
	s_and_saveexec_b64 s[14:15], s[8:9]
	s_cbranch_execz .LBB52_184
; %bb.183:                              ;   in Loop: Header=BB52_148 Depth=1
	v_add_co_u32_e32 v99, vcc, v221, v177
	v_addc_co_u32_e32 v100, vcc, 0, v222, vcc
	flat_load_dwordx4 v[99:102], v[99:100]
.LBB52_184:                             ;   in Loop: Header=BB52_148 Depth=1
	s_or_b64 exec, exec, s[14:15]
	ds_read_b128 v[103:106], v183
	s_and_b64 vcc, exec, s[4:5]
	s_waitcnt vmcnt(0) lgkmcnt(0)
	v_mul_f64 v[107:108], v[65:66], v[105:106]
	v_mul_f64 v[109:110], v[65:66], v[103:104]
	;; [unrolled: 1-line block ×8, first 2 shown]
	v_fma_f64 v[119:120], v[63:64], v[103:104], v[107:108]
	v_fma_f64 v[121:122], v[63:64], v[105:106], -v[109:110]
	v_fma_f64 v[123:124], v[67:68], v[103:104], v[111:112]
	v_fma_f64 v[125:126], v[67:68], v[105:106], -v[113:114]
	;; [unrolled: 2-line block ×4, first 2 shown]
	ds_read_b128 v[115:118], v182 offset:512
	ds_read_b128 v[111:114], v182 offset:528
	;; [unrolled: 1-line block ×4, first 2 shown]
	ds_write_b128 v184, v[119:122]
	ds_write_b128 v184, v[123:126] offset:1072
	ds_write_b128 v184, v[127:130] offset:2144
	;; [unrolled: 1-line block ×3, first 2 shown]
	s_waitcnt lgkmcnt(0)
	s_barrier
	ds_read_b128 v[155:158], v185
	ds_read_b128 v[151:154], v185 offset:16
	ds_read_b128 v[171:174], v185 offset:32
	;; [unrolled: 1-line block ×3, first 2 shown]
	v_add_co_u32_e64 v143, s[4:5], v209, v177
	v_addc_co_u32_e64 v144, s[4:5], 0, v210, s[4:5]
	s_waitcnt lgkmcnt(0)
	s_barrier
	s_cbranch_vccnz .LBB52_192
; %bb.185:                              ;   in Loop: Header=BB52_148 Depth=1
	v_mov_b32_e32 v123, 0
	v_mov_b32_e32 v119, 0
	;; [unrolled: 1-line block ×6, first 2 shown]
	v_cmp_gt_i32_e32 vcc, s24, v199
	s_and_saveexec_b64 s[4:5], vcc
	s_cbranch_execz .LBB52_187
; %bb.186:                              ;   in Loop: Header=BB52_148 Depth=1
	flat_load_dwordx4 v[119:122], v[143:144]
.LBB52_187:                             ;   in Loop: Header=BB52_148 Depth=1
	s_or_b64 exec, exec, s[4:5]
	v_mov_b32_e32 v125, 0
	v_mov_b32_e32 v126, 0
	v_cmp_gt_i32_e32 vcc, s24, v200
	s_and_saveexec_b64 s[4:5], vcc
	s_cbranch_execz .LBB52_189
; %bb.188:                              ;   in Loop: Header=BB52_148 Depth=1
	v_add_co_u32_e32 v123, vcc, v213, v177
	v_addc_co_u32_e32 v124, vcc, 0, v214, vcc
	flat_load_dwordx4 v[123:126], v[123:124]
.LBB52_189:                             ;   in Loop: Header=BB52_148 Depth=1
	s_or_b64 exec, exec, s[4:5]
	v_mov_b32_e32 v127, 0
	v_mov_b32_e32 v129, 0
	;; [unrolled: 1-line block ×4, first 2 shown]
	v_cmp_gt_i32_e32 vcc, s24, v201
	s_and_saveexec_b64 s[4:5], vcc
	s_cbranch_execz .LBB52_191
; %bb.190:                              ;   in Loop: Header=BB52_148 Depth=1
	v_add_co_u32_e32 v127, vcc, v219, v177
	v_addc_co_u32_e32 v128, vcc, 0, v220, vcc
	flat_load_dwordx4 v[127:130], v[127:128]
.LBB52_191:                             ;   in Loop: Header=BB52_148 Depth=1
	s_or_b64 exec, exec, s[4:5]
	v_cmp_gt_i32_e64 s[4:5], s24, v202
	s_branch .LBB52_194
.LBB52_192:                             ;   in Loop: Header=BB52_148 Depth=1
	s_mov_b64 s[4:5], 0
                                        ; implicit-def: $vgpr129_vgpr130
                                        ; implicit-def: $vgpr125_vgpr126
                                        ; implicit-def: $vgpr121_vgpr122
	s_cbranch_execz .LBB52_194
; %bb.193:                              ;   in Loop: Header=BB52_148 Depth=1
	s_waitcnt vmcnt(0) lgkmcnt(0)
	v_add_co_u32_e32 v123, vcc, v213, v177
	v_addc_co_u32_e32 v124, vcc, 0, v214, vcc
	v_add_co_u32_e32 v127, vcc, v219, v177
	v_addc_co_u32_e32 v128, vcc, 0, v220, vcc
	flat_load_dwordx4 v[119:122], v[143:144]
	s_or_b64 s[4:5], s[4:5], exec
	flat_load_dwordx4 v[123:126], v[123:124]
	s_nop 0
	flat_load_dwordx4 v[127:130], v[127:128]
.LBB52_194:                             ;   in Loop: Header=BB52_148 Depth=1
	v_mov_b32_e32 v143, 0
	v_mov_b32_e32 v145, 0
	;; [unrolled: 1-line block ×4, first 2 shown]
	s_and_saveexec_b64 s[8:9], s[4:5]
	s_cbranch_execz .LBB52_196
; %bb.195:                              ;   in Loop: Header=BB52_148 Depth=1
	v_add_co_u32_e32 v143, vcc, v205, v177
	v_addc_co_u32_e32 v144, vcc, 0, v206, vcc
	flat_load_dwordx4 v[143:146], v[143:144]
.LBB52_196:                             ;   in Loop: Header=BB52_148 Depth=1
	s_or_b64 exec, exec, s[8:9]
	v_add_f64 v[155:156], v[155:156], 0
	v_add_f64 v[157:158], v[157:158], 0
	ds_read_b128 v[159:162], v183
	v_add_f64 v[147:148], v[147:148], 0
	v_add_f64 v[149:150], v[149:150], 0
	v_cmp_gt_i32_e32 vcc, s24, v0
	s_or_b64 s[4:5], s[12:13], vcc
	s_waitcnt vmcnt(0) lgkmcnt(0)
	v_mul_f64 v[163:164], v[121:122], v[161:162]
	v_mul_f64 v[165:166], v[121:122], v[159:160]
	;; [unrolled: 1-line block ×3, first 2 shown]
	v_add_f64 v[252:253], v[155:156], v[151:152]
	v_mul_f64 v[151:152], v[125:126], v[159:160]
	v_add_f64 v[254:255], v[157:158], v[153:154]
	v_mul_f64 v[153:154], v[129:130], v[161:162]
	v_mul_f64 v[155:156], v[129:130], v[159:160]
	;; [unrolled: 1-line block ×4, first 2 shown]
	v_fma_f64 v[236:237], v[119:120], v[159:160], v[163:164]
	v_fma_f64 v[238:239], v[119:120], v[161:162], -v[165:166]
	v_fma_f64 v[240:241], v[123:124], v[159:160], v[240:241]
	v_fma_f64 v[242:243], v[123:124], v[161:162], -v[151:152]
	;; [unrolled: 2-line block ×4, first 2 shown]
	ds_read_b128 v[163:166], v182 offset:768
	ds_read_b128 v[159:162], v182 offset:784
	;; [unrolled: 1-line block ×4, first 2 shown]
	ds_write_b128 v184, v[236:239]
	ds_write_b128 v184, v[240:243] offset:1072
	ds_write_b128 v184, v[244:247] offset:2144
	ds_write_b128 v184, v[248:251] offset:3216
	s_waitcnt lgkmcnt(0)
	s_barrier
	ds_read_b128 v[236:239], v185
	v_add_f64 v[240:241], v[95:96], 0
	v_add_f64 v[242:243], v[97:98], 0
	ds_read_b128 v[95:98], v185 offset:16
	v_add_f64 v[139:140], v[147:148], v[139:140]
	s_waitcnt lgkmcnt(1)
	v_add_f64 v[236:237], v[236:237], 0
	v_add_f64 v[238:239], v[238:239], 0
	;; [unrolled: 1-line block ×6, first 2 shown]
	ds_read_b128 v[91:94], v185 offset:32
	v_add_f64 v[135:136], v[139:140], v[135:136]
	s_waitcnt lgkmcnt(1)
	v_add_f64 v[95:96], v[236:237], v[95:96]
	v_add_f64 v[97:98], v[238:239], v[97:98]
	;; [unrolled: 1-line block ×6, first 2 shown]
	ds_read_b128 v[87:90], v185 offset:48
	s_and_b64 s[8:9], s[2:3], s[4:5]
	s_waitcnt lgkmcnt(1)
	v_add_f64 v[149:150], v[95:96], v[91:92]
	v_add_f64 v[171:172], v[97:98], v[93:94]
	;; [unrolled: 1-line block ×8, first 2 shown]
	s_waitcnt lgkmcnt(0)
	v_add_f64 v[87:88], v[149:150], v[87:88]
	v_add_f64 v[89:90], v[171:172], v[89:90]
	s_barrier
	ds_write_b128 v235, v[83:86]
	ds_write_b128 v235, v[95:98] offset:256
	ds_write_b128 v235, v[91:94] offset:512
	;; [unrolled: 1-line block ×3, first 2 shown]
	s_waitcnt lgkmcnt(0)
	s_barrier
	s_and_saveexec_b64 s[4:5], s[8:9]
	s_cbranch_execz .LBB52_198
; %bb.197:                              ;   in Loop: Header=BB52_148 Depth=1
	ds_read_b128 v[83:86], v186
	ds_read_b128 v[87:90], v186 offset:16
	s_waitcnt lgkmcnt(0)
	v_add_f64 v[91:92], v[87:88], v[83:84]
	v_add_f64 v[93:94], v[89:90], v[85:86]
	ds_read_b128 v[83:86], v186 offset:32
	ds_read_b128 v[87:90], v186 offset:48
	s_waitcnt lgkmcnt(1)
	v_add_f64 v[83:84], v[91:92], v[83:84]
	v_add_f64 v[85:86], v[93:94], v[85:86]
	s_waitcnt lgkmcnt(0)
	v_add_f64 v[91:92], v[83:84], v[87:88]
	v_add_f64 v[93:94], v[85:86], v[89:90]
	ds_read_b128 v[83:86], v186 offset:64
	ds_read_b128 v[87:90], v186 offset:80
	s_waitcnt lgkmcnt(1)
	v_add_f64 v[83:84], v[91:92], v[83:84]
	v_add_f64 v[85:86], v[93:94], v[85:86]
	;; [unrolled: 8-line block ×6, first 2 shown]
	s_waitcnt lgkmcnt(0)
	v_add_f64 v[91:92], v[83:84], v[87:88]
	v_add_f64 v[93:94], v[85:86], v[89:90]
	ds_read_b128 v[83:86], v186 offset:224
	ds_read_b128 v[87:90], v187
	s_waitcnt lgkmcnt(1)
	v_add_f64 v[83:84], v[91:92], v[83:84]
	v_add_f64 v[85:86], v[93:94], v[85:86]
	s_waitcnt lgkmcnt(0)
	v_add_f64 v[83:84], v[83:84], v[87:88]
	v_add_f64 v[85:86], v[85:86], v[89:90]
	v_add_u32_e32 v87, s26, v0
	v_ashrrev_i32_e32 v88, 31, v87
	v_lshlrev_b64 v[87:88], 4, v[87:88]
	v_mov_b32_e32 v89, s17
	v_add_co_u32_e32 v87, vcc, s16, v87
	v_addc_co_u32_e32 v88, vcc, v89, v88, vcc
	global_store_dwordx4 v[87:88], v[83:86], off
.LBB52_198:                             ;   in Loop: Header=BB52_148 Depth=1
	s_or_b64 exec, exec, s[4:5]
	v_mul_f64 v[83:84], v[9:10], v[49:50]
	v_mul_f64 v[49:50], v[7:8], v[49:50]
	;; [unrolled: 1-line block ×4, first 2 shown]
	v_add_co_u32_e32 v203, vcc, s10, v203
	s_add_i32 s4, s6, 1
	s_add_i32 s26, s26, 64
	v_fma_f64 v[7:8], v[7:8], v[47:48], -v[83:84]
	v_fma_f64 v[9:10], v[9:10], v[47:48], v[49:50]
	v_mul_f64 v[47:48], v[17:18], v[37:38]
	v_mul_f64 v[37:38], v[15:16], v[37:38]
	v_fma_f64 v[11:12], v[11:12], v[43:44], -v[85:86]
	v_fma_f64 v[13:14], v[13:14], v[43:44], v[45:46]
	v_mul_f64 v[49:50], v[21:22], v[25:26]
	v_mul_f64 v[43:44], v[29:30], v[73:74]
	v_add_f64 v[2:3], v[2:3], v[7:8]
	v_add_f64 v[4:5], v[4:5], v[9:10]
	v_mul_f64 v[7:8], v[19:20], v[25:26]
	v_fma_f64 v[15:16], v[15:16], v[35:36], -v[47:48]
	v_fma_f64 v[17:18], v[17:18], v[35:36], v[37:38]
	v_mul_f64 v[9:10], v[33:34], v[77:78]
	v_mul_f64 v[25:26], v[31:32], v[77:78]
	v_fma_f64 v[19:20], v[19:20], v[23:24], -v[49:50]
	v_add_f64 v[2:3], v[2:3], v[11:12]
	v_add_f64 v[4:5], v[4:5], v[13:14]
	v_fma_f64 v[7:8], v[21:22], v[23:24], v[7:8]
	v_mul_f64 v[11:12], v[27:28], v[73:74]
	v_mul_f64 v[13:14], v[41:42], v[61:62]
	v_fma_f64 v[9:10], v[31:32], v[75:76], -v[9:10]
	v_fma_f64 v[25:26], v[33:34], v[75:76], v[25:26]
	v_mul_f64 v[35:36], v[39:40], v[61:62]
	v_add_f64 v[2:3], v[2:3], v[15:16]
	v_add_f64 v[4:5], v[4:5], v[17:18]
	v_fma_f64 v[27:28], v[27:28], v[71:72], -v[43:44]
	v_fma_f64 v[11:12], v[29:30], v[71:72], v[11:12]
	v_mul_f64 v[37:38], v[53:54], v[57:58]
	v_mul_f64 v[15:16], v[51:52], v[57:58]
	v_fma_f64 v[13:14], v[39:40], v[59:60], -v[13:14]
	v_fma_f64 v[35:36], v[41:42], v[59:60], v[35:36]
	v_add_f64 v[2:3], v[2:3], v[19:20]
	v_add_f64 v[4:5], v[4:5], v[7:8]
	v_mul_f64 v[17:18], v[65:66], v[117:118]
	v_mul_f64 v[21:22], v[63:64], v[117:118]
	v_fma_f64 v[37:38], v[51:52], v[55:56], -v[37:38]
	v_fma_f64 v[15:16], v[53:54], v[55:56], v[15:16]
	v_mul_f64 v[23:24], v[69:70], v[113:114]
	v_mul_f64 v[7:8], v[67:68], v[113:114]
	v_add_f64 v[2:3], v[2:3], v[9:10]
	v_add_f64 v[4:5], v[4:5], v[25:26]
	v_fma_f64 v[17:18], v[63:64], v[115:116], -v[17:18]
	v_fma_f64 v[21:22], v[65:66], v[115:116], v[21:22]
	v_mul_f64 v[19:20], v[81:82], v[109:110]
	v_mul_f64 v[31:32], v[79:80], v[109:110]
	;; [unrolled: 1-line block ×3, first 2 shown]
	v_fma_f64 v[7:8], v[69:70], v[111:112], v[7:8]
	v_add_f64 v[2:3], v[2:3], v[27:28]
	v_add_f64 v[4:5], v[4:5], v[11:12]
	v_mul_f64 v[9:10], v[99:100], v[105:106]
	v_mul_f64 v[25:26], v[121:122], v[165:166]
	;; [unrolled: 1-line block ×6, first 2 shown]
	v_add_f64 v[2:3], v[2:3], v[13:14]
	v_add_f64 v[4:5], v[4:5], v[35:36]
	v_fma_f64 v[9:10], v[101:102], v[103:104], v[9:10]
	v_mul_f64 v[39:40], v[127:128], v[157:158]
	v_mov_b32_e32 v35, s11
	v_addc_co_u32_e32 v204, vcc, v204, v35, vcc
	v_add_co_u32_e32 v205, vcc, s10, v205
	v_add_f64 v[2:3], v[2:3], v[37:38]
	v_add_f64 v[4:5], v[4:5], v[15:16]
	v_fma_f64 v[15:16], v[67:68], v[111:112], -v[23:24]
	v_addc_co_u32_e32 v206, vcc, v206, v35, vcc
	v_add_co_u32_e32 v207, vcc, s10, v207
	v_addc_co_u32_e32 v208, vcc, v208, v35, vcc
	v_add_f64 v[2:3], v[2:3], v[17:18]
	v_add_f64 v[4:5], v[4:5], v[21:22]
	v_fma_f64 v[17:18], v[79:80], v[107:108], -v[19:20]
	v_fma_f64 v[19:20], v[81:82], v[107:108], v[31:32]
	v_add_co_u32_e32 v209, vcc, s10, v209
	v_addc_co_u32_e32 v210, vcc, v210, v35, vcc
	v_add_f64 v[2:3], v[2:3], v[15:16]
	v_add_f64 v[4:5], v[4:5], v[7:8]
	v_fma_f64 v[7:8], v[99:100], v[103:104], -v[33:34]
	v_fma_f64 v[15:16], v[119:120], v[163:164], -v[25:26]
	v_mul_f64 v[41:42], v[145:146], v[153:154]
	v_mul_f64 v[13:14], v[143:144], v[153:154]
	v_add_co_u32_e32 v211, vcc, s10, v211
	v_add_f64 v[2:3], v[2:3], v[17:18]
	v_add_f64 v[4:5], v[4:5], v[19:20]
	v_fma_f64 v[17:18], v[121:122], v[163:164], v[29:30]
	v_addc_co_u32_e32 v212, vcc, v212, v35, vcc
	v_add_co_u32_e32 v213, vcc, s10, v213
	v_addc_co_u32_e32 v214, vcc, v214, v35, vcc
	v_add_f64 v[2:3], v[2:3], v[7:8]
	v_add_f64 v[4:5], v[4:5], v[9:10]
	v_fma_f64 v[7:8], v[123:124], v[159:160], -v[43:44]
	v_fma_f64 v[9:10], v[125:126], v[159:160], v[11:12]
	v_fma_f64 v[11:12], v[127:128], v[155:156], -v[27:28]
	v_add_co_u32_e32 v215, vcc, s10, v215
	v_addc_co_u32_e32 v216, vcc, v216, v35, vcc
	v_add_f64 v[2:3], v[2:3], v[15:16]
	v_add_f64 v[4:5], v[4:5], v[17:18]
	v_fma_f64 v[15:16], v[129:130], v[155:156], v[39:40]
	v_add_co_u32_e32 v217, vcc, s10, v217
	v_addc_co_u32_e32 v218, vcc, v218, v35, vcc
	v_add_co_u32_e32 v219, vcc, s10, v219
	v_add_f64 v[2:3], v[2:3], v[7:8]
	v_add_f64 v[4:5], v[4:5], v[9:10]
	v_fma_f64 v[7:8], v[143:144], v[151:152], -v[41:42]
	v_fma_f64 v[9:10], v[145:146], v[151:152], v[13:14]
	v_addc_co_u32_e32 v220, vcc, v220, v35, vcc
	v_add_co_u32_e32 v221, vcc, s10, v221
	v_add_f64 v[2:3], v[2:3], v[11:12]
	v_add_f64 v[4:5], v[4:5], v[15:16]
	v_addc_co_u32_e32 v222, vcc, v222, v35, vcc
	v_add_co_u32_e32 v223, vcc, s10, v223
	v_addc_co_u32_e32 v224, vcc, v224, v35, vcc
	v_add_co_u32_e32 v225, vcc, s10, v225
	v_addc_co_u32_e32 v226, vcc, v226, v35, vcc
	v_add_f64 v[2:3], v[2:3], v[7:8]
	v_add_f64 v[4:5], v[4:5], v[9:10]
	v_add_co_u32_e32 v227, vcc, s10, v227
	v_addc_co_u32_e32 v228, vcc, v228, v35, vcc
	v_add_co_u32_e32 v229, vcc, s10, v229
	v_addc_co_u32_e32 v230, vcc, v230, v35, vcc
	;; [unrolled: 2-line block ×3, first 2 shown]
	s_add_i32 s5, s6, 2
	v_add_co_u32_e32 v233, vcc, s10, v233
	s_cmp_ge_u32 s5, s7
	v_addc_co_u32_e32 v234, vcc, v234, v35, vcc
	s_waitcnt vmcnt(0)
	s_barrier
	s_cbranch_scc0 .LBB52_143
.LBB52_199:
	s_movk_i32 s2, 0x430
	v_cmp_gt_i32_e32 vcc, s20, v0
	v_mad_u32_u24 v1, v1, s2, v177
	s_or_b64 s[2:3], s[22:23], vcc
	s_and_b64 s[0:1], s[0:1], s[2:3]
	ds_write_b128 v1, v[2:5]
	s_waitcnt lgkmcnt(0)
	s_barrier
	s_and_saveexec_b64 s[2:3], s[0:1]
	s_cbranch_execz .LBB52_201
; %bb.200:
	ds_read_b128 v[0:3], v177 offset:1072
	ds_read_b128 v[4:7], v177
	s_waitcnt lgkmcnt(0)
	v_add_f64 v[8:9], v[0:1], v[4:5]
	v_add_f64 v[10:11], v[2:3], v[6:7]
	ds_read_b128 v[0:3], v177 offset:2144
	ds_read_b128 v[4:7], v177 offset:3216
	s_waitcnt lgkmcnt(1)
	v_add_f64 v[0:1], v[8:9], v[0:1]
	v_add_f64 v[2:3], v[10:11], v[2:3]
	s_waitcnt lgkmcnt(0)
	v_add_f64 v[0:1], v[0:1], v[4:5]
	v_add_f64 v[2:3], v[2:3], v[6:7]
	v_lshlrev_b64 v[4:5], 4, v[175:176]
	v_mov_b32_e32 v6, s17
	v_add_co_u32_e32 v4, vcc, s16, v4
	v_addc_co_u32_e32 v5, vcc, v6, v5, vcc
	global_store_dwordx4 v[4:5], v[0:3], off
.LBB52_201:
	s_endpgm
	.section	.rodata,"a",@progbits
	.p2align	6, 0x0
	.amdhsa_kernel _ZL26rocblas_hemvn_kernel_upperILb1ELi64ELi4ELi33ELi32ELi16El19rocblas_complex_numIdEPKPKS1_PS1_EviT6_lT7_lT5_lS8_lS9_lS7_lT8_i
		.amdhsa_group_segment_fixed_size 19200
		.amdhsa_private_segment_fixed_size 0
		.amdhsa_kernarg_size 392
		.amdhsa_user_sgpr_count 6
		.amdhsa_user_sgpr_private_segment_buffer 1
		.amdhsa_user_sgpr_dispatch_ptr 0
		.amdhsa_user_sgpr_queue_ptr 0
		.amdhsa_user_sgpr_kernarg_segment_ptr 1
		.amdhsa_user_sgpr_dispatch_id 0
		.amdhsa_user_sgpr_flat_scratch_init 0
		.amdhsa_user_sgpr_private_segment_size 0
		.amdhsa_uses_dynamic_stack 0
		.amdhsa_system_sgpr_private_segment_wavefront_offset 0
		.amdhsa_system_sgpr_workgroup_id_x 1
		.amdhsa_system_sgpr_workgroup_id_y 0
		.amdhsa_system_sgpr_workgroup_id_z 1
		.amdhsa_system_sgpr_workgroup_info 0
		.amdhsa_system_vgpr_workitem_id 1
		.amdhsa_next_free_vgpr 256
		.amdhsa_next_free_sgpr 98
		.amdhsa_reserve_vcc 1
		.amdhsa_reserve_flat_scratch 0
		.amdhsa_float_round_mode_32 0
		.amdhsa_float_round_mode_16_64 0
		.amdhsa_float_denorm_mode_32 3
		.amdhsa_float_denorm_mode_16_64 3
		.amdhsa_dx10_clamp 1
		.amdhsa_ieee_mode 1
		.amdhsa_fp16_overflow 0
		.amdhsa_exception_fp_ieee_invalid_op 0
		.amdhsa_exception_fp_denorm_src 0
		.amdhsa_exception_fp_ieee_div_zero 0
		.amdhsa_exception_fp_ieee_overflow 0
		.amdhsa_exception_fp_ieee_underflow 0
		.amdhsa_exception_fp_ieee_inexact 0
		.amdhsa_exception_int_div_zero 0
	.end_amdhsa_kernel
	.section	.text._ZL26rocblas_hemvn_kernel_upperILb1ELi64ELi4ELi33ELi32ELi16El19rocblas_complex_numIdEPKPKS1_PS1_EviT6_lT7_lT5_lS8_lS9_lS7_lT8_i,"axG",@progbits,_ZL26rocblas_hemvn_kernel_upperILb1ELi64ELi4ELi33ELi32ELi16El19rocblas_complex_numIdEPKPKS1_PS1_EviT6_lT7_lT5_lS8_lS9_lS7_lT8_i,comdat
.Lfunc_end52:
	.size	_ZL26rocblas_hemvn_kernel_upperILb1ELi64ELi4ELi33ELi32ELi16El19rocblas_complex_numIdEPKPKS1_PS1_EviT6_lT7_lT5_lS8_lS9_lS7_lT8_i, .Lfunc_end52-_ZL26rocblas_hemvn_kernel_upperILb1ELi64ELi4ELi33ELi32ELi16El19rocblas_complex_numIdEPKPKS1_PS1_EviT6_lT7_lT5_lS8_lS9_lS7_lT8_i
                                        ; -- End function
	.set _ZL26rocblas_hemvn_kernel_upperILb1ELi64ELi4ELi33ELi32ELi16El19rocblas_complex_numIdEPKPKS1_PS1_EviT6_lT7_lT5_lS8_lS9_lS7_lT8_i.num_vgpr, 256
	.set _ZL26rocblas_hemvn_kernel_upperILb1ELi64ELi4ELi33ELi32ELi16El19rocblas_complex_numIdEPKPKS1_PS1_EviT6_lT7_lT5_lS8_lS9_lS7_lT8_i.num_agpr, 0
	.set _ZL26rocblas_hemvn_kernel_upperILb1ELi64ELi4ELi33ELi32ELi16El19rocblas_complex_numIdEPKPKS1_PS1_EviT6_lT7_lT5_lS8_lS9_lS7_lT8_i.numbered_sgpr, 42
	.set _ZL26rocblas_hemvn_kernel_upperILb1ELi64ELi4ELi33ELi32ELi16El19rocblas_complex_numIdEPKPKS1_PS1_EviT6_lT7_lT5_lS8_lS9_lS7_lT8_i.num_named_barrier, 0
	.set _ZL26rocblas_hemvn_kernel_upperILb1ELi64ELi4ELi33ELi32ELi16El19rocblas_complex_numIdEPKPKS1_PS1_EviT6_lT7_lT5_lS8_lS9_lS7_lT8_i.private_seg_size, 0
	.set _ZL26rocblas_hemvn_kernel_upperILb1ELi64ELi4ELi33ELi32ELi16El19rocblas_complex_numIdEPKPKS1_PS1_EviT6_lT7_lT5_lS8_lS9_lS7_lT8_i.uses_vcc, 1
	.set _ZL26rocblas_hemvn_kernel_upperILb1ELi64ELi4ELi33ELi32ELi16El19rocblas_complex_numIdEPKPKS1_PS1_EviT6_lT7_lT5_lS8_lS9_lS7_lT8_i.uses_flat_scratch, 0
	.set _ZL26rocblas_hemvn_kernel_upperILb1ELi64ELi4ELi33ELi32ELi16El19rocblas_complex_numIdEPKPKS1_PS1_EviT6_lT7_lT5_lS8_lS9_lS7_lT8_i.has_dyn_sized_stack, 0
	.set _ZL26rocblas_hemvn_kernel_upperILb1ELi64ELi4ELi33ELi32ELi16El19rocblas_complex_numIdEPKPKS1_PS1_EviT6_lT7_lT5_lS8_lS9_lS7_lT8_i.has_recursion, 0
	.set _ZL26rocblas_hemvn_kernel_upperILb1ELi64ELi4ELi33ELi32ELi16El19rocblas_complex_numIdEPKPKS1_PS1_EviT6_lT7_lT5_lS8_lS9_lS7_lT8_i.has_indirect_call, 0
	.section	.AMDGPU.csdata,"",@progbits
; Kernel info:
; codeLenInByte = 11360
; TotalNumSgprs: 46
; NumVgprs: 256
; ScratchSize: 0
; MemoryBound: 1
; FloatMode: 240
; IeeeMode: 1
; LDSByteSize: 19200 bytes/workgroup (compile time only)
; SGPRBlocks: 12
; VGPRBlocks: 63
; NumSGPRsForWavesPerEU: 102
; NumVGPRsForWavesPerEU: 256
; Occupancy: 1
; WaveLimiterHint : 0
; COMPUTE_PGM_RSRC2:SCRATCH_EN: 0
; COMPUTE_PGM_RSRC2:USER_SGPR: 6
; COMPUTE_PGM_RSRC2:TRAP_HANDLER: 0
; COMPUTE_PGM_RSRC2:TGID_X_EN: 1
; COMPUTE_PGM_RSRC2:TGID_Y_EN: 0
; COMPUTE_PGM_RSRC2:TGID_Z_EN: 1
; COMPUTE_PGM_RSRC2:TIDIG_COMP_CNT: 1
	.section	.text._ZL36rocblas_hemvn_kernel_upper_block_sumILi64El19rocblas_complex_numIdEPKPS1_S1_EviT1_lS5_lT2_lT0_lPT3_i,"axG",@progbits,_ZL36rocblas_hemvn_kernel_upper_block_sumILi64El19rocblas_complex_numIdEPKPS1_S1_EviT1_lS5_lT2_lT0_lPT3_i,comdat
	.globl	_ZL36rocblas_hemvn_kernel_upper_block_sumILi64El19rocblas_complex_numIdEPKPS1_S1_EviT1_lS5_lT2_lT0_lPT3_i ; -- Begin function _ZL36rocblas_hemvn_kernel_upper_block_sumILi64El19rocblas_complex_numIdEPKPS1_S1_EviT1_lS5_lT2_lT0_lPT3_i
	.p2align	8
	.type	_ZL36rocblas_hemvn_kernel_upper_block_sumILi64El19rocblas_complex_numIdEPKPS1_S1_EviT1_lS5_lT2_lT0_lPT3_i,@function
_ZL36rocblas_hemvn_kernel_upper_block_sumILi64El19rocblas_complex_numIdEPKPS1_S1_EviT1_lS5_lT2_lT0_lPT3_i: ; @_ZL36rocblas_hemvn_kernel_upper_block_sumILi64El19rocblas_complex_numIdEPKPS1_S1_EviT1_lS5_lT2_lT0_lPT3_i
; %bb.0:
	s_load_dwordx4 s[12:15], s[4:5], 0x8
	s_load_dwordx4 s[8:11], s[4:5], 0x20
	s_mov_b32 s18, s7
	s_waitcnt lgkmcnt(0)
	v_cmp_neq_f64_e64 s[0:1], s[12:13], 0
	v_cmp_neq_f64_e64 s[2:3], s[14:15], 0
	s_or_b64 s[0:1], s[0:1], s[2:3]
	s_mov_b64 s[2:3], -1
	s_and_b64 vcc, exec, s[0:1]
	s_cbranch_vccnz .LBB53_2
; %bb.1:
	v_cmp_neq_f64_e64 s[2:3], s[8:9], 1.0
	v_cmp_neq_f64_e64 s[16:17], s[10:11], 0
	s_or_b64 s[2:3], s[2:3], s[16:17]
.LBB53_2:
	s_andn2_b64 vcc, exec, s[2:3]
	s_cbranch_vccnz .LBB53_22
; %bb.3:
	s_xor_b64 s[16:17], s[0:1], -1
	s_load_dwordx2 s[22:23], s[4:5], 0x38
	s_load_dword s20, s[4:5], 0x0
	s_load_dwordx4 s[0:3], s[4:5], 0x40
	s_mov_b32 s19, 0
	s_lshl_b64 s[24:25], s[18:19], 3
	s_waitcnt lgkmcnt(0)
	s_add_u32 s22, s22, s24
	s_addc_u32 s23, s23, s25
	s_load_dwordx2 s[22:23], s[22:23], 0x0
	s_lshl_b64 s[0:1], s[0:1], 4
	v_lshl_or_b32 v4, s6, 6, v0
	s_waitcnt lgkmcnt(0)
	s_add_u32 s7, s22, s0
	s_addc_u32 s19, s23, s1
	s_andn2_b64 vcc, exec, s[16:17]
	v_cmp_gt_i32_e64 s[0:1], s20, v4
	s_cbranch_vccnz .LBB53_8
; %bb.4:
	s_mov_b64 s[22:23], 0
	s_mov_b64 s[16:17], 0
                                        ; implicit-def: $vgpr2_vgpr3
                                        ; implicit-def: $vgpr5_vgpr6
	s_and_saveexec_b64 s[24:25], s[0:1]
	s_cbranch_execz .LBB53_9
; %bb.5:
	v_cmp_neq_f64_e64 s[0:1], s[8:9], 0
	v_cmp_neq_f64_e64 s[16:17], s[10:11], 0
	v_ashrrev_i32_e32 v0, 31, v4
	v_mul_lo_u32 v7, s3, v4
	v_mad_u64_u32 v[5:6], s[26:27], s2, v4, 0
	v_mul_lo_u32 v8, s2, v0
	v_mov_b32_e32 v2, 0
	v_mov_b32_e32 v0, 0
	s_or_b64 s[0:1], s[0:1], s[16:17]
	v_mov_b32_e32 v3, 0
	s_andn2_b64 vcc, exec, s[0:1]
	v_mov_b32_e32 v1, 0
	v_add3_u32 v6, v6, v8, v7
	s_cbranch_vccnz .LBB53_7
; %bb.6:
	v_lshlrev_b64 v[0:1], 4, v[5:6]
	v_mov_b32_e32 v2, s19
	v_add_co_u32_e32 v0, vcc, s7, v0
	v_addc_co_u32_e32 v1, vcc, v2, v1, vcc
	flat_load_dwordx4 v[7:10], v[0:1]
	s_waitcnt vmcnt(0) lgkmcnt(0)
	v_mul_f64 v[0:1], s[10:11], v[9:10]
	v_mul_f64 v[2:3], s[8:9], v[9:10]
	v_fma_f64 v[0:1], s[8:9], v[7:8], -v[0:1]
	v_fma_f64 v[2:3], s[10:11], v[7:8], v[2:3]
.LBB53_7:
	s_mov_b64 s[16:17], exec
	s_or_b64 exec, exec, s[24:25]
	s_and_b64 vcc, exec, s[22:23]
	s_cbranch_vccnz .LBB53_10
	s_branch .LBB53_20
.LBB53_8:
	s_mov_b64 s[16:17], 0
                                        ; implicit-def: $vgpr2_vgpr3
                                        ; implicit-def: $vgpr5_vgpr6
	s_cbranch_execnz .LBB53_10
	s_branch .LBB53_20
.LBB53_9:
	s_or_b64 exec, exec, s[24:25]
	s_and_b64 vcc, exec, s[22:23]
	s_cbranch_vccz .LBB53_20
.LBB53_10:
	v_cmp_gt_i32_e32 vcc, s20, v4
                                        ; implicit-def: $vgpr2_vgpr3
                                        ; implicit-def: $vgpr5_vgpr6
	s_and_saveexec_b64 s[0:1], vcc
	s_cbranch_execz .LBB53_19
; %bb.11:
	v_mov_b32_e32 v0, 0
	v_mov_b32_e32 v2, 0
	;; [unrolled: 1-line block ×3, first 2 shown]
	s_cmp_lt_i32 s6, 0
	v_mov_b32_e32 v3, 0
	v_ashrrev_i32_e32 v5, 31, v4
	s_cbranch_scc1 .LBB53_14
; %bb.12:
	s_load_dwordx2 s[22:23], s[4:5], 0x58
	s_load_dword s24, s[4:5], 0x68
	s_ashr_i32 s21, s20, 31
	s_mul_hi_u32 s4, s20, s18
	s_mul_i32 s5, s21, s18
	s_add_i32 s4, s4, s5
	s_mul_i32 s18, s20, s18
	s_waitcnt lgkmcnt(0)
	s_mul_i32 s4, s4, s24
	s_mul_hi_u32 s5, s18, s24
	s_add_i32 s5, s5, s4
	s_mul_i32 s4, s18, s24
	s_add_i32 s6, s6, 1
	s_lshl_b64 s[4:5], s[4:5], 4
	v_lshlrev_b64 v[0:1], 4, v[4:5]
	s_add_u32 s4, s22, s4
	s_addc_u32 s5, s23, s5
	v_mov_b32_e32 v2, s5
	v_add_co_u32_e32 v0, vcc, s4, v0
	v_addc_co_u32_e32 v1, vcc, v2, v1, vcc
	v_add_co_u32_e32 v6, vcc, 8, v0
	v_addc_co_u32_e32 v7, vcc, 0, v1, vcc
	s_lshl_b64 s[4:5], s[20:21], 4
	v_mov_b32_e32 v0, 0
	v_mov_b32_e32 v2, 0
	;; [unrolled: 1-line block ×5, first 2 shown]
.LBB53_13:                              ; =>This Inner Loop Header: Depth=1
	global_load_dwordx4 v[9:12], v[6:7], off offset:-8
	s_add_i32 s6, s6, -1
	v_add_co_u32_e32 v6, vcc, s4, v6
	s_cmp_eq_u32 s6, 0
	v_addc_co_u32_e32 v7, vcc, v7, v8, vcc
	s_waitcnt vmcnt(0)
	v_add_f64 v[2:3], v[2:3], v[9:10]
	v_add_f64 v[0:1], v[0:1], v[11:12]
	s_cbranch_scc0 .LBB53_13
.LBB53_14:
	v_mul_f64 v[6:7], s[14:15], v[0:1]
	v_mul_f64 v[8:9], s[12:13], v[0:1]
	v_cmp_neq_f64_e64 s[4:5], s[8:9], 0
	v_cmp_neq_f64_e64 s[20:21], s[10:11], 0
	v_fma_f64 v[0:1], s[12:13], v[2:3], -v[6:7]
	v_fma_f64 v[2:3], s[14:15], v[2:3], v[8:9]
	v_mul_lo_u32 v7, s3, v4
	v_mul_lo_u32 v8, s2, v5
	s_or_b64 s[4:5], s[4:5], s[20:21]
	s_andn2_b64 vcc, exec, s[4:5]
	s_mov_b64 s[4:5], 0
	s_cbranch_vccz .LBB53_16
; %bb.15:
	v_mad_u64_u32 v[5:6], s[12:13], s2, v4, 0
	v_add3_u32 v6, v6, v8, v7
	s_andn2_b64 vcc, exec, s[4:5]
	s_cbranch_vccz .LBB53_17
	s_branch .LBB53_18
.LBB53_16:
                                        ; implicit-def: $vgpr5_vgpr6
.LBB53_17:
	v_mad_u64_u32 v[5:6], s[2:3], s2, v4, 0
	v_mov_b32_e32 v4, s19
	v_add3_u32 v6, v6, v8, v7
	v_lshlrev_b64 v[7:8], 4, v[5:6]
	v_add_co_u32_e32 v7, vcc, s7, v7
	v_addc_co_u32_e32 v8, vcc, v4, v8, vcc
	flat_load_dwordx4 v[7:10], v[7:8]
	s_waitcnt vmcnt(0) lgkmcnt(0)
	v_mul_f64 v[11:12], s[10:11], v[9:10]
	v_mul_f64 v[9:10], s[8:9], v[9:10]
	v_fma_f64 v[11:12], s[8:9], v[7:8], -v[11:12]
	v_fma_f64 v[7:8], s[10:11], v[7:8], v[9:10]
	v_add_f64 v[0:1], v[0:1], v[11:12]
	v_add_f64 v[2:3], v[2:3], v[7:8]
.LBB53_18:
	s_or_b64 s[16:17], s[16:17], exec
.LBB53_19:
	s_or_b64 exec, exec, s[0:1]
.LBB53_20:
	s_and_saveexec_b64 s[0:1], s[16:17]
	s_cbranch_execz .LBB53_22
; %bb.21:
	v_lshlrev_b64 v[4:5], 4, v[5:6]
	v_mov_b32_e32 v6, s19
	v_add_co_u32_e32 v4, vcc, s7, v4
	v_addc_co_u32_e32 v5, vcc, v6, v5, vcc
	flat_store_dwordx4 v[4:5], v[0:3]
.LBB53_22:
	s_endpgm
	.section	.rodata,"a",@progbits
	.p2align	6, 0x0
	.amdhsa_kernel _ZL36rocblas_hemvn_kernel_upper_block_sumILi64El19rocblas_complex_numIdEPKPS1_S1_EviT1_lS5_lT2_lT0_lPT3_i
		.amdhsa_group_segment_fixed_size 0
		.amdhsa_private_segment_fixed_size 0
		.amdhsa_kernarg_size 360
		.amdhsa_user_sgpr_count 6
		.amdhsa_user_sgpr_private_segment_buffer 1
		.amdhsa_user_sgpr_dispatch_ptr 0
		.amdhsa_user_sgpr_queue_ptr 0
		.amdhsa_user_sgpr_kernarg_segment_ptr 1
		.amdhsa_user_sgpr_dispatch_id 0
		.amdhsa_user_sgpr_flat_scratch_init 0
		.amdhsa_user_sgpr_private_segment_size 0
		.amdhsa_uses_dynamic_stack 0
		.amdhsa_system_sgpr_private_segment_wavefront_offset 0
		.amdhsa_system_sgpr_workgroup_id_x 1
		.amdhsa_system_sgpr_workgroup_id_y 0
		.amdhsa_system_sgpr_workgroup_id_z 1
		.amdhsa_system_sgpr_workgroup_info 0
		.amdhsa_system_vgpr_workitem_id 0
		.amdhsa_next_free_vgpr 13
		.amdhsa_next_free_sgpr 28
		.amdhsa_reserve_vcc 1
		.amdhsa_reserve_flat_scratch 0
		.amdhsa_float_round_mode_32 0
		.amdhsa_float_round_mode_16_64 0
		.amdhsa_float_denorm_mode_32 3
		.amdhsa_float_denorm_mode_16_64 3
		.amdhsa_dx10_clamp 1
		.amdhsa_ieee_mode 1
		.amdhsa_fp16_overflow 0
		.amdhsa_exception_fp_ieee_invalid_op 0
		.amdhsa_exception_fp_denorm_src 0
		.amdhsa_exception_fp_ieee_div_zero 0
		.amdhsa_exception_fp_ieee_overflow 0
		.amdhsa_exception_fp_ieee_underflow 0
		.amdhsa_exception_fp_ieee_inexact 0
		.amdhsa_exception_int_div_zero 0
	.end_amdhsa_kernel
	.section	.text._ZL36rocblas_hemvn_kernel_upper_block_sumILi64El19rocblas_complex_numIdEPKPS1_S1_EviT1_lS5_lT2_lT0_lPT3_i,"axG",@progbits,_ZL36rocblas_hemvn_kernel_upper_block_sumILi64El19rocblas_complex_numIdEPKPS1_S1_EviT1_lS5_lT2_lT0_lPT3_i,comdat
.Lfunc_end53:
	.size	_ZL36rocblas_hemvn_kernel_upper_block_sumILi64El19rocblas_complex_numIdEPKPS1_S1_EviT1_lS5_lT2_lT0_lPT3_i, .Lfunc_end53-_ZL36rocblas_hemvn_kernel_upper_block_sumILi64El19rocblas_complex_numIdEPKPS1_S1_EviT1_lS5_lT2_lT0_lPT3_i
                                        ; -- End function
	.set _ZL36rocblas_hemvn_kernel_upper_block_sumILi64El19rocblas_complex_numIdEPKPS1_S1_EviT1_lS5_lT2_lT0_lPT3_i.num_vgpr, 13
	.set _ZL36rocblas_hemvn_kernel_upper_block_sumILi64El19rocblas_complex_numIdEPKPS1_S1_EviT1_lS5_lT2_lT0_lPT3_i.num_agpr, 0
	.set _ZL36rocblas_hemvn_kernel_upper_block_sumILi64El19rocblas_complex_numIdEPKPS1_S1_EviT1_lS5_lT2_lT0_lPT3_i.numbered_sgpr, 28
	.set _ZL36rocblas_hemvn_kernel_upper_block_sumILi64El19rocblas_complex_numIdEPKPS1_S1_EviT1_lS5_lT2_lT0_lPT3_i.num_named_barrier, 0
	.set _ZL36rocblas_hemvn_kernel_upper_block_sumILi64El19rocblas_complex_numIdEPKPS1_S1_EviT1_lS5_lT2_lT0_lPT3_i.private_seg_size, 0
	.set _ZL36rocblas_hemvn_kernel_upper_block_sumILi64El19rocblas_complex_numIdEPKPS1_S1_EviT1_lS5_lT2_lT0_lPT3_i.uses_vcc, 1
	.set _ZL36rocblas_hemvn_kernel_upper_block_sumILi64El19rocblas_complex_numIdEPKPS1_S1_EviT1_lS5_lT2_lT0_lPT3_i.uses_flat_scratch, 0
	.set _ZL36rocblas_hemvn_kernel_upper_block_sumILi64El19rocblas_complex_numIdEPKPS1_S1_EviT1_lS5_lT2_lT0_lPT3_i.has_dyn_sized_stack, 0
	.set _ZL36rocblas_hemvn_kernel_upper_block_sumILi64El19rocblas_complex_numIdEPKPS1_S1_EviT1_lS5_lT2_lT0_lPT3_i.has_recursion, 0
	.set _ZL36rocblas_hemvn_kernel_upper_block_sumILi64El19rocblas_complex_numIdEPKPS1_S1_EviT1_lS5_lT2_lT0_lPT3_i.has_indirect_call, 0
	.section	.AMDGPU.csdata,"",@progbits
; Kernel info:
; codeLenInByte = 848
; TotalNumSgprs: 32
; NumVgprs: 13
; ScratchSize: 0
; MemoryBound: 0
; FloatMode: 240
; IeeeMode: 1
; LDSByteSize: 0 bytes/workgroup (compile time only)
; SGPRBlocks: 3
; VGPRBlocks: 3
; NumSGPRsForWavesPerEU: 32
; NumVGPRsForWavesPerEU: 13
; Occupancy: 10
; WaveLimiterHint : 1
; COMPUTE_PGM_RSRC2:SCRATCH_EN: 0
; COMPUTE_PGM_RSRC2:USER_SGPR: 6
; COMPUTE_PGM_RSRC2:TRAP_HANDLER: 0
; COMPUTE_PGM_RSRC2:TGID_X_EN: 1
; COMPUTE_PGM_RSRC2:TGID_Y_EN: 0
; COMPUTE_PGM_RSRC2:TGID_Z_EN: 1
; COMPUTE_PGM_RSRC2:TIDIG_COMP_CNT: 0
	.section	.text._ZL26rocblas_hemvn_kernel_upperILb1ELi64ELi4ELi33ELi32ELi16Ei19rocblas_complex_numIdEPKPKS1_PS1_EviT6_lT7_lT5_lS8_lS9_lS7_lT8_i,"axG",@progbits,_ZL26rocblas_hemvn_kernel_upperILb1ELi64ELi4ELi33ELi32ELi16Ei19rocblas_complex_numIdEPKPKS1_PS1_EviT6_lT7_lT5_lS8_lS9_lS7_lT8_i,comdat
	.globl	_ZL26rocblas_hemvn_kernel_upperILb1ELi64ELi4ELi33ELi32ELi16Ei19rocblas_complex_numIdEPKPKS1_PS1_EviT6_lT7_lT5_lS8_lS9_lS7_lT8_i ; -- Begin function _ZL26rocblas_hemvn_kernel_upperILb1ELi64ELi4ELi33ELi32ELi16Ei19rocblas_complex_numIdEPKPKS1_PS1_EviT6_lT7_lT5_lS8_lS9_lS7_lT8_i
	.p2align	8
	.type	_ZL26rocblas_hemvn_kernel_upperILb1ELi64ELi4ELi33ELi32ELi16Ei19rocblas_complex_numIdEPKPKS1_PS1_EviT6_lT7_lT5_lS8_lS9_lS7_lT8_i,@function
_ZL26rocblas_hemvn_kernel_upperILb1ELi64ELi4ELi33ELi32ELi16Ei19rocblas_complex_numIdEPKPKS1_PS1_EviT6_lT7_lT5_lS8_lS9_lS7_lT8_i: ; @_ZL26rocblas_hemvn_kernel_upperILb1ELi64ELi4ELi33ELi32ELi16Ei19rocblas_complex_numIdEPKPKS1_PS1_EviT6_lT7_lT5_lS8_lS9_lS7_lT8_i
; %bb.0:
	s_load_dwordx2 s[0:1], s[4:5], 0x94
	s_add_u32 s8, s4, 0x88
	s_addc_u32 s9, s5, 0
	s_waitcnt lgkmcnt(0)
	s_lshr_b32 s2, s0, 16
	s_and_b32 s0, s0, 0xffff
	s_and_b32 s1, s1, 0xffff
	s_mul_i32 s0, s2, s0
	s_mul_i32 s0, s0, s1
	s_cmpk_lg_i32 s0, 0x100
	s_cbranch_scc1 .LBB54_201
; %bb.1:
	s_load_dwordx4 s[0:3], s[4:5], 0x8
	s_mov_b32 s22, s7
	s_waitcnt lgkmcnt(0)
	v_cmp_neq_f64_e64 s[0:1], s[0:1], 0
	v_cmp_neq_f64_e64 s[2:3], s[2:3], 0
	s_or_b64 s[2:3], s[0:1], s[2:3]
	s_mov_b64 s[0:1], -1
	s_and_b64 vcc, exec, s[2:3]
	s_cbranch_vccnz .LBB54_3
; %bb.2:
	s_load_dwordx4 s[0:3], s[4:5], 0x60
	s_waitcnt lgkmcnt(0)
	v_cmp_eq_f64_e64 s[0:1], s[0:1], 1.0
	v_cmp_eq_f64_e64 s[2:3], s[2:3], 0
	s_and_b64 s[0:1], s[0:1], s[2:3]
	s_andn2_b64 vcc, exec, s[0:1]
	s_mov_b64 s[0:1], 0
.LBB54_3:
	s_andn2_b64 vcc, exec, s[0:1]
	s_cbranch_vccnz .LBB54_201
; %bb.4:
	s_load_dwordx4 s[0:3], s[4:5], 0x20
	s_load_dwordx4 s[12:15], s[4:5], 0x40
	s_load_dword s40, s[4:5], 0x50
	s_mov_b32 s23, 0
	s_lshl_b64 s[10:11], s[22:23], 3
	s_waitcnt lgkmcnt(0)
	s_add_u32 s0, s0, s10
	s_addc_u32 s1, s1, s11
	s_add_u32 s12, s12, s10
	s_addc_u32 s13, s13, s11
	s_load_dwordx2 s[16:17], s[12:13], 0x0
	s_load_dword s23, s[4:5], 0x0
	s_load_dword s7, s[8:9], 0x0
	s_load_dwordx2 s[10:11], s[0:1], 0x0
	s_lshl_b64 s[0:1], s[14:15], 4
	s_waitcnt lgkmcnt(0)
	s_add_u32 s0, s16, s0
	s_addc_u32 s1, s17, s1
	s_lshl_b32 s26, s6, 6
	v_add_u32_e32 v167, s26, v0
	v_mul_lo_u32 v2, s40, v167
	s_ashr_i32 s41, s23, 31
	s_lshr_b32 s9, s41, 26
	s_add_i32 s9, s23, s9
	v_ashrrev_i32_e32 v3, 31, v2
	s_andn2_b32 s9, s9, 63
	v_lshlrev_b64 v[2:3], 4, v[2:3]
	s_add_i32 s8, s7, -1
	s_sub_i32 s33, s23, s9
	s_cmp_eq_u32 s6, s8
	v_mov_b32_e32 v4, s1
	v_add_co_u32_e32 v38, vcc, s0, v2
	s_cselect_b32 s18, s33, 0
	v_addc_co_u32_e32 v39, vcc, v4, v3, vcc
	v_cmp_eq_u32_e64 s[0:1], 0, v1
	s_and_saveexec_b64 s[8:9], s[0:1]
	s_cbranch_execz .LBB54_9
; %bb.5:
	s_cmp_lg_u32 s18, 0
	s_cselect_b64 s[12:13], -1, 0
	v_cmp_le_i32_e32 vcc, s18, v0
	v_mov_b32_e32 v2, 0x4700
	s_and_b64 s[12:13], s[12:13], vcc
	v_lshl_add_u32 v2, v0, 4, v2
	s_and_saveexec_b64 s[14:15], s[12:13]
	s_xor_b64 s[12:13], exec, s[14:15]
; %bb.6:
	v_mov_b32_e32 v3, 0
	v_mov_b32_e32 v4, v3
	;; [unrolled: 1-line block ×4, first 2 shown]
	ds_write_b128 v2, v[3:6]
                                        ; implicit-def: $vgpr2
; %bb.7:
	s_andn2_saveexec_b64 s[12:13], s[12:13]
	s_cbranch_execz .LBB54_9
; %bb.8:
	flat_load_dwordx4 v[3:6], v[38:39]
	s_waitcnt vmcnt(0) lgkmcnt(0)
	ds_write2_b64 v2, v[3:4], v[5:6] offset1:1
.LBB54_9:
	s_or_b64 exec, exec, s[8:9]
	s_load_dword s24, s[4:5], 0x30
	s_lshl_b64 s[2:3], s[2:3], 4
	v_lshl_add_u32 v44, v1, 6, v0
	s_add_u32 s8, s10, s2
	v_and_b32_e32 v10, 31, v0
	v_lshrrev_b32_e32 v13, 5, v44
	s_addc_u32 s9, s11, s3
	s_waitcnt lgkmcnt(0)
	v_mad_u64_u32 v[2:3], s[2:3], s24, v13, v[10:11]
	s_ashr_i32 s27, s26, 31
	s_lshl_b64 s[2:3], s[26:27], 4
	v_ashrrev_i32_e32 v3, 31, v2
	v_lshlrev_b64 v[40:41], 4, v[2:3]
	s_add_u32 s2, s8, s2
	s_addc_u32 s3, s9, s3
	v_add_co_u32_e32 v3, vcc, s2, v40
	s_mul_i32 s2, s24, s26
	v_mov_b32_e32 v2, s3
	s_ashr_i32 s3, s2, 31
	s_lshl_b64 s[2:3], s[2:3], 4
	v_addc_co_u32_e32 v4, vcc, v2, v41, vcc
	s_cmp_eq_u32 s18, 0
	v_mov_b32_e32 v5, s3
	v_add_co_u32_e32 v2, vcc, s2, v3
	s_cselect_b64 s[20:21], -1, 0
	s_cmp_lg_u32 s18, 0
	v_addc_co_u32_e32 v3, vcc, v4, v5, vcc
	s_cselect_b64 s[30:31], -1, 0
	s_and_b64 vcc, exec, s[30:31]
	v_cmp_gt_i32_e64 s[2:3], s18, v10
	v_lshlrev_b32_e32 v14, 4, v10
	s_cbranch_vccz .LBB54_27
; %bb.10:
	v_sub_co_u32_e32 v4, vcc, v2, v14
	s_ashr_i32 s19, s18, 31
	v_subbrev_co_u32_e32 v5, vcc, 0, v3, vcc
	s_lshl_b64 s[8:9], s[18:19], 4
	v_mov_b32_e32 v6, s9
	v_add_co_u32_e32 v4, vcc, s8, v4
	v_addc_co_u32_e32 v5, vcc, v5, v6, vcc
	v_add_co_u32_e32 v4, vcc, -16, v4
	v_addc_co_u32_e32 v5, vcc, -1, v5, vcc
	s_movk_i32 s10, 0x210
	v_cndmask_b32_e64 v5, v5, v3, s[2:3]
	v_cndmask_b32_e64 v4, v4, v2, s[2:3]
	v_cmp_le_i32_e32 vcc, s18, v13
	v_mad_u32_u24 v7, v13, s10, v14
	s_and_saveexec_b64 s[10:11], vcc
	s_xor_b64 s[10:11], exec, s[10:11]
; %bb.11:
	v_mov_b32_e32 v15, 0
	v_mov_b32_e32 v16, v15
	;; [unrolled: 1-line block ×4, first 2 shown]
	ds_write_b128 v7, v[15:18]
                                        ; implicit-def: $vgpr7
; %bb.12:
	s_or_saveexec_b64 s[10:11], s[10:11]
	v_mul_u32_u24_e32 v6, 0x210, v13
	s_xor_b64 exec, exec, s[10:11]
	s_cbranch_execz .LBB54_14
; %bb.13:
	flat_load_dwordx4 v[15:18], v[4:5]
	s_waitcnt vmcnt(0) lgkmcnt(0)
	ds_write2_b64 v7, v[15:16], v[17:18] offset1:1
.LBB54_14:
	s_or_b64 exec, exec, s[10:11]
	v_add_u32_e32 v7, 8, v13
	v_cmp_le_i32_e32 vcc, s18, v7
	v_add_u32_e32 v7, v6, v14
	s_and_saveexec_b64 s[10:11], vcc
	s_xor_b64 s[10:11], exec, s[10:11]
; %bb.15:
	v_mov_b32_e32 v15, 0
	v_mov_b32_e32 v16, v15
	v_mov_b32_e32 v17, v15
	v_mov_b32_e32 v18, v15
	ds_write_b128 v7, v[15:18] offset:4224
; %bb.16:
	s_andn2_saveexec_b64 s[10:11], s[10:11]
	s_cbranch_execz .LBB54_18
; %bb.17:
	s_lshl_b32 s12, s24, 3
	s_ashr_i32 s13, s12, 31
	s_lshl_b64 s[12:13], s[12:13], 4
	v_mov_b32_e32 v9, s13
	v_add_co_u32_e32 v8, vcc, s12, v4
	v_addc_co_u32_e32 v9, vcc, v5, v9, vcc
	flat_load_dwordx4 v[15:18], v[8:9]
	s_movk_i32 s12, 0x1080
	v_add3_u32 v8, v6, v14, s12
	s_waitcnt vmcnt(0) lgkmcnt(0)
	ds_write2_b64 v8, v[15:16], v[17:18] offset1:1
.LBB54_18:
	s_or_b64 exec, exec, s[10:11]
	v_add_u32_e32 v8, 16, v13
	v_cmp_le_i32_e32 vcc, s18, v8
	s_and_saveexec_b64 s[10:11], vcc
	s_xor_b64 s[10:11], exec, s[10:11]
; %bb.19:
	v_mov_b32_e32 v15, 0
	v_mov_b32_e32 v16, v15
	;; [unrolled: 1-line block ×4, first 2 shown]
	ds_write_b128 v7, v[15:18] offset:8448
; %bb.20:
	s_andn2_saveexec_b64 s[10:11], s[10:11]
	s_cbranch_execz .LBB54_22
; %bb.21:
	s_lshl_b32 s12, s24, 4
	s_ashr_i32 s13, s12, 31
	s_lshl_b64 s[12:13], s[12:13], 4
	v_mov_b32_e32 v9, s13
	v_add_co_u32_e32 v8, vcc, s12, v4
	v_addc_co_u32_e32 v9, vcc, v5, v9, vcc
	flat_load_dwordx4 v[15:18], v[8:9]
	s_movk_i32 s12, 0x2100
	v_add3_u32 v8, v6, v14, s12
	s_waitcnt vmcnt(0) lgkmcnt(0)
	ds_write2_b64 v8, v[15:16], v[17:18] offset1:1
.LBB54_22:
	s_or_b64 exec, exec, s[10:11]
	v_add_u32_e32 v8, 24, v13
	v_cmp_le_i32_e32 vcc, s18, v8
	s_and_saveexec_b64 s[10:11], vcc
	s_xor_b64 s[10:11], exec, s[10:11]
; %bb.23:
	v_mov_b32_e32 v15, 0
	v_mov_b32_e32 v16, v15
	;; [unrolled: 1-line block ×4, first 2 shown]
	ds_write_b128 v7, v[15:18] offset:12672
                                        ; implicit-def: $vgpr6
; %bb.24:
	s_andn2_saveexec_b64 s[10:11], s[10:11]
	s_cbranch_execz .LBB54_26
; %bb.25:
	s_mul_i32 s12, s24, 24
	s_ashr_i32 s13, s12, 31
	s_lshl_b64 s[12:13], s[12:13], 4
	v_mov_b32_e32 v8, s13
	v_add_co_u32_e32 v7, vcc, s12, v4
	v_addc_co_u32_e32 v8, vcc, v5, v8, vcc
	flat_load_dwordx4 v[15:18], v[7:8]
	s_movk_i32 s12, 0x3180
	v_add3_u32 v6, v6, v14, s12
	s_waitcnt vmcnt(0) lgkmcnt(0)
	ds_write2_b64 v6, v[15:16], v[17:18] offset1:1
.LBB54_26:
	s_or_b64 exec, exec, s[10:11]
	v_add_co_u32_e32 v4, vcc, v4, v14
	v_addc_co_u32_e32 v5, vcc, 0, v5, vcc
	v_mov_b32_e32 v6, s9
	v_subrev_co_u32_e32 v4, vcc, s8, v4
	v_subb_co_u32_e32 v5, vcc, v5, v6, vcc
	v_add_co_u32_e32 v4, vcc, 16, v4
	v_addc_co_u32_e32 v5, vcc, 0, v5, vcc
	v_cndmask_b32_e64 v7, v5, v3, s[2:3]
	v_cndmask_b32_e64 v6, v4, v2, s[2:3]
	s_branch .LBB54_29
.LBB54_27:
                                        ; implicit-def: $vgpr6_vgpr7
	s_cbranch_execz .LBB54_29
; %bb.28:
	flat_load_dwordx4 v[4:7], v[2:3]
	s_lshl_b32 s2, s24, 3
	s_ashr_i32 s3, s2, 31
	v_mul_u32_u24_e32 v8, 0x210, v13
	s_lshl_b64 s[2:3], s[2:3], 4
	v_lshl_add_u32 v11, v10, 4, v8
	v_mov_b32_e32 v9, s3
	v_add_co_u32_e32 v8, vcc, s2, v2
	v_addc_co_u32_e32 v9, vcc, v3, v9, vcc
	s_ashr_i32 s25, s24, 31
	s_lshl_b64 s[2:3], s[24:25], 7
	v_add_u32_e32 v12, 0x1080, v11
	v_mov_b32_e32 v15, s3
	s_waitcnt vmcnt(0) lgkmcnt(0)
	ds_write2_b64 v11, v[4:5], v[6:7] offset1:1
	flat_load_dwordx4 v[4:7], v[8:9]
	v_add_co_u32_e32 v8, vcc, s2, v8
	v_addc_co_u32_e32 v9, vcc, v9, v15, vcc
	s_waitcnt vmcnt(0) lgkmcnt(0)
	ds_write2_b64 v12, v[4:5], v[6:7] offset1:1
	flat_load_dwordx4 v[4:7], v[8:9]
	v_add_u32_e32 v12, 0x2100, v11
	v_add_co_u32_e32 v8, vcc, s2, v8
	v_addc_co_u32_e32 v9, vcc, v9, v15, vcc
	s_waitcnt vmcnt(0) lgkmcnt(0)
	ds_write2_b64 v12, v[4:5], v[6:7] offset1:1
	flat_load_dwordx4 v[4:7], v[8:9]
	v_add_u32_e32 v8, 0x3180, v11
	s_waitcnt vmcnt(0) lgkmcnt(0)
	ds_write2_b64 v8, v[4:5], v[6:7] offset1:1
	v_mov_b32_e32 v7, v3
	v_mov_b32_e32 v6, v2
.LBB54_29:
	v_lshlrev_b32_e32 v17, 2, v13
	v_mul_u32_u24_e32 v15, 0x210, v10
	v_cmp_le_u32_e64 s[16:17], v17, v10
	s_mov_b64 s[2:3], 0
	s_waitcnt lgkmcnt(0)
	s_barrier
                                        ; implicit-def: $vgpr2
	s_and_saveexec_b64 s[8:9], s[16:17]
	s_xor_b64 s[8:9], exec, s[8:9]
	s_cbranch_execz .LBB54_33
; %bb.30:
	v_cmp_eq_u32_e32 vcc, v17, v10
                                        ; implicit-def: $vgpr2
	s_and_saveexec_b64 s[10:11], vcc
	s_xor_b64 s[10:11], exec, s[10:11]
; %bb.31:
	s_mov_b64 s[2:3], exec
	v_add_u32_e32 v2, v14, v15
; %bb.32:
	s_or_b64 exec, exec, s[10:11]
	s_and_b64 s[2:3], s[2:3], exec
.LBB54_33:
	s_or_saveexec_b64 s[8:9], s[8:9]
	v_lshl_or_b32 v3, v10, 9, v14
	v_mov_b32_e32 v4, 0
	v_mov_b32_e32 v5, 0
	v_lshl_add_u32 v8, v17, 4, v3
	s_xor_b64 exec, exec, s[8:9]
	s_cbranch_execz .LBB54_35
; %bb.34:
	s_movk_i32 s10, 0x840
	v_mad_u32_u24 v2, v13, s10, v14
	ds_read_b128 v[2:5], v2
	s_or_b64 s[2:3], s[2:3], exec
	s_waitcnt lgkmcnt(0)
	v_xor_b32_e32 v5, 0x80000000, v5
	ds_write_b64 v8, v[2:3]
	v_mov_b32_e32 v2, v8
.LBB54_35:
	s_or_b64 exec, exec, s[8:9]
	s_and_saveexec_b64 s[8:9], s[2:3]
; %bb.36:
	ds_write_b64 v2, v[4:5] offset:8
; %bb.37:
	s_or_b64 exec, exec, s[8:9]
	v_or_b32_e32 v18, 1, v17
	v_cmp_ge_u32_e64 s[8:9], v17, v10
	s_mov_b64 s[2:3], 0
                                        ; implicit-def: $vgpr4_vgpr5
                                        ; implicit-def: $vgpr9
	s_and_saveexec_b64 s[10:11], s[8:9]
	s_xor_b64 s[10:11], exec, s[10:11]
	s_cbranch_execz .LBB54_77
; %bb.38:
	s_movk_i32 s12, 0x210
	v_mad_u32_u24 v2, v18, s12, v14
	ds_read_b128 v[2:5], v2
	s_mov_b64 s[2:3], exec
	v_add_u32_e32 v9, 16, v8
	s_waitcnt lgkmcnt(0)
	v_xor_b32_e32 v5, 0x80000000, v5
	ds_write_b64 v8, v[2:3] offset:16
	s_andn2_saveexec_b64 s[10:11], s[10:11]
	s_cbranch_execnz .LBB54_78
.LBB54_39:
	s_or_b64 exec, exec, s[10:11]
	s_and_saveexec_b64 s[10:11], s[2:3]
.LBB54_40:
	ds_write_b64 v9, v[4:5] offset:8
.LBB54_41:
	s_or_b64 exec, exec, s[10:11]
	v_or_b32_e32 v19, 2, v17
	v_cmp_le_u32_e64 s[10:11], v19, v10
	s_mov_b64 s[2:3], 0
                                        ; implicit-def: $vgpr9
	s_and_saveexec_b64 s[12:13], s[10:11]
	s_xor_b64 s[12:13], exec, s[12:13]
	s_cbranch_execz .LBB54_45
; %bb.42:
	v_cmp_eq_u32_e32 vcc, v19, v10
                                        ; implicit-def: $vgpr9
	s_and_saveexec_b64 s[14:15], vcc
; %bb.43:
	s_mov_b64 s[2:3], exec
	v_add_u32_e32 v9, v14, v15
; %bb.44:
	s_or_b64 exec, exec, s[14:15]
	s_and_b64 s[2:3], s[2:3], exec
.LBB54_45:
	s_or_saveexec_b64 s[12:13], s[12:13]
	v_mov_b32_e32 v4, 0
	v_mov_b32_e32 v5, 0
	s_xor_b64 exec, exec, s[12:13]
	s_cbranch_execz .LBB54_47
; %bb.46:
	s_movk_i32 s14, 0x210
	v_mad_u32_u24 v2, v19, s14, v14
	ds_read_b128 v[2:5], v2
	v_add_u32_e32 v9, 32, v8
	s_or_b64 s[2:3], s[2:3], exec
	s_waitcnt lgkmcnt(0)
	v_xor_b32_e32 v5, 0x80000000, v5
	ds_write_b64 v8, v[2:3] offset:32
.LBB54_47:
	s_or_b64 exec, exec, s[12:13]
	s_and_saveexec_b64 s[12:13], s[2:3]
; %bb.48:
	ds_write_b64 v9, v[4:5] offset:8
; %bb.49:
	s_or_b64 exec, exec, s[12:13]
	v_or_b32_e32 v20, 3, v17
	v_cmp_le_u32_e64 s[12:13], v20, v10
	s_mov_b64 s[2:3], 0
                                        ; implicit-def: $vgpr9
	s_and_saveexec_b64 s[14:15], s[12:13]
	s_xor_b64 s[14:15], exec, s[14:15]
	s_cbranch_execz .LBB54_53
; %bb.50:
	v_cmp_eq_u32_e32 vcc, v20, v10
                                        ; implicit-def: $vgpr9
	s_and_saveexec_b64 s[28:29], vcc
; %bb.51:
	s_mov_b64 s[2:3], exec
	v_add_u32_e32 v9, v14, v15
; %bb.52:
	s_or_b64 exec, exec, s[28:29]
	s_and_b64 s[2:3], s[2:3], exec
                                        ; implicit-def: $vgpr8
.LBB54_53:
	s_or_saveexec_b64 s[14:15], s[14:15]
	v_mov_b32_e32 v4, 0
	v_mov_b32_e32 v5, 0
	s_xor_b64 exec, exec, s[14:15]
	s_cbranch_execz .LBB54_55
; %bb.54:
	s_movk_i32 s19, 0x210
	v_mad_u32_u24 v2, v20, s19, v14
	ds_read_b128 v[2:5], v2
	v_add_u32_e32 v9, 48, v8
	s_or_b64 s[2:3], s[2:3], exec
	s_waitcnt lgkmcnt(0)
	v_xor_b32_e32 v5, 0x80000000, v5
	ds_write_b64 v8, v[2:3] offset:48
.LBB54_55:
	s_or_b64 exec, exec, s[14:15]
	s_and_saveexec_b64 s[14:15], s[2:3]
; %bb.56:
	ds_write_b64 v9, v[4:5] offset:8
; %bb.57:
	s_or_b64 exec, exec, s[14:15]
	s_movk_i32 s2, 0x840
	v_lshlrev_b32_e32 v21, 4, v17
	s_waitcnt lgkmcnt(0)
	s_barrier
	v_mad_u32_u24 v8, v13, s2, v14
	ds_read_b128 v[2:5], v21 offset:18176
	ds_read_b128 v[22:25], v8
	ds_read_b128 v[26:29], v21 offset:18192
	s_movk_i32 s2, 0x210
	v_mad_u32_u24 v16, v18, s2, v14
	ds_read_b128 v[30:33], v16
	ds_read_b128 v[45:48], v16 offset:528
	s_waitcnt lgkmcnt(3)
	v_mul_f64 v[8:9], v[4:5], v[24:25]
	v_mul_f64 v[11:12], v[2:3], v[24:25]
	ds_read_b128 v[34:37], v21 offset:18208
	s_waitcnt lgkmcnt(2)
	v_mul_f64 v[42:43], v[28:29], v[32:33]
	v_mul_f64 v[32:33], v[26:27], v[32:33]
	v_cmp_gt_u32_e64 s[2:3], 32, v44
	v_fma_f64 v[8:9], v[2:3], v[22:23], -v[8:9]
	v_fma_f64 v[11:12], v[4:5], v[22:23], v[11:12]
	ds_read_b128 v[2:5], v21 offset:18224
	ds_read_b128 v[22:25], v16 offset:1056
	v_fma_f64 v[26:27], v[26:27], v[30:31], -v[42:43]
	s_waitcnt lgkmcnt(2)
	v_mul_f64 v[42:43], v[36:37], v[47:48]
	v_fma_f64 v[28:29], v[28:29], v[30:31], v[32:33]
	v_mul_f64 v[30:31], v[34:35], v[47:48]
	s_waitcnt lgkmcnt(0)
	v_mul_f64 v[32:33], v[4:5], v[24:25]
	v_add_f64 v[8:9], v[8:9], 0
	v_add_f64 v[11:12], v[11:12], 0
	v_mul_f64 v[24:25], v[2:3], v[24:25]
	v_fma_f64 v[34:35], v[34:35], v[45:46], -v[42:43]
	s_barrier
	v_add_f64 v[8:9], v[8:9], v[26:27]
	v_fma_f64 v[26:27], v[36:37], v[45:46], v[30:31]
	v_add_f64 v[11:12], v[11:12], v[28:29]
	v_fma_f64 v[28:29], v[2:3], v[22:23], -v[32:33]
	v_fma_f64 v[4:5], v[4:5], v[22:23], v[24:25]
	v_mov_b32_e32 v2, 0
	v_mov_b32_e32 v3, 0
	v_add_f64 v[8:9], v[8:9], v[34:35]
	v_add_f64 v[11:12], v[11:12], v[26:27]
	v_add_f64 v[22:23], v[8:9], v[28:29]
	v_mul_u32_u24_e32 v8, 33, v10
	v_add_f64 v[24:25], v[11:12], v[4:5]
	v_mov_b32_e32 v4, 0
	v_lshlrev_b32_e32 v45, 4, v8
	v_mov_b32_e32 v5, 0
	v_lshl_add_u32 v46, v13, 4, v45
	ds_write_b128 v46, v[22:25]
	s_waitcnt lgkmcnt(0)
	s_barrier
	s_and_saveexec_b64 s[14:15], s[2:3]
	s_cbranch_execz .LBB54_59
; %bb.58:
	ds_read_b128 v[2:5], v45
	ds_read_b128 v[22:25], v45 offset:16
	s_waitcnt lgkmcnt(0)
	v_add_f64 v[8:9], v[22:23], v[2:3]
	v_add_f64 v[11:12], v[24:25], v[4:5]
	ds_read_b128 v[2:5], v45 offset:32
	ds_read_b128 v[22:25], v45 offset:48
	s_waitcnt lgkmcnt(1)
	v_add_f64 v[2:3], v[8:9], v[2:3]
	v_add_f64 v[4:5], v[11:12], v[4:5]
	s_waitcnt lgkmcnt(0)
	v_add_f64 v[8:9], v[2:3], v[22:23]
	v_add_f64 v[11:12], v[4:5], v[24:25]
	ds_read_b128 v[2:5], v45 offset:64
	ds_read_b128 v[22:25], v45 offset:80
	s_waitcnt lgkmcnt(1)
	v_add_f64 v[2:3], v[8:9], v[2:3]
	v_add_f64 v[4:5], v[11:12], v[4:5]
	;; [unrolled: 8-line block ×3, first 2 shown]
	s_waitcnt lgkmcnt(0)
	v_add_f64 v[2:3], v[2:3], v[22:23]
	v_add_f64 v[4:5], v[4:5], v[24:25]
.LBB54_59:
	s_or_b64 exec, exec, s[14:15]
	s_lshl_b32 s34, s24, 5
	s_ashr_i32 s35, s34, 31
	s_lshl_b64 s[28:29], s[34:35], 4
	v_mov_b32_e32 v8, s29
	v_add_co_u32_e32 v16, vcc, s28, v6
	v_addc_co_u32_e32 v22, vcc, v7, v8, vcc
	v_add_co_u32_e32 v6, vcc, 0x200, v16
	v_addc_co_u32_e32 v7, vcc, 0, v22, vcc
	s_and_b64 vcc, exec, s[30:31]
	s_barrier
	s_cbranch_vccz .LBB54_81
; %bb.60:
	v_sub_co_u32_e32 v9, vcc, v16, v14
	s_ashr_i32 s19, s18, 31
	v_subbrev_co_u32_e32 v11, vcc, 0, v22, vcc
	s_lshl_b64 s[36:37], s[18:19], 4
	v_mov_b32_e32 v12, s37
	v_add_co_u32_e32 v9, vcc, s36, v9
	v_addc_co_u32_e32 v11, vcc, v11, v12, vcc
	v_or_b32_e32 v8, 32, v10
	v_add_co_u32_e32 v12, vcc, -16, v9
	v_addc_co_u32_e32 v9, vcc, -1, v11, vcc
	v_cmp_gt_i32_e64 s[14:15], s18, v8
	s_sub_i32 s19, s18, 32
	s_movk_i32 s25, 0x210
	v_cndmask_b32_e64 v9, v9, v7, s[14:15]
	v_cndmask_b32_e64 v8, v12, v6, s[14:15]
	v_cmp_le_i32_e32 vcc, s19, v13
	v_mad_u32_u24 v12, v13, s25, v14
	s_and_saveexec_b64 s[38:39], vcc
	s_xor_b64 s[38:39], exec, s[38:39]
; %bb.61:
	v_mov_b32_e32 v23, 0
	v_mov_b32_e32 v24, v23
	;; [unrolled: 1-line block ×4, first 2 shown]
	ds_write_b128 v12, v[23:26]
                                        ; implicit-def: $vgpr12
; %bb.62:
	s_or_saveexec_b64 s[38:39], s[38:39]
	v_mul_u32_u24_e32 v11, 0x210, v13
	s_xor_b64 exec, exec, s[38:39]
	s_cbranch_execz .LBB54_64
; %bb.63:
	flat_load_dwordx4 v[23:26], v[8:9]
	s_waitcnt vmcnt(0) lgkmcnt(0)
	ds_write2_b64 v12, v[23:24], v[25:26] offset1:1
.LBB54_64:
	s_or_b64 exec, exec, s[38:39]
	v_add_u32_e32 v12, 8, v13
	v_cmp_le_i32_e32 vcc, s19, v12
	v_add_u32_e32 v12, v11, v14
	s_and_saveexec_b64 s[38:39], vcc
	s_xor_b64 s[38:39], exec, s[38:39]
; %bb.65:
	v_mov_b32_e32 v23, 0
	v_mov_b32_e32 v24, v23
	v_mov_b32_e32 v25, v23
	v_mov_b32_e32 v26, v23
	ds_write_b128 v12, v[23:26] offset:4224
; %bb.66:
	s_andn2_saveexec_b64 s[38:39], s[38:39]
	s_cbranch_execz .LBB54_68
; %bb.67:
	s_lshl_b32 s42, s24, 3
	s_ashr_i32 s43, s42, 31
	s_lshl_b64 s[42:43], s[42:43], 4
	v_mov_b32_e32 v24, s43
	v_add_co_u32_e32 v23, vcc, s42, v8
	v_addc_co_u32_e32 v24, vcc, v9, v24, vcc
	flat_load_dwordx4 v[23:26], v[23:24]
	s_movk_i32 s25, 0x1080
	v_add3_u32 v27, v11, v14, s25
	s_waitcnt vmcnt(0) lgkmcnt(0)
	ds_write2_b64 v27, v[23:24], v[25:26] offset1:1
.LBB54_68:
	s_or_b64 exec, exec, s[38:39]
	v_add_u32_e32 v23, 16, v13
	v_cmp_le_i32_e32 vcc, s19, v23
	s_and_saveexec_b64 s[38:39], vcc
	s_xor_b64 s[38:39], exec, s[38:39]
; %bb.69:
	v_mov_b32_e32 v23, 0
	v_mov_b32_e32 v24, v23
	;; [unrolled: 1-line block ×4, first 2 shown]
	ds_write_b128 v12, v[23:26] offset:8448
; %bb.70:
	s_andn2_saveexec_b64 s[38:39], s[38:39]
	s_cbranch_execz .LBB54_72
; %bb.71:
	s_lshl_b32 s42, s24, 4
	s_ashr_i32 s43, s42, 31
	s_lshl_b64 s[42:43], s[42:43], 4
	v_mov_b32_e32 v24, s43
	v_add_co_u32_e32 v23, vcc, s42, v8
	v_addc_co_u32_e32 v24, vcc, v9, v24, vcc
	flat_load_dwordx4 v[23:26], v[23:24]
	s_movk_i32 s25, 0x2100
	v_add3_u32 v27, v11, v14, s25
	s_waitcnt vmcnt(0) lgkmcnt(0)
	ds_write2_b64 v27, v[23:24], v[25:26] offset1:1
.LBB54_72:
	s_or_b64 exec, exec, s[38:39]
	v_add_u32_e32 v23, 24, v13
	v_cmp_le_i32_e32 vcc, s19, v23
	s_and_saveexec_b64 s[38:39], vcc
	s_xor_b64 s[38:39], exec, s[38:39]
; %bb.73:
	v_mov_b32_e32 v23, 0
	v_mov_b32_e32 v24, v23
	;; [unrolled: 1-line block ×4, first 2 shown]
	ds_write_b128 v12, v[23:26] offset:12672
                                        ; implicit-def: $vgpr11
; %bb.74:
	s_andn2_saveexec_b64 s[38:39], s[38:39]
	s_cbranch_execz .LBB54_76
; %bb.75:
	s_mul_i32 s42, s24, 24
	s_ashr_i32 s43, s42, 31
	s_lshl_b64 s[42:43], s[42:43], 4
	v_mov_b32_e32 v12, s43
	v_add_co_u32_e32 v23, vcc, s42, v8
	v_addc_co_u32_e32 v24, vcc, v9, v12, vcc
	flat_load_dwordx4 v[23:26], v[23:24]
	s_movk_i32 s19, 0x3180
	v_add3_u32 v11, v11, v14, s19
	s_waitcnt vmcnt(0) lgkmcnt(0)
	ds_write2_b64 v11, v[23:24], v[25:26] offset1:1
.LBB54_76:
	s_or_b64 exec, exec, s[38:39]
	v_add_co_u32_e32 v8, vcc, v8, v14
	v_addc_co_u32_e32 v9, vcc, 0, v9, vcc
	v_mov_b32_e32 v11, s37
	v_subrev_co_u32_e32 v8, vcc, s36, v8
	v_subb_co_u32_e32 v9, vcc, v9, v11, vcc
	v_add_co_u32_e32 v8, vcc, 0x210, v8
	v_addc_co_u32_e32 v9, vcc, 0, v9, vcc
	v_cndmask_b32_e64 v12, v9, v7, s[14:15]
	v_cndmask_b32_e64 v11, v8, v6, s[14:15]
	s_branch .LBB54_83
.LBB54_77:
	s_andn2_saveexec_b64 s[10:11], s[10:11]
	s_cbranch_execz .LBB54_39
.LBB54_78:
	v_cmp_eq_u32_e32 vcc, v18, v10
	s_mov_b64 s[12:13], s[2:3]
                                        ; implicit-def: $vgpr9
	s_and_saveexec_b64 s[14:15], vcc
; %bb.79:
	v_add_u32_e32 v9, v14, v15
	s_or_b64 s[12:13], s[2:3], exec
; %bb.80:
	s_or_b64 exec, exec, s[14:15]
	v_mov_b32_e32 v4, 0
	s_andn2_b64 s[2:3], s[2:3], exec
	s_and_b64 s[12:13], s[12:13], exec
	v_mov_b32_e32 v5, 0
	s_or_b64 s[2:3], s[2:3], s[12:13]
	s_or_b64 exec, exec, s[10:11]
	s_and_saveexec_b64 s[10:11], s[2:3]
	s_cbranch_execnz .LBB54_40
	s_branch .LBB54_41
.LBB54_81:
                                        ; implicit-def: $vgpr11_vgpr12
	s_cbranch_execz .LBB54_83
; %bb.82:
	flat_load_dwordx4 v[23:26], v[6:7]
	s_movk_i32 s15, 0x210
	s_lshl_b32 s14, s24, 3
	v_mad_u32_u24 v11, v13, s15, v14
	s_ashr_i32 s15, s14, 31
	s_lshl_b64 s[14:15], s[14:15], 4
	v_mov_b32_e32 v9, s15
	v_add_co_u32_e32 v8, vcc, s14, v16
	v_addc_co_u32_e32 v9, vcc, v22, v9, vcc
	s_ashr_i32 s25, s24, 31
	s_lshl_b64 s[14:15], s[24:25], 7
	v_add_u32_e32 v12, 0x1080, v11
	v_mov_b32_e32 v16, s15
	s_waitcnt vmcnt(0) lgkmcnt(0)
	ds_write2_b64 v11, v[23:24], v[25:26] offset1:1
	flat_load_dwordx4 v[22:25], v[8:9] offset:512
	v_add_co_u32_e32 v8, vcc, s14, v8
	v_addc_co_u32_e32 v9, vcc, v9, v16, vcc
	s_waitcnt vmcnt(0) lgkmcnt(0)
	ds_write2_b64 v12, v[22:23], v[24:25] offset1:1
	flat_load_dwordx4 v[22:25], v[8:9] offset:512
	v_add_u32_e32 v12, 0x2100, v11
	v_add_co_u32_e32 v8, vcc, s14, v8
	v_addc_co_u32_e32 v9, vcc, v9, v16, vcc
	s_waitcnt vmcnt(0) lgkmcnt(0)
	ds_write2_b64 v12, v[22:23], v[24:25] offset1:1
	flat_load_dwordx4 v[22:25], v[8:9] offset:512
	v_add_u32_e32 v8, 0x3180, v11
	v_mov_b32_e32 v12, v7
	v_mov_b32_e32 v11, v6
	s_waitcnt vmcnt(0) lgkmcnt(0)
	ds_write2_b64 v8, v[22:23], v[24:25] offset1:1
.LBB54_83:
	v_mul_u32_u24_e32 v7, 0x840, v13
	s_mov_b64 s[14:15], 0
	s_waitcnt lgkmcnt(0)
	s_barrier
                                        ; implicit-def: $vgpr6
	s_and_saveexec_b64 s[36:37], s[16:17]
	s_xor_b64 s[16:17], exec, s[36:37]
	s_cbranch_execz .LBB54_87
; %bb.84:
	v_cmp_eq_u32_e32 vcc, v17, v10
                                        ; implicit-def: $vgpr6
	s_and_saveexec_b64 s[36:37], vcc
	s_xor_b64 s[36:37], exec, s[36:37]
; %bb.85:
	s_mov_b64 s[14:15], exec
	v_add_u32_e32 v6, v14, v15
; %bb.86:
	s_or_b64 exec, exec, s[36:37]
	s_and_b64 s[14:15], s[14:15], exec
.LBB54_87:
	s_or_saveexec_b64 s[16:17], s[16:17]
	v_mov_b32_e32 v8, 0
	v_mov_b32_e32 v9, 0
	v_add_u32_e32 v16, v14, v7
	v_lshl_add_u32 v22, v17, 4, v45
	s_xor_b64 exec, exec, s[16:17]
	s_cbranch_execz .LBB54_89
; %bb.88:
	ds_read_b128 v[6:9], v16
	s_or_b64 s[14:15], s[14:15], exec
	s_waitcnt lgkmcnt(0)
	v_xor_b32_e32 v9, 0x80000000, v9
	ds_write_b64 v22, v[6:7]
	v_mov_b32_e32 v6, v22
.LBB54_89:
	s_or_b64 exec, exec, s[16:17]
	v_mul_u32_u24_e32 v7, 0x210, v18
	s_and_saveexec_b64 s[16:17], s[14:15]
; %bb.90:
	ds_write_b64 v6, v[8:9] offset:8
; %bb.91:
	s_or_b64 exec, exec, s[16:17]
	s_mov_b64 s[14:15], 0
	v_add_u32_e32 v17, v14, v7
                                        ; implicit-def: $vgpr8_vgpr9
                                        ; implicit-def: $vgpr23
	s_and_saveexec_b64 s[16:17], s[8:9]
	s_xor_b64 s[8:9], exec, s[16:17]
	s_cbranch_execz .LBB54_131
; %bb.92:
	ds_read_b128 v[6:9], v17
	s_mov_b64 s[14:15], exec
	v_add_u32_e32 v23, 16, v22
                                        ; implicit-def: $vgpr18
	s_waitcnt lgkmcnt(0)
	v_xor_b32_e32 v9, 0x80000000, v9
	ds_write_b64 v22, v[6:7] offset:16
	s_andn2_saveexec_b64 s[8:9], s[8:9]
	s_cbranch_execnz .LBB54_132
.LBB54_93:
	s_or_b64 exec, exec, s[8:9]
	s_and_saveexec_b64 s[8:9], s[14:15]
.LBB54_94:
	ds_write_b64 v23, v[8:9] offset:8
.LBB54_95:
	s_or_b64 exec, exec, s[8:9]
	s_mov_b64 s[8:9], 0
                                        ; implicit-def: $vgpr18
	s_and_saveexec_b64 s[14:15], s[10:11]
	s_xor_b64 s[10:11], exec, s[14:15]
	s_cbranch_execz .LBB54_99
; %bb.96:
	v_cmp_eq_u32_e32 vcc, v19, v10
                                        ; implicit-def: $vgpr18
	s_and_saveexec_b64 s[14:15], vcc
; %bb.97:
	s_mov_b64 s[8:9], exec
	v_add_u32_e32 v18, v14, v15
; %bb.98:
	s_or_b64 exec, exec, s[14:15]
	s_and_b64 s[8:9], s[8:9], exec
.LBB54_99:
	s_or_saveexec_b64 s[10:11], s[10:11]
	v_mov_b32_e32 v8, 0
	v_mov_b32_e32 v9, 0
	s_xor_b64 exec, exec, s[10:11]
	s_cbranch_execz .LBB54_101
; %bb.100:
	ds_read_b128 v[6:9], v17 offset:528
	v_add_u32_e32 v18, 32, v22
	s_or_b64 s[8:9], s[8:9], exec
	s_waitcnt lgkmcnt(0)
	v_xor_b32_e32 v9, 0x80000000, v9
	ds_write_b64 v22, v[6:7] offset:32
.LBB54_101:
	s_or_b64 exec, exec, s[10:11]
	s_and_saveexec_b64 s[10:11], s[8:9]
; %bb.102:
	ds_write_b64 v18, v[8:9] offset:8
; %bb.103:
	s_or_b64 exec, exec, s[10:11]
	s_mov_b64 s[8:9], 0
                                        ; implicit-def: $vgpr18
	s_and_saveexec_b64 s[10:11], s[12:13]
	s_xor_b64 s[10:11], exec, s[10:11]
	s_cbranch_execz .LBB54_107
; %bb.104:
	v_cmp_eq_u32_e32 vcc, v20, v10
                                        ; implicit-def: $vgpr18
	s_and_saveexec_b64 s[12:13], vcc
; %bb.105:
	s_mov_b64 s[8:9], exec
	v_add_u32_e32 v18, v14, v15
; %bb.106:
	s_or_b64 exec, exec, s[12:13]
	s_and_b64 s[8:9], s[8:9], exec
                                        ; implicit-def: $vgpr22
.LBB54_107:
	s_or_saveexec_b64 s[10:11], s[10:11]
	v_mov_b32_e32 v8, 0
	v_mov_b32_e32 v9, 0
	s_xor_b64 exec, exec, s[10:11]
	s_cbranch_execz .LBB54_109
; %bb.108:
	ds_read_b128 v[6:9], v17 offset:1056
	v_add_u32_e32 v18, 48, v22
	s_or_b64 s[8:9], s[8:9], exec
	s_waitcnt lgkmcnt(0)
	v_xor_b32_e32 v9, 0x80000000, v9
	ds_write_b64 v22, v[6:7] offset:48
.LBB54_109:
	s_or_b64 exec, exec, s[10:11]
	v_add_u32_e32 v15, 0x4700, v21
	s_and_saveexec_b64 s[10:11], s[8:9]
; %bb.110:
	ds_write_b64 v18, v[8:9] offset:8
; %bb.111:
	s_or_b64 exec, exec, s[10:11]
	s_waitcnt lgkmcnt(0)
	s_barrier
	ds_read_b128 v[6:9], v16
	ds_read_b128 v[18:21], v15 offset:512
	ds_read_b128 v[22:25], v15 offset:528
	;; [unrolled: 1-line block ×3, first 2 shown]
	ds_read_b128 v[30:33], v17
	ds_read_b128 v[34:37], v15 offset:544
	ds_read_b128 v[47:50], v17 offset:528
	v_cmp_eq_u32_e64 s[8:9], 1, v13
	s_waitcnt lgkmcnt(5)
	v_mul_f64 v[42:43], v[20:21], v[8:9]
	v_mul_f64 v[8:9], v[18:19], v[8:9]
	s_waitcnt lgkmcnt(2)
	v_mul_f64 v[51:52], v[24:25], v[32:33]
	v_mul_f64 v[32:33], v[22:23], v[32:33]
	v_fma_f64 v[18:19], v[18:19], v[6:7], -v[42:43]
	v_fma_f64 v[20:21], v[20:21], v[6:7], v[8:9]
	s_waitcnt lgkmcnt(0)
	v_mul_f64 v[42:43], v[36:37], v[49:50]
	v_mul_f64 v[49:50], v[34:35], v[49:50]
	v_fma_f64 v[22:23], v[22:23], v[30:31], -v[51:52]
	v_fma_f64 v[24:25], v[24:25], v[30:31], v[32:33]
	ds_read_b128 v[6:9], v15 offset:560
	s_waitcnt lgkmcnt(0)
	v_add_f64 v[18:19], v[18:19], 0
	v_add_f64 v[20:21], v[20:21], 0
	v_fma_f64 v[32:33], v[34:35], v[47:48], -v[42:43]
	v_mul_f64 v[30:31], v[8:9], v[28:29]
	v_mul_f64 v[28:29], v[6:7], v[28:29]
	v_fma_f64 v[34:35], v[36:37], v[47:48], v[49:50]
	s_barrier
	v_add_f64 v[18:19], v[18:19], v[22:23]
	v_add_f64 v[20:21], v[20:21], v[24:25]
	v_fma_f64 v[6:7], v[6:7], v[26:27], -v[30:31]
	v_fma_f64 v[8:9], v[8:9], v[26:27], v[28:29]
	v_add_f64 v[18:19], v[18:19], v[32:33]
	v_add_f64 v[20:21], v[20:21], v[34:35]
	;; [unrolled: 1-line block ×4, first 2 shown]
	ds_write_b128 v46, v[6:9]
	s_waitcnt lgkmcnt(0)
	s_barrier
	s_and_saveexec_b64 s[10:11], s[8:9]
	s_cbranch_execz .LBB54_113
; %bb.112:
	ds_read_b128 v[2:5], v45
	ds_read_b128 v[6:9], v45 offset:16
	s_waitcnt lgkmcnt(0)
	v_add_f64 v[18:19], v[6:7], v[2:3]
	v_add_f64 v[20:21], v[8:9], v[4:5]
	ds_read_b128 v[2:5], v45 offset:32
	ds_read_b128 v[6:9], v45 offset:48
	s_waitcnt lgkmcnt(1)
	v_add_f64 v[2:3], v[18:19], v[2:3]
	v_add_f64 v[4:5], v[20:21], v[4:5]
	s_waitcnt lgkmcnt(0)
	v_add_f64 v[18:19], v[2:3], v[6:7]
	v_add_f64 v[20:21], v[4:5], v[8:9]
	ds_read_b128 v[2:5], v45 offset:64
	ds_read_b128 v[6:9], v45 offset:80
	s_waitcnt lgkmcnt(1)
	v_add_f64 v[2:3], v[18:19], v[2:3]
	v_add_f64 v[4:5], v[20:21], v[4:5]
	;; [unrolled: 8-line block ×3, first 2 shown]
	s_waitcnt lgkmcnt(0)
	v_add_f64 v[2:3], v[2:3], v[6:7]
	v_add_f64 v[4:5], v[4:5], v[8:9]
.LBB54_113:
	s_or_b64 exec, exec, s[10:11]
	v_add_co_u32_e32 v6, vcc, 0xfffffe00, v11
	v_addc_co_u32_e32 v7, vcc, -1, v12, vcc
	s_and_b64 vcc, exec, s[30:31]
	s_barrier
	s_cbranch_vccz .LBB54_135
; %bb.114:
	v_sub_co_u32_e32 v8, vcc, v6, v14
	s_ashr_i32 s19, s18, 31
	v_subbrev_co_u32_e32 v9, vcc, 0, v7, vcc
	s_lshl_b64 s[12:13], s[18:19], 4
	v_mov_b32_e32 v11, s13
	v_add_co_u32_e32 v8, vcc, s12, v8
	v_addc_co_u32_e32 v9, vcc, v9, v11, vcc
	v_add_co_u32_e32 v8, vcc, -16, v8
	v_addc_co_u32_e32 v9, vcc, -1, v9, vcc
	v_cmp_gt_i32_e32 vcc, s18, v10
	s_sub_i32 s16, s18, 32
	s_movk_i32 s14, 0x210
	v_cndmask_b32_e32 v9, v9, v7, vcc
	v_cndmask_b32_e32 v8, v8, v6, vcc
	v_cmp_le_i32_e64 s[10:11], s16, v13
	v_mad_u32_u24 v10, v13, s14, v14
	s_and_saveexec_b64 s[14:15], s[10:11]
	s_xor_b64 s[10:11], exec, s[14:15]
; %bb.115:
	v_mov_b32_e32 v18, 0
	v_mov_b32_e32 v19, v18
	;; [unrolled: 1-line block ×4, first 2 shown]
	ds_write_b128 v10, v[18:21]
                                        ; implicit-def: $vgpr10
; %bb.116:
	s_or_saveexec_b64 s[10:11], s[10:11]
	v_mul_u32_u24_e32 v18, 0x210, v13
	s_xor_b64 exec, exec, s[10:11]
	s_cbranch_execz .LBB54_118
; %bb.117:
	flat_load_dwordx4 v[19:22], v[8:9]
	s_waitcnt vmcnt(0) lgkmcnt(0)
	ds_write2_b64 v10, v[19:20], v[21:22] offset1:1
.LBB54_118:
	s_or_b64 exec, exec, s[10:11]
	v_add_u32_e32 v10, 8, v13
	v_cmp_le_i32_e64 s[10:11], s16, v10
	v_add_u32_e32 v19, v18, v14
	s_and_saveexec_b64 s[14:15], s[10:11]
	s_xor_b64 s[10:11], exec, s[14:15]
; %bb.119:
	v_mov_b32_e32 v20, 0
	v_mov_b32_e32 v21, v20
	;; [unrolled: 1-line block ×4, first 2 shown]
	ds_write_b128 v19, v[20:23] offset:4224
; %bb.120:
	s_andn2_saveexec_b64 s[14:15], s[10:11]
	s_cbranch_execz .LBB54_122
; %bb.121:
	s_lshl_b32 s10, s24, 3
	s_ashr_i32 s11, s10, 31
	s_lshl_b64 s[10:11], s[10:11], 4
	v_mov_b32_e32 v12, s11
	v_add_co_u32_e64 v11, s[10:11], s10, v8
	v_addc_co_u32_e64 v12, s[10:11], v9, v12, s[10:11]
	flat_load_dwordx4 v[20:23], v[11:12]
	s_movk_i32 s10, 0x1080
	v_add3_u32 v11, v18, v14, s10
	s_waitcnt vmcnt(0) lgkmcnt(0)
	ds_write2_b64 v11, v[20:21], v[22:23] offset1:1
.LBB54_122:
	s_or_b64 exec, exec, s[14:15]
	v_add_u32_e32 v12, 16, v13
	v_cmp_le_i32_e64 s[10:11], s16, v12
	s_and_saveexec_b64 s[14:15], s[10:11]
	s_xor_b64 s[10:11], exec, s[14:15]
; %bb.123:
	v_mov_b32_e32 v20, 0
	v_mov_b32_e32 v21, v20
	;; [unrolled: 1-line block ×4, first 2 shown]
	ds_write_b128 v19, v[20:23] offset:8448
; %bb.124:
	s_andn2_saveexec_b64 s[14:15], s[10:11]
	s_cbranch_execz .LBB54_126
; %bb.125:
	s_lshl_b32 s10, s24, 4
	s_ashr_i32 s11, s10, 31
	s_lshl_b64 s[10:11], s[10:11], 4
	v_mov_b32_e32 v11, s11
	v_add_co_u32_e64 v20, s[10:11], s10, v8
	v_addc_co_u32_e64 v21, s[10:11], v9, v11, s[10:11]
	flat_load_dwordx4 v[20:23], v[20:21]
	s_movk_i32 s10, 0x2100
	v_add3_u32 v11, v18, v14, s10
	s_waitcnt vmcnt(0) lgkmcnt(0)
	ds_write2_b64 v11, v[20:21], v[22:23] offset1:1
.LBB54_126:
	s_or_b64 exec, exec, s[14:15]
	v_add_u32_e32 v11, 24, v13
	v_cmp_le_i32_e64 s[10:11], s16, v11
	s_and_saveexec_b64 s[14:15], s[10:11]
	s_xor_b64 s[10:11], exec, s[14:15]
; %bb.127:
	v_mov_b32_e32 v20, 0
	v_mov_b32_e32 v21, v20
	;; [unrolled: 1-line block ×4, first 2 shown]
	ds_write_b128 v19, v[20:23] offset:12672
                                        ; implicit-def: $vgpr18
; %bb.128:
	s_andn2_saveexec_b64 s[14:15], s[10:11]
	s_cbranch_execz .LBB54_130
; %bb.129:
	s_mul_i32 s10, s24, 24
	s_ashr_i32 s11, s10, 31
	s_lshl_b64 s[10:11], s[10:11], 4
	v_mov_b32_e32 v20, s11
	v_add_co_u32_e64 v19, s[10:11], s10, v8
	v_addc_co_u32_e64 v20, s[10:11], v9, v20, s[10:11]
	flat_load_dwordx4 v[19:22], v[19:20]
	s_movk_i32 s10, 0x3180
	v_add3_u32 v18, v18, v14, s10
	s_waitcnt vmcnt(0) lgkmcnt(0)
	ds_write2_b64 v18, v[19:20], v[21:22] offset1:1
.LBB54_130:
	s_or_b64 exec, exec, s[14:15]
	v_add_co_u32_e64 v8, s[10:11], v8, v14
	v_addc_co_u32_e64 v9, s[10:11], 0, v9, s[10:11]
	v_mov_b32_e32 v18, s13
	v_subrev_co_u32_e64 v8, s[10:11], s12, v8
	v_subb_co_u32_e64 v9, s[10:11], v9, v18, s[10:11]
	v_add_co_u32_e64 v8, s[10:11], 16, v8
	v_addc_co_u32_e64 v9, s[10:11], 0, v9, s[10:11]
	v_cndmask_b32_e32 v43, v9, v7, vcc
	v_cndmask_b32_e32 v42, v8, v6, vcc
	s_branch .LBB54_137
.LBB54_131:
	s_andn2_saveexec_b64 s[8:9], s[8:9]
	s_cbranch_execz .LBB54_93
.LBB54_132:
	v_cmp_eq_u32_e32 vcc, v18, v10
	s_mov_b64 s[16:17], s[14:15]
                                        ; implicit-def: $vgpr23
	s_and_saveexec_b64 s[36:37], vcc
; %bb.133:
	v_add_u32_e32 v23, v14, v15
	s_or_b64 s[16:17], s[14:15], exec
; %bb.134:
	s_or_b64 exec, exec, s[36:37]
	v_mov_b32_e32 v8, 0
	s_andn2_b64 s[14:15], s[14:15], exec
	s_and_b64 s[16:17], s[16:17], exec
	v_mov_b32_e32 v9, 0
	s_or_b64 s[14:15], s[14:15], s[16:17]
	s_or_b64 exec, exec, s[8:9]
	s_and_saveexec_b64 s[8:9], s[14:15]
	s_cbranch_execnz .LBB54_94
	s_branch .LBB54_95
.LBB54_135:
                                        ; implicit-def: $vgpr42_vgpr43
                                        ; implicit-def: $vgpr10
                                        ; implicit-def: $vgpr12
                                        ; implicit-def: $vgpr11
	s_cbranch_execz .LBB54_137
; %bb.136:
	flat_load_dwordx4 v[8:11], v[6:7]
	s_movk_i32 s11, 0x210
	s_lshl_b32 s10, s24, 3
	v_mad_u32_u24 v14, v13, s11, v14
	s_ashr_i32 s11, s10, 31
	s_lshl_b64 s[10:11], s[10:11], 4
	v_mov_b32_e32 v12, s11
	v_add_co_u32_e32 v18, vcc, s10, v6
	v_addc_co_u32_e32 v19, vcc, v7, v12, vcc
	s_ashr_i32 s25, s24, 31
	s_lshl_b64 s[10:11], s[24:25], 7
	v_add_u32_e32 v12, 0x1080, v14
	v_mov_b32_e32 v20, s11
	v_mov_b32_e32 v43, v7
	;; [unrolled: 1-line block ×3, first 2 shown]
	s_waitcnt vmcnt(0) lgkmcnt(0)
	ds_write2_b64 v14, v[8:9], v[10:11] offset1:1
	flat_load_dwordx4 v[8:11], v[18:19]
	v_add_co_u32_e32 v18, vcc, s10, v18
	v_addc_co_u32_e32 v19, vcc, v19, v20, vcc
	s_waitcnt vmcnt(0) lgkmcnt(0)
	ds_write2_b64 v12, v[8:9], v[10:11] offset1:1
	flat_load_dwordx4 v[8:11], v[18:19]
	v_add_u32_e32 v12, 0x2100, v14
	v_add_co_u32_e32 v18, vcc, s10, v18
	v_addc_co_u32_e32 v19, vcc, v19, v20, vcc
	s_waitcnt vmcnt(0) lgkmcnt(0)
	ds_write2_b64 v12, v[8:9], v[10:11] offset1:1
	flat_load_dwordx4 v[18:21], v[18:19]
	v_add_u32_e32 v10, 8, v13
	v_add_u32_e32 v12, 16, v13
	;; [unrolled: 1-line block ×4, first 2 shown]
	s_waitcnt vmcnt(0) lgkmcnt(0)
	ds_write2_b64 v8, v[18:19], v[20:21] offset1:1
.LBB54_137:
	v_lshlrev_b32_e32 v13, 4, v13
	v_add_u32_e32 v6, v45, v13
	s_waitcnt lgkmcnt(0)
	s_barrier
	ds_read_b128 v[6:9], v6
	ds_read_b128 v[18:21], v13 offset:18176
	v_lshlrev_b32_e32 v10, 4, v10
	v_add_u32_e32 v13, v45, v10
	ds_read_b128 v[22:25], v13
	ds_read_b128 v[26:29], v10 offset:18176
	v_lshlrev_b32_e32 v10, 4, v12
	s_waitcnt lgkmcnt(2)
	v_mul_f64 v[13:14], v[8:9], v[20:21]
	v_mul_f64 v[8:9], v[8:9], v[18:19]
	v_add_u32_e32 v12, v45, v10
	s_waitcnt lgkmcnt(0)
	v_mul_f64 v[47:48], v[24:25], v[28:29]
	ds_read_b128 v[30:33], v12
	ds_read_b128 v[34:37], v10 offset:18176
	v_lshlrev_b32_e32 v10, 4, v11
	v_fma_f64 v[12:13], v[6:7], v[18:19], v[13:14]
	v_mul_f64 v[18:19], v[24:25], v[26:27]
	v_fma_f64 v[20:21], v[6:7], v[20:21], -v[8:9]
	s_waitcnt lgkmcnt(0)
	v_mul_f64 v[24:25], v[32:33], v[36:37]
	v_fma_f64 v[26:27], v[22:23], v[26:27], v[47:48]
	v_mul_f64 v[32:33], v[32:33], v[34:35]
	v_add_u32_e32 v6, v45, v10
	v_add_f64 v[47:48], v[12:13], 0
	v_fma_f64 v[18:19], v[22:23], v[28:29], -v[18:19]
	v_add_f64 v[20:21], v[20:21], 0
	ds_read_b128 v[6:9], v6
	ds_read_b128 v[10:13], v10 offset:18176
	v_fma_f64 v[24:25], v[30:31], v[34:35], v[24:25]
	v_fma_f64 v[28:29], v[30:31], v[36:37], -v[32:33]
	v_add_f64 v[22:23], v[47:48], v[26:27]
	s_waitcnt lgkmcnt(0)
	v_mul_f64 v[26:27], v[8:9], v[12:13]
	v_mul_f64 v[8:9], v[8:9], v[10:11]
	v_add_f64 v[18:19], v[20:21], v[18:19]
	v_add_f64 v[34:35], v[22:23], v[24:25]
	v_fma_f64 v[20:21], v[6:7], v[10:11], v[26:27]
	v_fma_f64 v[26:27], v[6:7], v[12:13], -v[8:9]
	v_add_f64 v[18:19], v[18:19], v[28:29]
	ds_read_b128 v[30:33], v15 offset:512
	ds_read_b128 v[22:25], v15 offset:528
	;; [unrolled: 1-line block ×4, first 2 shown]
	v_add_f64 v[47:48], v[34:35], v[20:21]
	v_add_f64 v[49:50], v[18:19], v[26:27]
	ds_read_b128 v[26:29], v17
	ds_read_b128 v[18:21], v17 offset:528
	ds_read_b128 v[34:37], v16
	ds_read_b128 v[14:17], v17 offset:1056
	s_waitcnt lgkmcnt(0)
	s_barrier
	ds_write_b128 v46, v[47:50]
	s_waitcnt lgkmcnt(0)
	s_barrier
	s_and_saveexec_b64 s[10:11], s[8:9]
	s_cbranch_execz .LBB54_139
; %bb.138:
	ds_read_b128 v[47:50], v45
	ds_read_b128 v[51:54], v45 offset:16
	s_waitcnt lgkmcnt(1)
	v_add_f64 v[2:3], v[2:3], v[47:48]
	v_add_f64 v[4:5], v[4:5], v[49:50]
	s_waitcnt lgkmcnt(0)
	v_add_f64 v[51:52], v[2:3], v[51:52]
	v_add_f64 v[53:54], v[4:5], v[53:54]
	ds_read_b128 v[2:5], v45 offset:32
	ds_read_b128 v[47:50], v45 offset:48
	s_waitcnt lgkmcnt(1)
	v_add_f64 v[2:3], v[51:52], v[2:3]
	v_add_f64 v[4:5], v[53:54], v[4:5]
	s_waitcnt lgkmcnt(0)
	v_add_f64 v[51:52], v[2:3], v[47:48]
	v_add_f64 v[53:54], v[4:5], v[49:50]
	ds_read_b128 v[2:5], v45 offset:64
	;; [unrolled: 8-line block ×3, first 2 shown]
	ds_read_b128 v[47:50], v45 offset:112
	s_waitcnt lgkmcnt(1)
	v_add_f64 v[2:3], v[51:52], v[2:3]
	v_add_f64 v[4:5], v[53:54], v[4:5]
	s_waitcnt lgkmcnt(0)
	v_add_f64 v[2:3], v[2:3], v[47:48]
	v_add_f64 v[4:5], v[4:5], v[49:50]
.LBB54_139:
	s_or_b64 exec, exec, s[10:11]
	v_mul_f64 v[47:48], v[32:33], v[36:37]
	v_mul_f64 v[36:37], v[30:31], v[36:37]
	;; [unrolled: 1-line block ×4, first 2 shown]
	s_barrier
	v_fma_f64 v[30:31], v[30:31], v[34:35], -v[47:48]
	v_fma_f64 v[32:33], v[32:33], v[34:35], v[36:37]
	v_mul_f64 v[34:35], v[12:13], v[20:21]
	v_mul_f64 v[20:21], v[10:11], v[20:21]
	v_fma_f64 v[22:23], v[22:23], v[26:27], -v[49:50]
	v_fma_f64 v[24:25], v[24:25], v[26:27], v[28:29]
	v_add_f64 v[26:27], v[30:31], 0
	v_add_f64 v[28:29], v[32:33], 0
	v_mul_f64 v[30:31], v[8:9], v[16:17]
	v_mul_f64 v[16:17], v[6:7], v[16:17]
	v_fma_f64 v[10:11], v[10:11], v[18:19], -v[34:35]
	v_fma_f64 v[12:13], v[12:13], v[18:19], v[20:21]
	v_add_f64 v[18:19], v[26:27], v[22:23]
	v_add_f64 v[20:21], v[28:29], v[24:25]
	v_fma_f64 v[6:7], v[6:7], v[14:15], -v[30:31]
	v_fma_f64 v[8:9], v[8:9], v[14:15], v[16:17]
	v_add_f64 v[10:11], v[18:19], v[10:11]
	v_add_f64 v[12:13], v[20:21], v[12:13]
	v_add_f64 v[6:7], v[10:11], v[6:7]
	v_add_f64 v[8:9], v[12:13], v[8:9]
	ds_write_b128 v46, v[6:9]
	s_waitcnt lgkmcnt(0)
	s_barrier
	s_and_saveexec_b64 s[8:9], s[2:3]
	s_cbranch_execz .LBB54_141
; %bb.140:
	ds_read_b128 v[6:9], v45
	ds_read_b128 v[10:13], v45 offset:16
	s_waitcnt lgkmcnt(1)
	v_add_f64 v[2:3], v[2:3], v[6:7]
	v_add_f64 v[4:5], v[4:5], v[8:9]
	s_waitcnt lgkmcnt(0)
	v_add_f64 v[10:11], v[2:3], v[10:11]
	v_add_f64 v[12:13], v[4:5], v[12:13]
	ds_read_b128 v[2:5], v45 offset:32
	ds_read_b128 v[6:9], v45 offset:48
	s_waitcnt lgkmcnt(1)
	v_add_f64 v[2:3], v[10:11], v[2:3]
	v_add_f64 v[4:5], v[12:13], v[4:5]
	s_waitcnt lgkmcnt(0)
	v_add_f64 v[10:11], v[2:3], v[6:7]
	v_add_f64 v[12:13], v[4:5], v[8:9]
	ds_read_b128 v[2:5], v45 offset:64
	;; [unrolled: 8-line block ×3, first 2 shown]
	ds_read_b128 v[6:9], v45 offset:112
	s_waitcnt lgkmcnt(1)
	v_add_f64 v[2:3], v[10:11], v[2:3]
	v_add_f64 v[4:5], v[12:13], v[4:5]
	s_waitcnt lgkmcnt(0)
	v_add_f64 v[2:3], v[2:3], v[6:7]
	v_add_f64 v[4:5], v[4:5], v[8:9]
.LBB54_141:
	s_or_b64 exec, exec, s[8:9]
	s_load_dwordx2 s[2:3], s[4:5], 0x78
	s_mul_hi_u32 s4, s23, s22
	s_mul_i32 s41, s41, s22
	s_add_i32 s4, s4, s41
	s_mul_i32 s8, s23, s22
	s_mul_i32 s4, s4, s7
	s_mul_hi_u32 s5, s8, s7
	s_add_i32 s5, s5, s4
	s_mul_i32 s4, s8, s7
	s_lshl_b64 s[4:5], s[4:5], 4
	s_waitcnt lgkmcnt(0)
	s_add_u32 s4, s2, s4
	s_addc_u32 s5, s3, s5
	s_mul_hi_i32 s3, s23, s6
	s_mul_i32 s2, s23, s6
	s_lshl_b64 s[2:3], s[2:3], 4
	s_add_u32 s19, s4, s2
	s_addc_u32 s27, s5, s3
	s_add_i32 s8, s6, 1
	s_cmp_ge_u32 s8, s7
	v_lshlrev_b32_e32 v170, 4, v0
	s_barrier
	s_cbranch_scc1 .LBB54_199
; %bb.142:
	s_mul_i32 s2, s40, s26
	s_ashr_i32 s3, s2, 31
	s_lshl_b64 s[2:3], s[2:3], 4
	v_lshlrev_b32_e32 v171, 2, v1
	v_mov_b32_e32 v8, s3
	v_subrev_co_u32_e32 v172, vcc, s2, v38
	v_mad_u64_u32 v[6:7], s[4:5], s24, v171, v[0:1]
	v_subb_co_u32_e32 v173, vcc, v39, v8, vcc
	v_lshrrev_b32_e32 v8, 4, v44
	v_mov_b32_e32 v10, 0x4300
	v_lshl_add_u32 v175, v1, 6, v10
	v_lshlrev_b32_e32 v10, 6, v8
	v_mul_i32_i24_e32 v12, 0xffffffd0, v8
	v_and_b32_e32 v8, 48, v0
	v_and_b32_e32 v9, 15, v0
	s_movk_i32 s4, 0x430
	v_lshlrev_b32_e32 v8, 4, v8
	s_lshl_b32 s30, s40, 6
	s_lshl_b32 s14, s24, 4
	v_mad_u32_u24 v179, v9, s4, v8
	v_or_b32_e32 v8, 0xf0, v170
	s_ashr_i32 s25, s24, 31
	s_lshl_b32 s16, s24, 1
	s_mul_i32 s36, s24, 3
	s_mul_i32 s40, s40, s8
	v_ashrrev_i32_e32 v7, 31, v6
	s_add_i32 s26, s7, -2
	v_mad_u32_u24 v178, v9, s4, v10
	s_ashr_i32 s15, s14, 31
	v_mad_u32_u24 v180, v9, s4, v8
	s_ashr_i32 s17, s16, 31
	s_ashr_i32 s37, s36, 31
	s_lshl_b64 s[4:5], s[24:25], 4
	s_lshl_b32 s10, s40, 6
	s_lshl_b64 s[22:23], s[24:25], 5
	v_sub_co_u32_e32 v196, vcc, 0, v40
	s_add_u32 s11, s22, s28
	v_lshlrev_b64 v[8:9], 4, v[6:7]
	v_subb_co_u32_e32 v197, vcc, 0, v41, vcc
	s_addc_u32 s31, s23, s29
	v_mov_b32_e32 v10, s31
	v_add_co_u32_e32 v11, vcc, s11, v8
	v_addc_co_u32_e32 v10, vcc, v10, v9, vcc
	v_add_co_u32_e32 v198, vcc, v42, v11
	v_addc_co_u32_e32 v199, vcc, v43, v10, vcc
	v_mov_b32_e32 v10, s35
	v_add_co_u32_e32 v6, vcc, s34, v6
	v_addc_co_u32_e32 v7, vcc, v10, v7, vcc
	v_lshlrev_b64 v[6:7], 4, v[6:7]
	s_lshl_b64 s[12:13], s[14:15], 6
	v_mad_i64_i32 v[10:11], s[8:9], s14, 48, v[6:7]
	s_lshl_b64 s[8:9], s[36:37], 4
	v_mov_b32_e32 v13, s9
	v_add_co_u32_e32 v14, vcc, s8, v10
	v_addc_co_u32_e32 v13, vcc, v11, v13, vcc
	v_add_co_u32_e32 v200, vcc, v42, v14
	s_add_u32 s34, s4, s28
	v_addc_co_u32_e32 v201, vcc, v43, v13, vcc
	s_addc_u32 s35, s5, s29
	v_mov_b32_e32 v13, s35
	v_add_co_u32_e32 v14, vcc, s34, v8
	v_addc_co_u32_e32 v13, vcc, v13, v9, vcc
	v_add_co_u32_e32 v202, vcc, v42, v14
	v_addc_co_u32_e32 v203, vcc, v43, v13, vcc
	s_lshl_b64 s[16:17], s[16:17], 4
	v_mov_b32_e32 v13, s17
	v_add_co_u32_e32 v14, vcc, s16, v10
	v_addc_co_u32_e32 v13, vcc, v11, v13, vcc
	v_add_co_u32_e32 v204, vcc, v42, v14
	v_addc_co_u32_e32 v205, vcc, v43, v13, vcc
	v_mov_b32_e32 v13, s29
	v_add_co_u32_e32 v14, vcc, s28, v8
	v_addc_co_u32_e32 v13, vcc, v13, v9, vcc
	v_add_co_u32_e32 v206, vcc, v42, v14
	v_addc_co_u32_e32 v207, vcc, v43, v13, vcc
	s_mul_i32 s38, s24, 0x300
	v_add_co_u32_e32 v208, vcc, v42, v10
	s_add_u32 s24, s28, s16
	v_addc_co_u32_e32 v209, vcc, v43, v11, vcc
	s_addc_u32 s25, s29, s17
	v_mov_b32_e32 v13, s25
	v_add_co_u32_e32 v14, vcc, s24, v8
	v_addc_co_u32_e32 v13, vcc, v13, v9, vcc
	v_add_co_u32_e32 v210, vcc, v42, v14
	v_addc_co_u32_e32 v211, vcc, v43, v13, vcc
	v_mov_b32_e32 v13, s5
	v_add_co_u32_e32 v10, vcc, s4, v10
	v_addc_co_u32_e32 v11, vcc, v11, v13, vcc
	v_add_co_u32_e32 v212, vcc, v42, v10
	s_add_u32 s24, s28, s8
	v_addc_co_u32_e32 v213, vcc, v43, v11, vcc
	s_addc_u32 s25, s29, s9
	v_mov_b32_e32 v10, s25
	v_add_co_u32_e32 v11, vcc, s24, v8
	v_addc_co_u32_e32 v10, vcc, v10, v9, vcc
	s_lshl_b64 s[24:25], s[14:15], 4
	v_add_co_u32_e32 v214, vcc, v42, v11
	s_add_u32 s36, s11, s24
	v_addc_co_u32_e32 v215, vcc, v43, v10, vcc
	s_addc_u32 s37, s31, s25
	v_mov_b32_e32 v10, s37
	v_add_co_u32_e32 v11, vcc, s36, v8
	v_addc_co_u32_e32 v10, vcc, v10, v9, vcc
	s_mul_hi_i32 s39, s14, 48
	v_add_co_u32_e32 v216, vcc, v42, v11
	s_add_u32 s22, s38, s22
	v_addc_co_u32_e32 v217, vcc, v43, v10, vcc
	s_addc_u32 s23, s39, s23
	s_lshl_b64 s[14:15], s[14:15], 5
	v_mov_b32_e32 v10, s23
	v_add_co_u32_e32 v6, vcc, s22, v6
	s_add_u32 s22, s14, s28
	v_addc_co_u32_e32 v7, vcc, v10, v7, vcc
	s_addc_u32 s23, s15, s29
	v_add_co_u32_e32 v218, vcc, v42, v6
	s_add_u32 s36, s22, s8
	v_addc_co_u32_e32 v219, vcc, v43, v7, vcc
	s_addc_u32 s37, s23, s9
	v_mov_b32_e32 v6, s37
	v_add_co_u32_e32 v7, vcc, s36, v8
	v_addc_co_u32_e32 v6, vcc, v6, v9, vcc
	v_add_co_u32_e32 v220, vcc, v42, v7
	s_add_u32 s34, s34, s24
	v_addc_co_u32_e32 v221, vcc, v43, v6, vcc
	s_addc_u32 s35, s35, s25
	v_mov_b32_e32 v6, s35
	v_add_co_u32_e32 v7, vcc, s34, v8
	v_addc_co_u32_e32 v6, vcc, v6, v9, vcc
	;; [unrolled: 7-line block ×4, first 2 shown]
	v_add_co_u32_e32 v226, vcc, v42, v7
	v_addc_co_u32_e32 v227, vcc, v43, v6, vcc
	v_mov_b32_e32 v6, s23
	v_add_co_u32_e32 v7, vcc, s22, v8
	v_addc_co_u32_e32 v6, vcc, v6, v9, vcc
	v_add_co_u32_e32 v228, vcc, v42, v7
	s_add_u32 s16, s24, s16
	v_addc_co_u32_e32 v229, vcc, v43, v6, vcc
	s_addc_u32 s17, s25, s17
	v_mov_b32_e32 v6, s17
	v_add_co_u32_e32 v7, vcc, s16, v8
	v_addc_co_u32_e32 v6, vcc, v6, v9, vcc
	v_add_co_u32_e32 v230, vcc, v42, v7
	s_add_u32 s4, s22, s4
	v_addc_co_u32_e32 v231, vcc, v43, v6, vcc
	s_addc_u32 s5, s23, s5
	;; [unrolled: 7-line block ×4, first 2 shown]
	v_mov_b32_e32 v6, s5
	v_add_co_u32_e32 v7, vcc, s4, v8
	v_addc_co_u32_e32 v6, vcc, v6, v9, vcc
	s_movk_i32 s2, 0x10c0
	v_add_co_u32_e32 v236, vcc, v42, v7
	v_add_u32_e32 v174, 0x4300, v170
	v_add_u32_e32 v176, 0x4700, v170
	v_mad_u32_u24 v177, v1, s2, v170
	v_cmp_gt_u32_e64 s[2:3], 64, v44
	v_or_b32_e32 v181, 1, v171
	v_or_b32_e32 v182, 2, v171
	;; [unrolled: 1-line block ×3, first 2 shown]
	v_add_u32_e32 v184, 16, v171
	v_add_u32_e32 v185, 17, v171
	;; [unrolled: 1-line block ×13, first 2 shown]
	v_addc_co_u32_e32 v237, vcc, v43, v6, vcc
	v_add_u32_e32 v238, v178, v12
	v_mov_b32_e32 v6, 0
	s_cmp_eq_u32 s26, s6
	s_cselect_b32 s22, s33, 0
	s_and_saveexec_b64 s[4:5], s[0:1]
	s_cbranch_execz .LBB54_148
	s_branch .LBB54_144
.LBB54_143:                             ;   in Loop: Header=BB54_148 Depth=1
	s_mov_b32 s6, s4
	s_cmp_eq_u32 s26, s6
	s_cselect_b32 s22, s33, 0
	s_and_saveexec_b64 s[4:5], s[0:1]
	s_cbranch_execz .LBB54_148
.LBB54_144:
	s_cmp_lg_u32 s22, 0
	s_cselect_b64 s[8:9], -1, 0
	v_cmp_le_i32_e32 vcc, s22, v0
	s_and_b64 s[8:9], s[8:9], vcc
	s_and_saveexec_b64 s[14:15], s[8:9]
	s_xor_b64 s[8:9], exec, s[14:15]
; %bb.145:
	v_mov_b32_e32 v7, v6
	v_mov_b32_e32 v8, v6
	;; [unrolled: 1-line block ×3, first 2 shown]
	ds_write_b128 v174, v[6:9]
; %bb.146:
	s_andn2_saveexec_b64 s[8:9], s[8:9]
	s_cbranch_execz .LBB54_148
; %bb.147:
	s_ashr_i32 s11, s10, 31
	s_lshl_b64 s[8:9], s[10:11], 4
	v_mov_b32_e32 v8, s9
	v_add_co_u32_e32 v7, vcc, s8, v172
	v_addc_co_u32_e32 v8, vcc, v173, v8, vcc
	flat_load_dwordx4 v[7:10], v[7:8]
	s_waitcnt vmcnt(0) lgkmcnt(0)
	ds_write2_b64 v174, v[7:8], v[9:10] offset1:1
.LBB54_148:                             ; =>This Inner Loop Header: Depth=1
	s_or_b64 exec, exec, s[4:5]
	s_cmp_eq_u32 s22, 0
	v_add_co_u32_e32 v19, vcc, v206, v196
	s_cselect_b64 s[14:15], -1, 0
	s_cmp_lg_u32 s22, 0
	v_addc_co_u32_e32 v20, vcc, v207, v197, vcc
	s_cselect_b64 s[8:9], -1, 0
	s_and_b64 vcc, exec, s[8:9]
	s_waitcnt lgkmcnt(0)
	s_barrier
	s_cbranch_vccz .LBB54_156
; %bb.149:                              ;   in Loop: Header=BB54_148 Depth=1
	v_mov_b32_e32 v11, 0
	v_mov_b32_e32 v7, 0
	;; [unrolled: 1-line block ×6, first 2 shown]
	v_cmp_gt_i32_e32 vcc, s22, v171
	s_and_saveexec_b64 s[4:5], vcc
	s_cbranch_execz .LBB54_151
; %bb.150:                              ;   in Loop: Header=BB54_148 Depth=1
	flat_load_dwordx4 v[7:10], v[19:20]
.LBB54_151:                             ;   in Loop: Header=BB54_148 Depth=1
	s_or_b64 exec, exec, s[4:5]
	v_mov_b32_e32 v13, 0
	v_mov_b32_e32 v14, 0
	v_cmp_gt_i32_e32 vcc, s22, v181
	s_and_saveexec_b64 s[4:5], vcc
	s_cbranch_execz .LBB54_153
; %bb.152:                              ;   in Loop: Header=BB54_148 Depth=1
	v_add_co_u32_e32 v11, vcc, v202, v196
	v_addc_co_u32_e32 v12, vcc, v203, v197, vcc
	flat_load_dwordx4 v[11:14], v[11:12]
.LBB54_153:                             ;   in Loop: Header=BB54_148 Depth=1
	s_or_b64 exec, exec, s[4:5]
	v_mov_b32_e32 v15, 0
	v_mov_b32_e32 v17, 0
	;; [unrolled: 1-line block ×4, first 2 shown]
	v_cmp_gt_i32_e32 vcc, s22, v182
	s_and_saveexec_b64 s[4:5], vcc
	s_cbranch_execz .LBB54_155
; %bb.154:                              ;   in Loop: Header=BB54_148 Depth=1
	v_add_co_u32_e32 v15, vcc, v210, v196
	v_addc_co_u32_e32 v16, vcc, v211, v197, vcc
	flat_load_dwordx4 v[15:18], v[15:16]
.LBB54_155:                             ;   in Loop: Header=BB54_148 Depth=1
	s_or_b64 exec, exec, s[4:5]
	v_cmp_gt_i32_e64 s[4:5], s22, v183
	s_branch .LBB54_158
.LBB54_156:                             ;   in Loop: Header=BB54_148 Depth=1
	s_mov_b64 s[4:5], 0
                                        ; implicit-def: $vgpr17_vgpr18
                                        ; implicit-def: $vgpr13_vgpr14
                                        ; implicit-def: $vgpr9_vgpr10
	s_cbranch_execz .LBB54_158
; %bb.157:                              ;   in Loop: Header=BB54_148 Depth=1
	s_waitcnt vmcnt(0) lgkmcnt(0)
	v_add_co_u32_e32 v11, vcc, v202, v196
	v_addc_co_u32_e32 v12, vcc, v203, v197, vcc
	v_add_co_u32_e32 v15, vcc, v198, v196
	v_addc_co_u32_e32 v16, vcc, v199, v197, vcc
	flat_load_dwordx4 v[7:10], v[19:20]
	s_or_b64 s[4:5], s[4:5], exec
	flat_load_dwordx4 v[11:14], v[11:12]
	s_nop 0
	flat_load_dwordx4 v[15:18], v[15:16]
.LBB54_158:                             ;   in Loop: Header=BB54_148 Depth=1
	v_mov_b32_e32 v19, 0
	v_mov_b32_e32 v21, 0
	;; [unrolled: 1-line block ×4, first 2 shown]
	s_and_saveexec_b64 s[16:17], s[4:5]
	s_cbranch_execz .LBB54_160
; %bb.159:                              ;   in Loop: Header=BB54_148 Depth=1
	v_add_co_u32_e32 v19, vcc, v214, v196
	v_addc_co_u32_e32 v20, vcc, v215, v197, vcc
	flat_load_dwordx4 v[19:22], v[19:20]
.LBB54_160:                             ;   in Loop: Header=BB54_148 Depth=1
	s_or_b64 exec, exec, s[16:17]
	ds_read_b128 v[23:26], v176
	s_andn2_b64 vcc, exec, s[8:9]
	s_waitcnt vmcnt(0) lgkmcnt(0)
	v_mul_f64 v[27:28], v[9:10], v[25:26]
	v_mul_f64 v[29:30], v[9:10], v[23:24]
	;; [unrolled: 1-line block ×8, first 2 shown]
	v_fma_f64 v[27:28], v[7:8], v[23:24], v[27:28]
	v_fma_f64 v[29:30], v[7:8], v[25:26], -v[29:30]
	v_fma_f64 v[31:32], v[11:12], v[23:24], v[31:32]
	v_fma_f64 v[33:34], v[11:12], v[25:26], -v[33:34]
	;; [unrolled: 2-line block ×4, first 2 shown]
	ds_read_b128 v[47:50], v175
	ds_read_b128 v[43:46], v175 offset:16
	ds_read_b128 v[35:38], v175 offset:32
	;; [unrolled: 1-line block ×3, first 2 shown]
	ds_write_b128 v177, v[27:30]
	ds_write_b128 v177, v[31:34] offset:1072
	ds_write_b128 v177, v[39:42] offset:2144
	;; [unrolled: 1-line block ×3, first 2 shown]
	s_waitcnt lgkmcnt(0)
	s_barrier
	ds_read_b128 v[131:134], v178
	ds_read_b128 v[127:130], v178 offset:16
	ds_read_b128 v[123:126], v178 offset:32
	;; [unrolled: 1-line block ×3, first 2 shown]
	v_cndmask_b32_e64 v27, 0, 1, s[8:9]
	v_add_co_u32_e64 v51, s[8:9], v226, v196
	v_cmp_ne_u32_e64 s[4:5], 1, v27
	v_addc_co_u32_e64 v52, s[8:9], v227, v197, s[8:9]
	s_waitcnt lgkmcnt(0)
	s_barrier
	s_cbranch_vccnz .LBB54_168
; %bb.161:                              ;   in Loop: Header=BB54_148 Depth=1
	v_mov_b32_e32 v27, 0
	v_mov_b32_e32 v31, 0
	;; [unrolled: 1-line block ×6, first 2 shown]
	v_cmp_gt_i32_e32 vcc, s22, v184
	s_and_saveexec_b64 s[8:9], vcc
	s_cbranch_execz .LBB54_163
; %bb.162:                              ;   in Loop: Header=BB54_148 Depth=1
	flat_load_dwordx4 v[31:34], v[51:52]
.LBB54_163:                             ;   in Loop: Header=BB54_148 Depth=1
	s_or_b64 exec, exec, s[8:9]
	v_mov_b32_e32 v29, 0
	v_mov_b32_e32 v30, 0
	v_cmp_gt_i32_e32 vcc, s22, v185
	s_and_saveexec_b64 s[8:9], vcc
	s_cbranch_execz .LBB54_165
; %bb.164:                              ;   in Loop: Header=BB54_148 Depth=1
	v_add_co_u32_e32 v27, vcc, v222, v196
	v_addc_co_u32_e32 v28, vcc, v223, v197, vcc
	flat_load_dwordx4 v[27:30], v[27:28]
.LBB54_165:                             ;   in Loop: Header=BB54_148 Depth=1
	s_or_b64 exec, exec, s[8:9]
	v_mov_b32_e32 v39, 0
	v_mov_b32_e32 v41, 0
	;; [unrolled: 1-line block ×4, first 2 shown]
	v_cmp_gt_i32_e32 vcc, s22, v186
	s_and_saveexec_b64 s[8:9], vcc
	s_cbranch_execz .LBB54_167
; %bb.166:                              ;   in Loop: Header=BB54_148 Depth=1
	v_add_co_u32_e32 v39, vcc, v230, v196
	v_addc_co_u32_e32 v40, vcc, v231, v197, vcc
	flat_load_dwordx4 v[39:42], v[39:40]
.LBB54_167:                             ;   in Loop: Header=BB54_148 Depth=1
	s_or_b64 exec, exec, s[8:9]
	v_cmp_gt_i32_e64 s[8:9], s22, v187
	s_branch .LBB54_170
.LBB54_168:                             ;   in Loop: Header=BB54_148 Depth=1
	s_mov_b64 s[8:9], 0
                                        ; implicit-def: $vgpr41_vgpr42
                                        ; implicit-def: $vgpr29_vgpr30
                                        ; implicit-def: $vgpr33_vgpr34
	s_cbranch_execz .LBB54_170
; %bb.169:                              ;   in Loop: Header=BB54_148 Depth=1
	s_waitcnt vmcnt(0) lgkmcnt(0)
	v_add_co_u32_e32 v27, vcc, v222, v196
	v_addc_co_u32_e32 v28, vcc, v223, v197, vcc
	v_add_co_u32_e32 v39, vcc, v216, v196
	v_addc_co_u32_e32 v40, vcc, v217, v197, vcc
	flat_load_dwordx4 v[31:34], v[51:52]
	s_or_b64 s[8:9], s[8:9], exec
	flat_load_dwordx4 v[27:30], v[27:28]
	s_nop 0
	flat_load_dwordx4 v[39:42], v[39:40]
.LBB54_170:                             ;   in Loop: Header=BB54_148 Depth=1
	v_mov_b32_e32 v51, 0
	v_mov_b32_e32 v53, 0
	;; [unrolled: 1-line block ×4, first 2 shown]
	s_and_saveexec_b64 s[16:17], s[8:9]
	s_cbranch_execz .LBB54_172
; %bb.171:                              ;   in Loop: Header=BB54_148 Depth=1
	v_add_co_u32_e32 v51, vcc, v234, v196
	v_addc_co_u32_e32 v52, vcc, v235, v197, vcc
	flat_load_dwordx4 v[51:54], v[51:52]
.LBB54_172:                             ;   in Loop: Header=BB54_148 Depth=1
	s_or_b64 exec, exec, s[16:17]
	ds_read_b128 v[55:58], v176
	s_and_b64 vcc, exec, s[4:5]
	s_waitcnt vmcnt(0) lgkmcnt(0)
	v_mul_f64 v[59:60], v[33:34], v[57:58]
	v_mul_f64 v[61:62], v[33:34], v[55:56]
	;; [unrolled: 1-line block ×8, first 2 shown]
	v_fma_f64 v[63:64], v[31:32], v[55:56], v[59:60]
	v_fma_f64 v[65:66], v[31:32], v[57:58], -v[61:62]
	v_fma_f64 v[67:68], v[27:28], v[55:56], v[67:68]
	v_fma_f64 v[69:70], v[27:28], v[57:58], -v[69:70]
	;; [unrolled: 2-line block ×4, first 2 shown]
	ds_read_b128 v[75:78], v175 offset:256
	ds_read_b128 v[71:74], v175 offset:272
	ds_read_b128 v[59:62], v175 offset:288
	ds_read_b128 v[55:58], v175 offset:304
	ds_write_b128 v177, v[63:66]
	ds_write_b128 v177, v[67:70] offset:1072
	ds_write_b128 v177, v[79:82] offset:2144
	;; [unrolled: 1-line block ×3, first 2 shown]
	s_waitcnt lgkmcnt(0)
	s_barrier
	ds_read_b128 v[147:150], v178
	ds_read_b128 v[143:146], v178 offset:16
	ds_read_b128 v[139:142], v178 offset:32
	;; [unrolled: 1-line block ×3, first 2 shown]
	v_add_co_u32_e64 v83, s[8:9], v228, v196
	v_addc_co_u32_e64 v84, s[8:9], v229, v197, s[8:9]
	s_waitcnt lgkmcnt(0)
	s_barrier
	s_cbranch_vccnz .LBB54_180
; %bb.173:                              ;   in Loop: Header=BB54_148 Depth=1
	v_mov_b32_e32 v67, 0
	v_mov_b32_e32 v63, 0
	;; [unrolled: 1-line block ×6, first 2 shown]
	v_cmp_gt_i32_e32 vcc, s22, v188
	s_and_saveexec_b64 s[8:9], vcc
	s_cbranch_execz .LBB54_175
; %bb.174:                              ;   in Loop: Header=BB54_148 Depth=1
	flat_load_dwordx4 v[63:66], v[83:84]
.LBB54_175:                             ;   in Loop: Header=BB54_148 Depth=1
	s_or_b64 exec, exec, s[8:9]
	v_mov_b32_e32 v69, 0
	v_mov_b32_e32 v70, 0
	v_cmp_gt_i32_e32 vcc, s22, v189
	s_and_saveexec_b64 s[8:9], vcc
	s_cbranch_execz .LBB54_177
; %bb.176:                              ;   in Loop: Header=BB54_148 Depth=1
	v_add_co_u32_e32 v67, vcc, v232, v196
	v_addc_co_u32_e32 v68, vcc, v233, v197, vcc
	flat_load_dwordx4 v[67:70], v[67:68]
.LBB54_177:                             ;   in Loop: Header=BB54_148 Depth=1
	s_or_b64 exec, exec, s[8:9]
	v_mov_b32_e32 v79, 0
	v_mov_b32_e32 v81, 0
	;; [unrolled: 1-line block ×4, first 2 shown]
	v_cmp_gt_i32_e32 vcc, s22, v190
	s_and_saveexec_b64 s[8:9], vcc
	s_cbranch_execz .LBB54_179
; %bb.178:                              ;   in Loop: Header=BB54_148 Depth=1
	v_add_co_u32_e32 v79, vcc, v224, v196
	v_addc_co_u32_e32 v80, vcc, v225, v197, vcc
	flat_load_dwordx4 v[79:82], v[79:80]
.LBB54_179:                             ;   in Loop: Header=BB54_148 Depth=1
	s_or_b64 exec, exec, s[8:9]
	v_cmp_gt_i32_e64 s[8:9], s22, v191
	s_branch .LBB54_182
.LBB54_180:                             ;   in Loop: Header=BB54_148 Depth=1
	s_mov_b64 s[8:9], 0
                                        ; implicit-def: $vgpr81_vgpr82
                                        ; implicit-def: $vgpr69_vgpr70
                                        ; implicit-def: $vgpr65_vgpr66
	s_cbranch_execz .LBB54_182
; %bb.181:                              ;   in Loop: Header=BB54_148 Depth=1
	s_waitcnt vmcnt(0) lgkmcnt(0)
	v_add_co_u32_e32 v67, vcc, v232, v196
	v_addc_co_u32_e32 v68, vcc, v233, v197, vcc
	v_add_co_u32_e32 v79, vcc, v236, v196
	v_addc_co_u32_e32 v80, vcc, v237, v197, vcc
	flat_load_dwordx4 v[63:66], v[83:84]
	s_or_b64 s[8:9], s[8:9], exec
	flat_load_dwordx4 v[67:70], v[67:68]
	s_nop 0
	flat_load_dwordx4 v[79:82], v[79:80]
.LBB54_182:                             ;   in Loop: Header=BB54_148 Depth=1
	v_mov_b32_e32 v83, 0
	v_mov_b32_e32 v85, 0
	;; [unrolled: 1-line block ×4, first 2 shown]
	s_and_saveexec_b64 s[16:17], s[8:9]
	s_cbranch_execz .LBB54_184
; %bb.183:                              ;   in Loop: Header=BB54_148 Depth=1
	v_add_co_u32_e32 v83, vcc, v220, v196
	v_addc_co_u32_e32 v84, vcc, v221, v197, vcc
	flat_load_dwordx4 v[83:86], v[83:84]
.LBB54_184:                             ;   in Loop: Header=BB54_148 Depth=1
	s_or_b64 exec, exec, s[16:17]
	ds_read_b128 v[87:90], v176
	s_and_b64 vcc, exec, s[4:5]
	s_waitcnt vmcnt(0) lgkmcnt(0)
	v_mul_f64 v[91:92], v[65:66], v[89:90]
	v_mul_f64 v[93:94], v[65:66], v[87:88]
	;; [unrolled: 1-line block ×8, first 2 shown]
	v_fma_f64 v[103:104], v[63:64], v[87:88], v[91:92]
	v_fma_f64 v[105:106], v[63:64], v[89:90], -v[93:94]
	v_fma_f64 v[107:108], v[67:68], v[87:88], v[95:96]
	v_fma_f64 v[109:110], v[67:68], v[89:90], -v[97:98]
	;; [unrolled: 2-line block ×4, first 2 shown]
	ds_read_b128 v[99:102], v175 offset:512
	ds_read_b128 v[95:98], v175 offset:528
	;; [unrolled: 1-line block ×4, first 2 shown]
	ds_write_b128 v177, v[103:106]
	ds_write_b128 v177, v[107:110] offset:1072
	ds_write_b128 v177, v[111:114] offset:2144
	ds_write_b128 v177, v[115:118] offset:3216
	s_waitcnt lgkmcnt(0)
	s_barrier
	ds_read_b128 v[163:166], v178
	ds_read_b128 v[159:162], v178 offset:16
	ds_read_b128 v[155:158], v178 offset:32
	;; [unrolled: 1-line block ×3, first 2 shown]
	v_add_co_u32_e64 v115, s[4:5], v208, v196
	v_addc_co_u32_e64 v116, s[4:5], v209, v197, s[4:5]
	s_waitcnt lgkmcnt(0)
	s_barrier
	s_cbranch_vccnz .LBB54_192
; %bb.185:                              ;   in Loop: Header=BB54_148 Depth=1
	v_mov_b32_e32 v107, 0
	v_mov_b32_e32 v103, 0
	;; [unrolled: 1-line block ×6, first 2 shown]
	v_cmp_gt_i32_e32 vcc, s22, v192
	s_and_saveexec_b64 s[4:5], vcc
	s_cbranch_execz .LBB54_187
; %bb.186:                              ;   in Loop: Header=BB54_148 Depth=1
	flat_load_dwordx4 v[103:106], v[115:116]
.LBB54_187:                             ;   in Loop: Header=BB54_148 Depth=1
	s_or_b64 exec, exec, s[4:5]
	v_mov_b32_e32 v109, 0
	v_mov_b32_e32 v110, 0
	v_cmp_gt_i32_e32 vcc, s22, v193
	s_and_saveexec_b64 s[4:5], vcc
	s_cbranch_execz .LBB54_189
; %bb.188:                              ;   in Loop: Header=BB54_148 Depth=1
	v_add_co_u32_e32 v107, vcc, v212, v196
	v_addc_co_u32_e32 v108, vcc, v213, v197, vcc
	flat_load_dwordx4 v[107:110], v[107:108]
.LBB54_189:                             ;   in Loop: Header=BB54_148 Depth=1
	s_or_b64 exec, exec, s[4:5]
	v_mov_b32_e32 v111, 0
	v_mov_b32_e32 v113, 0
	;; [unrolled: 1-line block ×4, first 2 shown]
	v_cmp_gt_i32_e32 vcc, s22, v194
	s_and_saveexec_b64 s[4:5], vcc
	s_cbranch_execz .LBB54_191
; %bb.190:                              ;   in Loop: Header=BB54_148 Depth=1
	v_add_co_u32_e32 v111, vcc, v204, v196
	v_addc_co_u32_e32 v112, vcc, v205, v197, vcc
	flat_load_dwordx4 v[111:114], v[111:112]
.LBB54_191:                             ;   in Loop: Header=BB54_148 Depth=1
	s_or_b64 exec, exec, s[4:5]
	v_cmp_gt_i32_e64 s[4:5], s22, v195
	s_branch .LBB54_194
.LBB54_192:                             ;   in Loop: Header=BB54_148 Depth=1
	s_mov_b64 s[4:5], 0
                                        ; implicit-def: $vgpr113_vgpr114
                                        ; implicit-def: $vgpr109_vgpr110
                                        ; implicit-def: $vgpr105_vgpr106
	s_cbranch_execz .LBB54_194
; %bb.193:                              ;   in Loop: Header=BB54_148 Depth=1
	s_waitcnt vmcnt(0) lgkmcnt(0)
	v_add_co_u32_e32 v107, vcc, v212, v196
	v_addc_co_u32_e32 v108, vcc, v213, v197, vcc
	v_add_co_u32_e32 v111, vcc, v218, v196
	v_addc_co_u32_e32 v112, vcc, v219, v197, vcc
	flat_load_dwordx4 v[103:106], v[115:116]
	s_or_b64 s[4:5], s[4:5], exec
	flat_load_dwordx4 v[107:110], v[107:108]
	s_nop 0
	flat_load_dwordx4 v[111:114], v[111:112]
.LBB54_194:                             ;   in Loop: Header=BB54_148 Depth=1
	v_mov_b32_e32 v115, 0
	v_mov_b32_e32 v117, 0
	;; [unrolled: 1-line block ×4, first 2 shown]
	s_and_saveexec_b64 s[8:9], s[4:5]
	s_cbranch_execz .LBB54_196
; %bb.195:                              ;   in Loop: Header=BB54_148 Depth=1
	v_add_co_u32_e32 v115, vcc, v200, v196
	v_addc_co_u32_e32 v116, vcc, v201, v197, vcc
	flat_load_dwordx4 v[115:118], v[115:116]
.LBB54_196:                             ;   in Loop: Header=BB54_148 Depth=1
	s_or_b64 exec, exec, s[8:9]
	v_add_f64 v[147:148], v[147:148], 0
	v_add_f64 v[149:150], v[149:150], 0
	v_add_f64 v[131:132], v[131:132], 0
	v_add_f64 v[133:134], v[133:134], 0
	v_add_f64 v[163:164], v[163:164], 0
	v_add_f64 v[165:166], v[165:166], 0
	v_cmp_gt_i32_e32 vcc, s22, v0
	s_or_b64 s[4:5], s[14:15], vcc
	v_add_f64 v[143:144], v[147:148], v[143:144]
	v_add_f64 v[145:146], v[149:150], v[145:146]
	;; [unrolled: 1-line block ×6, first 2 shown]
	s_and_b64 s[8:9], s[2:3], s[4:5]
	v_add_f64 v[139:140], v[143:144], v[139:140]
	v_add_f64 v[141:142], v[145:146], v[141:142]
	v_add_f64 v[123:124], v[127:128], v[123:124]
	v_add_f64 v[125:126], v[129:130], v[125:126]
	v_add_f64 v[155:156], v[159:160], v[155:156]
	v_add_f64 v[157:158], v[161:162], v[157:158]
	v_add_f64 v[135:136], v[139:140], v[135:136]
	v_add_f64 v[137:138], v[141:142], v[137:138]
	v_add_f64 v[139:140], v[123:124], v[119:120]
	v_add_f64 v[141:142], v[125:126], v[121:122]
	ds_read_b128 v[143:146], v176
	ds_read_b128 v[131:134], v175 offset:768
	ds_read_b128 v[127:130], v175 offset:784
	;; [unrolled: 1-line block ×4, first 2 shown]
	s_waitcnt vmcnt(0) lgkmcnt(0)
	v_mul_f64 v[147:148], v[105:106], v[145:146]
	v_mul_f64 v[149:150], v[105:106], v[143:144]
	v_add_f64 v[151:152], v[155:156], v[151:152]
	v_add_f64 v[153:154], v[157:158], v[153:154]
	v_fma_f64 v[147:148], v[103:104], v[143:144], v[147:148]
	v_fma_f64 v[149:150], v[103:104], v[145:146], -v[149:150]
	ds_write_b128 v177, v[147:150]
	v_mul_f64 v[147:148], v[109:110], v[145:146]
	v_mul_f64 v[149:150], v[109:110], v[143:144]
	v_fma_f64 v[147:148], v[107:108], v[143:144], v[147:148]
	v_fma_f64 v[149:150], v[107:108], v[145:146], -v[149:150]
	ds_write_b128 v177, v[147:150] offset:1072
	v_mul_f64 v[147:148], v[113:114], v[145:146]
	v_mul_f64 v[149:150], v[113:114], v[143:144]
	v_fma_f64 v[147:148], v[111:112], v[143:144], v[147:148]
	v_fma_f64 v[149:150], v[111:112], v[145:146], -v[149:150]
	ds_write_b128 v177, v[147:150] offset:2144
	v_mul_f64 v[147:148], v[117:118], v[145:146]
	v_fma_f64 v[147:148], v[115:116], v[143:144], v[147:148]
	v_mul_f64 v[143:144], v[117:118], v[143:144]
	v_fma_f64 v[149:150], v[115:116], v[145:146], -v[143:144]
	ds_write_b128 v177, v[147:150] offset:3216
	s_waitcnt lgkmcnt(0)
	s_barrier
	ds_read_b128 v[143:146], v178
	ds_read_b128 v[147:150], v178 offset:16
	ds_read_b128 v[155:158], v178 offset:32
	;; [unrolled: 1-line block ×3, first 2 shown]
	s_waitcnt lgkmcnt(0)
	v_add_f64 v[143:144], v[143:144], 0
	v_add_f64 v[145:146], v[145:146], 0
	s_barrier
	v_add_f64 v[143:144], v[143:144], v[147:148]
	v_add_f64 v[145:146], v[145:146], v[149:150]
	;; [unrolled: 1-line block ×6, first 2 shown]
	ds_write_b128 v238, v[139:142]
	ds_write_b128 v238, v[135:138] offset:256
	ds_write_b128 v238, v[151:154] offset:512
	;; [unrolled: 1-line block ×3, first 2 shown]
	s_waitcnt lgkmcnt(0)
	s_barrier
	s_and_saveexec_b64 s[4:5], s[8:9]
	s_cbranch_execz .LBB54_198
; %bb.197:                              ;   in Loop: Header=BB54_148 Depth=1
	ds_read_b128 v[135:138], v179
	ds_read_b128 v[139:142], v179 offset:16
	v_ashrrev_i32_e32 v169, 31, v168
	s_waitcnt lgkmcnt(0)
	v_add_f64 v[143:144], v[139:140], v[135:136]
	v_add_f64 v[145:146], v[141:142], v[137:138]
	ds_read_b128 v[135:138], v179 offset:32
	ds_read_b128 v[139:142], v179 offset:48
	s_waitcnt lgkmcnt(1)
	v_add_f64 v[135:136], v[143:144], v[135:136]
	v_add_f64 v[137:138], v[145:146], v[137:138]
	s_waitcnt lgkmcnt(0)
	v_add_f64 v[143:144], v[135:136], v[139:140]
	v_add_f64 v[145:146], v[137:138], v[141:142]
	ds_read_b128 v[135:138], v179 offset:64
	ds_read_b128 v[139:142], v179 offset:80
	s_waitcnt lgkmcnt(1)
	v_add_f64 v[135:136], v[143:144], v[135:136]
	v_add_f64 v[137:138], v[145:146], v[137:138]
	;; [unrolled: 8-line block ×6, first 2 shown]
	s_waitcnt lgkmcnt(0)
	v_add_f64 v[143:144], v[135:136], v[139:140]
	v_add_f64 v[145:146], v[137:138], v[141:142]
	ds_read_b128 v[135:138], v179 offset:224
	ds_read_b128 v[139:142], v180
	s_waitcnt lgkmcnt(1)
	v_add_f64 v[135:136], v[143:144], v[135:136]
	v_add_f64 v[137:138], v[145:146], v[137:138]
	s_waitcnt lgkmcnt(0)
	v_add_f64 v[135:136], v[135:136], v[139:140]
	v_add_f64 v[137:138], v[137:138], v[141:142]
	v_lshlrev_b64 v[139:140], 4, v[168:169]
	v_mov_b32_e32 v141, s27
	v_add_co_u32_e32 v139, vcc, s19, v139
	v_addc_co_u32_e32 v140, vcc, v141, v140, vcc
	global_store_dwordx4 v[139:140], v[135:138], off
.LBB54_198:                             ;   in Loop: Header=BB54_148 Depth=1
	s_or_b64 exec, exec, s[4:5]
	v_mul_f64 v[135:136], v[9:10], v[49:50]
	v_mul_f64 v[49:50], v[7:8], v[49:50]
	;; [unrolled: 1-line block ×4, first 2 shown]
	v_add_co_u32_e32 v198, vcc, s12, v198
	s_add_i32 s4, s6, 1
	s_add_i32 s10, s10, s30
	v_fma_f64 v[7:8], v[7:8], v[47:48], -v[135:136]
	v_fma_f64 v[9:10], v[9:10], v[47:48], v[49:50]
	v_mul_f64 v[47:48], v[17:18], v[37:38]
	v_mul_f64 v[37:38], v[15:16], v[37:38]
	v_fma_f64 v[11:12], v[11:12], v[43:44], -v[137:138]
	v_fma_f64 v[13:14], v[13:14], v[43:44], v[45:46]
	v_mul_f64 v[49:50], v[21:22], v[25:26]
	v_mul_f64 v[25:26], v[19:20], v[25:26]
	v_add_f64 v[2:3], v[2:3], v[7:8]
	v_add_f64 v[4:5], v[4:5], v[9:10]
	v_fma_f64 v[15:16], v[15:16], v[35:36], -v[47:48]
	v_fma_f64 v[17:18], v[17:18], v[35:36], v[37:38]
	v_mul_f64 v[7:8], v[33:34], v[77:78]
	v_mul_f64 v[9:10], v[31:32], v[77:78]
	v_fma_f64 v[19:20], v[19:20], v[23:24], -v[49:50]
	v_fma_f64 v[21:22], v[21:22], v[23:24], v[25:26]
	v_add_f64 v[2:3], v[2:3], v[11:12]
	v_add_f64 v[4:5], v[4:5], v[13:14]
	v_mul_f64 v[43:44], v[29:30], v[73:74]
	v_mul_f64 v[45:46], v[27:28], v[73:74]
	v_fma_f64 v[7:8], v[31:32], v[75:76], -v[7:8]
	v_fma_f64 v[9:10], v[33:34], v[75:76], v[9:10]
	v_mul_f64 v[11:12], v[41:42], v[61:62]
	v_mul_f64 v[13:14], v[39:40], v[61:62]
	v_add_f64 v[2:3], v[2:3], v[15:16]
	v_add_f64 v[4:5], v[4:5], v[17:18]
	v_fma_f64 v[27:28], v[27:28], v[71:72], -v[43:44]
	v_fma_f64 v[29:30], v[29:30], v[71:72], v[45:46]
	v_mul_f64 v[35:36], v[53:54], v[57:58]
	v_mul_f64 v[37:38], v[51:52], v[57:58]
	v_fma_f64 v[11:12], v[39:40], v[59:60], -v[11:12]
	v_fma_f64 v[13:14], v[41:42], v[59:60], v[13:14]
	v_add_f64 v[2:3], v[2:3], v[19:20]
	v_add_f64 v[4:5], v[4:5], v[21:22]
	v_mul_f64 v[15:16], v[65:66], v[101:102]
	v_mul_f64 v[17:18], v[63:64], v[101:102]
	v_fma_f64 v[35:36], v[51:52], v[55:56], -v[35:36]
	v_fma_f64 v[37:38], v[53:54], v[55:56], v[37:38]
	v_mul_f64 v[23:24], v[69:70], v[97:98]
	v_mul_f64 v[25:26], v[67:68], v[97:98]
	v_add_f64 v[2:3], v[2:3], v[7:8]
	v_add_f64 v[4:5], v[4:5], v[9:10]
	v_mul_f64 v[19:20], v[81:82], v[93:94]
	v_mul_f64 v[21:22], v[79:80], v[93:94]
	;; [unrolled: 1-line block ×6, first 2 shown]
	v_add_f64 v[2:3], v[2:3], v[27:28]
	v_add_f64 v[4:5], v[4:5], v[29:30]
	v_mul_f64 v[43:44], v[109:110], v[129:130]
	v_mul_f64 v[45:46], v[107:108], v[129:130]
	;; [unrolled: 1-line block ×4, first 2 shown]
	v_fma_f64 v[7:8], v[103:104], v[131:132], -v[7:8]
	v_fma_f64 v[9:10], v[105:106], v[131:132], v[9:10]
	v_add_f64 v[2:3], v[2:3], v[11:12]
	v_add_f64 v[4:5], v[4:5], v[13:14]
	v_fma_f64 v[11:12], v[63:64], v[99:100], -v[15:16]
	v_fma_f64 v[13:14], v[65:66], v[99:100], v[17:18]
	v_fma_f64 v[15:16], v[67:68], v[95:96], -v[23:24]
	v_fma_f64 v[17:18], v[69:70], v[95:96], v[25:26]
	v_mul_f64 v[39:40], v[117:118], v[121:122]
	v_mul_f64 v[41:42], v[115:116], v[121:122]
	v_add_f64 v[2:3], v[2:3], v[35:36]
	v_add_f64 v[4:5], v[4:5], v[37:38]
	v_mov_b32_e32 v35, s13
	v_addc_co_u32_e32 v199, vcc, v199, v35, vcc
	v_add_co_u32_e32 v200, vcc, s12, v200
	v_addc_co_u32_e32 v201, vcc, v201, v35, vcc
	v_add_f64 v[2:3], v[2:3], v[11:12]
	v_add_f64 v[4:5], v[4:5], v[13:14]
	v_fma_f64 v[11:12], v[79:80], v[91:92], -v[19:20]
	v_fma_f64 v[13:14], v[81:82], v[91:92], v[21:22]
	v_add_co_u32_e32 v202, vcc, s12, v202
	v_addc_co_u32_e32 v203, vcc, v203, v35, vcc
	v_add_f64 v[2:3], v[2:3], v[15:16]
	v_add_f64 v[4:5], v[4:5], v[17:18]
	v_fma_f64 v[15:16], v[83:84], v[87:88], -v[31:32]
	v_fma_f64 v[17:18], v[85:86], v[87:88], v[33:34]
	;; [unrolled: 6-line block ×3, first 2 shown]
	v_add_co_u32_e32 v206, vcc, s12, v206
	v_addc_co_u32_e32 v207, vcc, v207, v35, vcc
	v_add_f64 v[2:3], v[2:3], v[15:16]
	v_add_f64 v[4:5], v[4:5], v[17:18]
	v_add_co_u32_e32 v208, vcc, s12, v208
	v_addc_co_u32_e32 v209, vcc, v209, v35, vcc
	v_add_co_u32_e32 v210, vcc, s12, v210
	v_add_f64 v[2:3], v[2:3], v[7:8]
	v_add_f64 v[4:5], v[4:5], v[9:10]
	v_addc_co_u32_e32 v211, vcc, v211, v35, vcc
	v_add_co_u32_e32 v212, vcc, s12, v212
	v_addc_co_u32_e32 v213, vcc, v213, v35, vcc
	v_fma_f64 v[7:8], v[111:112], v[123:124], -v[27:28]
	v_fma_f64 v[9:10], v[113:114], v[123:124], v[29:30]
	v_add_f64 v[2:3], v[2:3], v[11:12]
	v_add_f64 v[4:5], v[4:5], v[13:14]
	v_add_co_u32_e32 v214, vcc, s12, v214
	v_addc_co_u32_e32 v215, vcc, v215, v35, vcc
	v_add_co_u32_e32 v216, vcc, s12, v216
	v_addc_co_u32_e32 v217, vcc, v217, v35, vcc
	;; [unrolled: 2-line block ×4, first 2 shown]
	v_fma_f64 v[11:12], v[115:116], v[119:120], -v[39:40]
	v_fma_f64 v[13:14], v[117:118], v[119:120], v[41:42]
	v_add_f64 v[2:3], v[2:3], v[7:8]
	v_add_f64 v[4:5], v[4:5], v[9:10]
	v_add_co_u32_e32 v222, vcc, s12, v222
	v_addc_co_u32_e32 v223, vcc, v223, v35, vcc
	v_add_co_u32_e32 v224, vcc, s12, v224
	v_addc_co_u32_e32 v225, vcc, v225, v35, vcc
	;; [unrolled: 2-line block ×4, first 2 shown]
	v_add_f64 v[2:3], v[2:3], v[11:12]
	v_add_f64 v[4:5], v[4:5], v[13:14]
	v_add_co_u32_e32 v230, vcc, s12, v230
	v_addc_co_u32_e32 v231, vcc, v231, v35, vcc
	v_add_co_u32_e32 v232, vcc, s12, v232
	v_addc_co_u32_e32 v233, vcc, v233, v35, vcc
	v_add_co_u32_e32 v234, vcc, s12, v234
	v_addc_co_u32_e32 v235, vcc, v235, v35, vcc
	s_add_i32 s5, s6, 2
	v_add_co_u32_e32 v236, vcc, s12, v236
	v_add_u32_e32 v168, 64, v168
	s_cmp_ge_u32 s5, s7
	v_addc_co_u32_e32 v237, vcc, v237, v35, vcc
	s_waitcnt vmcnt(0)
	s_barrier
	s_cbranch_scc0 .LBB54_143
.LBB54_199:
	s_movk_i32 s2, 0x430
	v_cmp_gt_i32_e32 vcc, s18, v0
	v_mad_u32_u24 v1, v1, s2, v170
	s_or_b64 s[2:3], s[20:21], vcc
	s_and_b64 s[0:1], s[0:1], s[2:3]
	ds_write_b128 v1, v[2:5]
	s_waitcnt lgkmcnt(0)
	s_barrier
	s_and_saveexec_b64 s[2:3], s[0:1]
	s_cbranch_execz .LBB54_201
; %bb.200:
	ds_read_b128 v[0:3], v170 offset:1072
	ds_read_b128 v[4:7], v170
	v_ashrrev_i32_e32 v168, 31, v167
	s_waitcnt lgkmcnt(0)
	v_add_f64 v[8:9], v[0:1], v[4:5]
	v_add_f64 v[10:11], v[2:3], v[6:7]
	ds_read_b128 v[0:3], v170 offset:2144
	ds_read_b128 v[4:7], v170 offset:3216
	s_waitcnt lgkmcnt(1)
	v_add_f64 v[0:1], v[8:9], v[0:1]
	v_add_f64 v[2:3], v[10:11], v[2:3]
	s_waitcnt lgkmcnt(0)
	v_add_f64 v[0:1], v[0:1], v[4:5]
	v_add_f64 v[2:3], v[2:3], v[6:7]
	v_lshlrev_b64 v[4:5], 4, v[167:168]
	v_mov_b32_e32 v6, s27
	v_add_co_u32_e32 v4, vcc, s19, v4
	v_addc_co_u32_e32 v5, vcc, v6, v5, vcc
	global_store_dwordx4 v[4:5], v[0:3], off
.LBB54_201:
	s_endpgm
	.section	.rodata,"a",@progbits
	.p2align	6, 0x0
	.amdhsa_kernel _ZL26rocblas_hemvn_kernel_upperILb1ELi64ELi4ELi33ELi32ELi16Ei19rocblas_complex_numIdEPKPKS1_PS1_EviT6_lT7_lT5_lS8_lS9_lS7_lT8_i
		.amdhsa_group_segment_fixed_size 19200
		.amdhsa_private_segment_fixed_size 0
		.amdhsa_kernarg_size 392
		.amdhsa_user_sgpr_count 6
		.amdhsa_user_sgpr_private_segment_buffer 1
		.amdhsa_user_sgpr_dispatch_ptr 0
		.amdhsa_user_sgpr_queue_ptr 0
		.amdhsa_user_sgpr_kernarg_segment_ptr 1
		.amdhsa_user_sgpr_dispatch_id 0
		.amdhsa_user_sgpr_flat_scratch_init 0
		.amdhsa_user_sgpr_private_segment_size 0
		.amdhsa_uses_dynamic_stack 0
		.amdhsa_system_sgpr_private_segment_wavefront_offset 0
		.amdhsa_system_sgpr_workgroup_id_x 1
		.amdhsa_system_sgpr_workgroup_id_y 0
		.amdhsa_system_sgpr_workgroup_id_z 1
		.amdhsa_system_sgpr_workgroup_info 0
		.amdhsa_system_vgpr_workitem_id 1
		.amdhsa_next_free_vgpr 239
		.amdhsa_next_free_sgpr 98
		.amdhsa_reserve_vcc 1
		.amdhsa_reserve_flat_scratch 0
		.amdhsa_float_round_mode_32 0
		.amdhsa_float_round_mode_16_64 0
		.amdhsa_float_denorm_mode_32 3
		.amdhsa_float_denorm_mode_16_64 3
		.amdhsa_dx10_clamp 1
		.amdhsa_ieee_mode 1
		.amdhsa_fp16_overflow 0
		.amdhsa_exception_fp_ieee_invalid_op 0
		.amdhsa_exception_fp_denorm_src 0
		.amdhsa_exception_fp_ieee_div_zero 0
		.amdhsa_exception_fp_ieee_overflow 0
		.amdhsa_exception_fp_ieee_underflow 0
		.amdhsa_exception_fp_ieee_inexact 0
		.amdhsa_exception_int_div_zero 0
	.end_amdhsa_kernel
	.section	.text._ZL26rocblas_hemvn_kernel_upperILb1ELi64ELi4ELi33ELi32ELi16Ei19rocblas_complex_numIdEPKPKS1_PS1_EviT6_lT7_lT5_lS8_lS9_lS7_lT8_i,"axG",@progbits,_ZL26rocblas_hemvn_kernel_upperILb1ELi64ELi4ELi33ELi32ELi16Ei19rocblas_complex_numIdEPKPKS1_PS1_EviT6_lT7_lT5_lS8_lS9_lS7_lT8_i,comdat
.Lfunc_end54:
	.size	_ZL26rocblas_hemvn_kernel_upperILb1ELi64ELi4ELi33ELi32ELi16Ei19rocblas_complex_numIdEPKPKS1_PS1_EviT6_lT7_lT5_lS8_lS9_lS7_lT8_i, .Lfunc_end54-_ZL26rocblas_hemvn_kernel_upperILb1ELi64ELi4ELi33ELi32ELi16Ei19rocblas_complex_numIdEPKPKS1_PS1_EviT6_lT7_lT5_lS8_lS9_lS7_lT8_i
                                        ; -- End function
	.set _ZL26rocblas_hemvn_kernel_upperILb1ELi64ELi4ELi33ELi32ELi16Ei19rocblas_complex_numIdEPKPKS1_PS1_EviT6_lT7_lT5_lS8_lS9_lS7_lT8_i.num_vgpr, 239
	.set _ZL26rocblas_hemvn_kernel_upperILb1ELi64ELi4ELi33ELi32ELi16Ei19rocblas_complex_numIdEPKPKS1_PS1_EviT6_lT7_lT5_lS8_lS9_lS7_lT8_i.num_agpr, 0
	.set _ZL26rocblas_hemvn_kernel_upperILb1ELi64ELi4ELi33ELi32ELi16Ei19rocblas_complex_numIdEPKPKS1_PS1_EviT6_lT7_lT5_lS8_lS9_lS7_lT8_i.numbered_sgpr, 44
	.set _ZL26rocblas_hemvn_kernel_upperILb1ELi64ELi4ELi33ELi32ELi16Ei19rocblas_complex_numIdEPKPKS1_PS1_EviT6_lT7_lT5_lS8_lS9_lS7_lT8_i.num_named_barrier, 0
	.set _ZL26rocblas_hemvn_kernel_upperILb1ELi64ELi4ELi33ELi32ELi16Ei19rocblas_complex_numIdEPKPKS1_PS1_EviT6_lT7_lT5_lS8_lS9_lS7_lT8_i.private_seg_size, 0
	.set _ZL26rocblas_hemvn_kernel_upperILb1ELi64ELi4ELi33ELi32ELi16Ei19rocblas_complex_numIdEPKPKS1_PS1_EviT6_lT7_lT5_lS8_lS9_lS7_lT8_i.uses_vcc, 1
	.set _ZL26rocblas_hemvn_kernel_upperILb1ELi64ELi4ELi33ELi32ELi16Ei19rocblas_complex_numIdEPKPKS1_PS1_EviT6_lT7_lT5_lS8_lS9_lS7_lT8_i.uses_flat_scratch, 0
	.set _ZL26rocblas_hemvn_kernel_upperILb1ELi64ELi4ELi33ELi32ELi16Ei19rocblas_complex_numIdEPKPKS1_PS1_EviT6_lT7_lT5_lS8_lS9_lS7_lT8_i.has_dyn_sized_stack, 0
	.set _ZL26rocblas_hemvn_kernel_upperILb1ELi64ELi4ELi33ELi32ELi16Ei19rocblas_complex_numIdEPKPKS1_PS1_EviT6_lT7_lT5_lS8_lS9_lS7_lT8_i.has_recursion, 0
	.set _ZL26rocblas_hemvn_kernel_upperILb1ELi64ELi4ELi33ELi32ELi16Ei19rocblas_complex_numIdEPKPKS1_PS1_EviT6_lT7_lT5_lS8_lS9_lS7_lT8_i.has_indirect_call, 0
	.section	.AMDGPU.csdata,"",@progbits
; Kernel info:
; codeLenInByte = 11380
; TotalNumSgprs: 48
; NumVgprs: 239
; ScratchSize: 0
; MemoryBound: 1
; FloatMode: 240
; IeeeMode: 1
; LDSByteSize: 19200 bytes/workgroup (compile time only)
; SGPRBlocks: 12
; VGPRBlocks: 59
; NumSGPRsForWavesPerEU: 102
; NumVGPRsForWavesPerEU: 239
; Occupancy: 1
; WaveLimiterHint : 0
; COMPUTE_PGM_RSRC2:SCRATCH_EN: 0
; COMPUTE_PGM_RSRC2:USER_SGPR: 6
; COMPUTE_PGM_RSRC2:TRAP_HANDLER: 0
; COMPUTE_PGM_RSRC2:TGID_X_EN: 1
; COMPUTE_PGM_RSRC2:TGID_Y_EN: 0
; COMPUTE_PGM_RSRC2:TGID_Z_EN: 1
; COMPUTE_PGM_RSRC2:TIDIG_COMP_CNT: 1
	.section	.text._ZL36rocblas_hemvn_kernel_upper_block_sumILi64Ei19rocblas_complex_numIdEPKPS1_S1_EviT1_lS5_lT2_lT0_lPT3_i,"axG",@progbits,_ZL36rocblas_hemvn_kernel_upper_block_sumILi64Ei19rocblas_complex_numIdEPKPS1_S1_EviT1_lS5_lT2_lT0_lPT3_i,comdat
	.globl	_ZL36rocblas_hemvn_kernel_upper_block_sumILi64Ei19rocblas_complex_numIdEPKPS1_S1_EviT1_lS5_lT2_lT0_lPT3_i ; -- Begin function _ZL36rocblas_hemvn_kernel_upper_block_sumILi64Ei19rocblas_complex_numIdEPKPS1_S1_EviT1_lS5_lT2_lT0_lPT3_i
	.p2align	8
	.type	_ZL36rocblas_hemvn_kernel_upper_block_sumILi64Ei19rocblas_complex_numIdEPKPS1_S1_EviT1_lS5_lT2_lT0_lPT3_i,@function
_ZL36rocblas_hemvn_kernel_upper_block_sumILi64Ei19rocblas_complex_numIdEPKPS1_S1_EviT1_lS5_lT2_lT0_lPT3_i: ; @_ZL36rocblas_hemvn_kernel_upper_block_sumILi64Ei19rocblas_complex_numIdEPKPS1_S1_EviT1_lS5_lT2_lT0_lPT3_i
; %bb.0:
	s_load_dwordx4 s[12:15], s[4:5], 0x8
	s_load_dwordx4 s[8:11], s[4:5], 0x20
	s_mov_b32 s16, s7
	s_waitcnt lgkmcnt(0)
	v_cmp_neq_f64_e64 s[0:1], s[12:13], 0
	v_cmp_neq_f64_e64 s[2:3], s[14:15], 0
	s_or_b64 s[0:1], s[0:1], s[2:3]
	s_mov_b64 s[2:3], -1
	s_and_b64 vcc, exec, s[0:1]
	s_cbranch_vccnz .LBB55_2
; %bb.1:
	v_cmp_neq_f64_e64 s[2:3], s[8:9], 1.0
	v_cmp_neq_f64_e64 s[18:19], s[10:11], 0
	s_or_b64 s[2:3], s[2:3], s[18:19]
.LBB55_2:
	s_andn2_b64 vcc, exec, s[2:3]
	s_cbranch_vccnz .LBB55_22
; %bb.3:
	s_xor_b64 s[20:21], s[0:1], -1
	s_load_dwordx4 s[0:3], s[4:5], 0x38
	s_load_dword s24, s[4:5], 0x48
	s_load_dword s18, s[4:5], 0x0
	s_mov_b32 s17, 0
	s_lshl_b64 s[22:23], s[16:17], 3
	s_waitcnt lgkmcnt(0)
	s_add_u32 s0, s0, s22
	s_addc_u32 s1, s1, s23
	s_load_dwordx2 s[0:1], s[0:1], 0x0
	s_lshl_b64 s[2:3], s[2:3], 4
	v_lshl_or_b32 v4, s6, 6, v0
	s_waitcnt lgkmcnt(0)
	s_add_u32 s7, s0, s2
	s_addc_u32 s17, s1, s3
	s_andn2_b64 vcc, exec, s[20:21]
	v_cmp_gt_i32_e64 s[0:1], s18, v4
	s_cbranch_vccnz .LBB55_8
; %bb.4:
	s_mov_b64 s[20:21], 0
	s_mov_b64 s[2:3], 0
                                        ; implicit-def: $vgpr2_vgpr3
                                        ; implicit-def: $vgpr5_vgpr6
	s_and_saveexec_b64 s[22:23], s[0:1]
	s_cbranch_execz .LBB55_9
; %bb.5:
	v_cmp_neq_f64_e64 s[0:1], s[8:9], 0
	v_cmp_neq_f64_e64 s[2:3], s[10:11], 0
	v_mul_lo_u32 v5, s24, v4
	v_mov_b32_e32 v2, 0
	v_mov_b32_e32 v0, 0
	;; [unrolled: 1-line block ×4, first 2 shown]
	v_ashrrev_i32_e32 v6, 31, v5
	s_or_b64 s[0:1], s[0:1], s[2:3]
	s_andn2_b64 vcc, exec, s[0:1]
	s_cbranch_vccnz .LBB55_7
; %bb.6:
	v_lshlrev_b64 v[0:1], 4, v[5:6]
	v_mov_b32_e32 v2, s17
	v_add_co_u32_e32 v0, vcc, s7, v0
	v_addc_co_u32_e32 v1, vcc, v2, v1, vcc
	flat_load_dwordx4 v[7:10], v[0:1]
	s_waitcnt vmcnt(0) lgkmcnt(0)
	v_mul_f64 v[0:1], s[10:11], v[9:10]
	v_mul_f64 v[2:3], s[8:9], v[9:10]
	v_fma_f64 v[0:1], s[8:9], v[7:8], -v[0:1]
	v_fma_f64 v[2:3], s[10:11], v[7:8], v[2:3]
.LBB55_7:
	s_mov_b64 s[2:3], exec
	s_or_b64 exec, exec, s[22:23]
	s_and_b64 vcc, exec, s[20:21]
	s_cbranch_vccnz .LBB55_10
	s_branch .LBB55_20
.LBB55_8:
	s_mov_b64 s[2:3], 0
                                        ; implicit-def: $vgpr2_vgpr3
                                        ; implicit-def: $vgpr5_vgpr6
	s_cbranch_execnz .LBB55_10
	s_branch .LBB55_20
.LBB55_9:
	s_or_b64 exec, exec, s[22:23]
	s_and_b64 vcc, exec, s[20:21]
	s_cbranch_vccz .LBB55_20
.LBB55_10:
	v_cmp_gt_i32_e32 vcc, s18, v4
                                        ; implicit-def: $vgpr2_vgpr3
                                        ; implicit-def: $vgpr5_vgpr6
	s_and_saveexec_b64 s[0:1], vcc
	s_cbranch_execz .LBB55_19
; %bb.11:
	v_mov_b32_e32 v0, 0
	v_mov_b32_e32 v2, 0
	;; [unrolled: 1-line block ×3, first 2 shown]
	s_cmp_lt_i32 s6, 0
	v_mov_b32_e32 v3, 0
	s_cbranch_scc1 .LBB55_14
; %bb.12:
	s_load_dwordx2 s[20:21], s[4:5], 0x58
	s_load_dword s22, s[4:5], 0x68
	s_ashr_i32 s19, s18, 31
	s_mul_hi_u32 s4, s18, s16
	s_mul_i32 s5, s19, s16
	s_add_i32 s4, s4, s5
	s_mul_i32 s16, s18, s16
	s_waitcnt lgkmcnt(0)
	s_mul_i32 s4, s4, s22
	s_mul_hi_u32 s5, s16, s22
	s_add_i32 s5, s5, s4
	s_mul_i32 s4, s16, s22
	v_mov_b32_e32 v5, 0
	s_add_i32 s6, s6, 1
	s_lshl_b64 s[4:5], s[4:5], 4
	v_lshlrev_b64 v[0:1], 4, v[4:5]
	s_add_u32 s4, s20, s4
	s_addc_u32 s5, s21, s5
	v_mov_b32_e32 v2, s5
	v_add_co_u32_e32 v0, vcc, s4, v0
	v_addc_co_u32_e32 v1, vcc, v2, v1, vcc
	v_add_co_u32_e32 v5, vcc, 8, v0
	v_addc_co_u32_e32 v6, vcc, 0, v1, vcc
	s_lshl_b64 s[4:5], s[18:19], 4
	v_mov_b32_e32 v0, 0
	v_mov_b32_e32 v2, 0
	;; [unrolled: 1-line block ×5, first 2 shown]
.LBB55_13:                              ; =>This Inner Loop Header: Depth=1
	global_load_dwordx4 v[8:11], v[5:6], off offset:-8
	s_add_i32 s6, s6, -1
	v_add_co_u32_e32 v5, vcc, s4, v5
	s_cmp_eq_u32 s6, 0
	v_addc_co_u32_e32 v6, vcc, v6, v7, vcc
	s_waitcnt vmcnt(0)
	v_add_f64 v[2:3], v[2:3], v[8:9]
	v_add_f64 v[0:1], v[0:1], v[10:11]
	s_cbranch_scc0 .LBB55_13
.LBB55_14:
	v_mul_f64 v[5:6], s[14:15], v[0:1]
	v_mul_f64 v[7:8], s[12:13], v[0:1]
	v_cmp_neq_f64_e64 s[18:19], s[8:9], 0
	v_cmp_neq_f64_e64 s[20:21], s[10:11], 0
	s_mov_b64 s[4:5], 0
	v_fma_f64 v[0:1], s[12:13], v[2:3], -v[5:6]
	v_fma_f64 v[2:3], s[14:15], v[2:3], v[7:8]
	v_mul_lo_u32 v5, s24, v4
	s_or_b64 s[12:13], s[18:19], s[20:21]
	s_andn2_b64 vcc, exec, s[12:13]
	v_ashrrev_i32_e32 v6, 31, v5
	s_cbranch_vccnz .LBB55_16
; %bb.15:
	s_mov_b64 s[4:5], -1
.LBB55_16:
	s_andn2_b64 vcc, exec, s[4:5]
	s_cbranch_vccnz .LBB55_18
; %bb.17:
	v_lshlrev_b64 v[7:8], 4, v[5:6]
	v_mov_b32_e32 v4, s17
	v_add_co_u32_e32 v7, vcc, s7, v7
	v_addc_co_u32_e32 v8, vcc, v4, v8, vcc
	flat_load_dwordx4 v[7:10], v[7:8]
	s_waitcnt vmcnt(0) lgkmcnt(0)
	v_mul_f64 v[11:12], s[10:11], v[9:10]
	v_mul_f64 v[9:10], s[8:9], v[9:10]
	v_fma_f64 v[11:12], s[8:9], v[7:8], -v[11:12]
	v_fma_f64 v[7:8], s[10:11], v[7:8], v[9:10]
	v_add_f64 v[0:1], v[0:1], v[11:12]
	v_add_f64 v[2:3], v[2:3], v[7:8]
.LBB55_18:
	s_or_b64 s[2:3], s[2:3], exec
.LBB55_19:
	s_or_b64 exec, exec, s[0:1]
.LBB55_20:
	s_and_saveexec_b64 s[0:1], s[2:3]
	s_cbranch_execz .LBB55_22
; %bb.21:
	v_lshlrev_b64 v[4:5], 4, v[5:6]
	v_mov_b32_e32 v6, s17
	v_add_co_u32_e32 v4, vcc, s7, v4
	v_addc_co_u32_e32 v5, vcc, v6, v5, vcc
	flat_store_dwordx4 v[4:5], v[0:3]
.LBB55_22:
	s_endpgm
	.section	.rodata,"a",@progbits
	.p2align	6, 0x0
	.amdhsa_kernel _ZL36rocblas_hemvn_kernel_upper_block_sumILi64Ei19rocblas_complex_numIdEPKPS1_S1_EviT1_lS5_lT2_lT0_lPT3_i
		.amdhsa_group_segment_fixed_size 0
		.amdhsa_private_segment_fixed_size 0
		.amdhsa_kernarg_size 360
		.amdhsa_user_sgpr_count 6
		.amdhsa_user_sgpr_private_segment_buffer 1
		.amdhsa_user_sgpr_dispatch_ptr 0
		.amdhsa_user_sgpr_queue_ptr 0
		.amdhsa_user_sgpr_kernarg_segment_ptr 1
		.amdhsa_user_sgpr_dispatch_id 0
		.amdhsa_user_sgpr_flat_scratch_init 0
		.amdhsa_user_sgpr_private_segment_size 0
		.amdhsa_uses_dynamic_stack 0
		.amdhsa_system_sgpr_private_segment_wavefront_offset 0
		.amdhsa_system_sgpr_workgroup_id_x 1
		.amdhsa_system_sgpr_workgroup_id_y 0
		.amdhsa_system_sgpr_workgroup_id_z 1
		.amdhsa_system_sgpr_workgroup_info 0
		.amdhsa_system_vgpr_workitem_id 0
		.amdhsa_next_free_vgpr 13
		.amdhsa_next_free_sgpr 25
		.amdhsa_reserve_vcc 1
		.amdhsa_reserve_flat_scratch 0
		.amdhsa_float_round_mode_32 0
		.amdhsa_float_round_mode_16_64 0
		.amdhsa_float_denorm_mode_32 3
		.amdhsa_float_denorm_mode_16_64 3
		.amdhsa_dx10_clamp 1
		.amdhsa_ieee_mode 1
		.amdhsa_fp16_overflow 0
		.amdhsa_exception_fp_ieee_invalid_op 0
		.amdhsa_exception_fp_denorm_src 0
		.amdhsa_exception_fp_ieee_div_zero 0
		.amdhsa_exception_fp_ieee_overflow 0
		.amdhsa_exception_fp_ieee_underflow 0
		.amdhsa_exception_fp_ieee_inexact 0
		.amdhsa_exception_int_div_zero 0
	.end_amdhsa_kernel
	.section	.text._ZL36rocblas_hemvn_kernel_upper_block_sumILi64Ei19rocblas_complex_numIdEPKPS1_S1_EviT1_lS5_lT2_lT0_lPT3_i,"axG",@progbits,_ZL36rocblas_hemvn_kernel_upper_block_sumILi64Ei19rocblas_complex_numIdEPKPS1_S1_EviT1_lS5_lT2_lT0_lPT3_i,comdat
.Lfunc_end55:
	.size	_ZL36rocblas_hemvn_kernel_upper_block_sumILi64Ei19rocblas_complex_numIdEPKPS1_S1_EviT1_lS5_lT2_lT0_lPT3_i, .Lfunc_end55-_ZL36rocblas_hemvn_kernel_upper_block_sumILi64Ei19rocblas_complex_numIdEPKPS1_S1_EviT1_lS5_lT2_lT0_lPT3_i
                                        ; -- End function
	.set _ZL36rocblas_hemvn_kernel_upper_block_sumILi64Ei19rocblas_complex_numIdEPKPS1_S1_EviT1_lS5_lT2_lT0_lPT3_i.num_vgpr, 13
	.set _ZL36rocblas_hemvn_kernel_upper_block_sumILi64Ei19rocblas_complex_numIdEPKPS1_S1_EviT1_lS5_lT2_lT0_lPT3_i.num_agpr, 0
	.set _ZL36rocblas_hemvn_kernel_upper_block_sumILi64Ei19rocblas_complex_numIdEPKPS1_S1_EviT1_lS5_lT2_lT0_lPT3_i.numbered_sgpr, 25
	.set _ZL36rocblas_hemvn_kernel_upper_block_sumILi64Ei19rocblas_complex_numIdEPKPS1_S1_EviT1_lS5_lT2_lT0_lPT3_i.num_named_barrier, 0
	.set _ZL36rocblas_hemvn_kernel_upper_block_sumILi64Ei19rocblas_complex_numIdEPKPS1_S1_EviT1_lS5_lT2_lT0_lPT3_i.private_seg_size, 0
	.set _ZL36rocblas_hemvn_kernel_upper_block_sumILi64Ei19rocblas_complex_numIdEPKPS1_S1_EviT1_lS5_lT2_lT0_lPT3_i.uses_vcc, 1
	.set _ZL36rocblas_hemvn_kernel_upper_block_sumILi64Ei19rocblas_complex_numIdEPKPS1_S1_EviT1_lS5_lT2_lT0_lPT3_i.uses_flat_scratch, 0
	.set _ZL36rocblas_hemvn_kernel_upper_block_sumILi64Ei19rocblas_complex_numIdEPKPS1_S1_EviT1_lS5_lT2_lT0_lPT3_i.has_dyn_sized_stack, 0
	.set _ZL36rocblas_hemvn_kernel_upper_block_sumILi64Ei19rocblas_complex_numIdEPKPS1_S1_EviT1_lS5_lT2_lT0_lPT3_i.has_recursion, 0
	.set _ZL36rocblas_hemvn_kernel_upper_block_sumILi64Ei19rocblas_complex_numIdEPKPS1_S1_EviT1_lS5_lT2_lT0_lPT3_i.has_indirect_call, 0
	.section	.AMDGPU.csdata,"",@progbits
; Kernel info:
; codeLenInByte = 788
; TotalNumSgprs: 29
; NumVgprs: 13
; ScratchSize: 0
; MemoryBound: 0
; FloatMode: 240
; IeeeMode: 1
; LDSByteSize: 0 bytes/workgroup (compile time only)
; SGPRBlocks: 3
; VGPRBlocks: 3
; NumSGPRsForWavesPerEU: 29
; NumVGPRsForWavesPerEU: 13
; Occupancy: 10
; WaveLimiterHint : 1
; COMPUTE_PGM_RSRC2:SCRATCH_EN: 0
; COMPUTE_PGM_RSRC2:USER_SGPR: 6
; COMPUTE_PGM_RSRC2:TRAP_HANDLER: 0
; COMPUTE_PGM_RSRC2:TGID_X_EN: 1
; COMPUTE_PGM_RSRC2:TGID_Y_EN: 0
; COMPUTE_PGM_RSRC2:TGID_Z_EN: 1
; COMPUTE_PGM_RSRC2:TIDIG_COMP_CNT: 0
	.section	.text._ZL26rocblas_hemvn_kernel_lowerILb1ELi64ELi4ELi33ELi32ELi16ElPK19rocblas_complex_numIdEPKS3_PS1_EviT6_lT7_lT5_lS8_lS9_lS7_lT8_i,"axG",@progbits,_ZL26rocblas_hemvn_kernel_lowerILb1ELi64ELi4ELi33ELi32ELi16ElPK19rocblas_complex_numIdEPKS3_PS1_EviT6_lT7_lT5_lS8_lS9_lS7_lT8_i,comdat
	.globl	_ZL26rocblas_hemvn_kernel_lowerILb1ELi64ELi4ELi33ELi32ELi16ElPK19rocblas_complex_numIdEPKS3_PS1_EviT6_lT7_lT5_lS8_lS9_lS7_lT8_i ; -- Begin function _ZL26rocblas_hemvn_kernel_lowerILb1ELi64ELi4ELi33ELi32ELi16ElPK19rocblas_complex_numIdEPKS3_PS1_EviT6_lT7_lT5_lS8_lS9_lS7_lT8_i
	.p2align	8
	.type	_ZL26rocblas_hemvn_kernel_lowerILb1ELi64ELi4ELi33ELi32ELi16ElPK19rocblas_complex_numIdEPKS3_PS1_EviT6_lT7_lT5_lS8_lS9_lS7_lT8_i,@function
_ZL26rocblas_hemvn_kernel_lowerILb1ELi64ELi4ELi33ELi32ELi16ElPK19rocblas_complex_numIdEPKS3_PS1_EviT6_lT7_lT5_lS8_lS9_lS7_lT8_i: ; @_ZL26rocblas_hemvn_kernel_lowerILb1ELi64ELi4ELi33ELi32ELi16ElPK19rocblas_complex_numIdEPKS3_PS1_EviT6_lT7_lT5_lS8_lS9_lS7_lT8_i
; %bb.0:
	s_load_dwordx2 s[0:1], s[4:5], 0x84
	s_add_u32 s16, s4, 0x78
	s_addc_u32 s17, s5, 0
	s_waitcnt lgkmcnt(0)
	s_lshr_b32 s2, s0, 16
	s_and_b32 s0, s0, 0xffff
	s_and_b32 s1, s1, 0xffff
	s_mul_i32 s0, s2, s0
	s_mul_i32 s0, s0, s1
	s_cmpk_lg_i32 s0, 0x100
	s_cbranch_scc1 .LBB56_150
; %bb.1:
	s_load_dwordx8 s[8:15], s[4:5], 0x8
	s_mov_b32 s22, s7
	s_mov_b32 s23, 0
	s_waitcnt lgkmcnt(0)
	s_mul_i32 s1, s11, s7
	s_mul_hi_u32 s2, s10, s7
	s_mul_i32 s0, s10, s7
	s_add_i32 s1, s2, s1
	s_lshl_b64 s[0:1], s[0:1], 4
	s_add_u32 s8, s8, s0
	s_addc_u32 s9, s9, s1
	s_load_dwordx4 s[0:3], s[8:9], 0x0
	s_waitcnt lgkmcnt(0)
	v_cmp_neq_f64_e64 s[8:9], s[0:1], 0
	v_cmp_neq_f64_e64 s[10:11], s[2:3], 0
	s_load_dwordx2 s[26:27], s[4:5], 0x68
	s_load_dwordx4 s[0:3], s[4:5], 0x58
	s_or_b64 s[10:11], s[8:9], s[10:11]
	s_mov_b64 s[8:9], -1
	s_and_b64 vcc, exec, s[10:11]
	s_cbranch_vccnz .LBB56_3
; %bb.2:
	s_waitcnt lgkmcnt(0)
	s_mul_i32 s3, s3, s22
	s_mul_hi_u32 s7, s2, s22
	s_add_i32 s3, s7, s3
	s_mul_i32 s2, s2, s22
	s_lshl_b64 s[2:3], s[2:3], 4
	s_add_u32 s8, s0, s2
	s_addc_u32 s9, s1, s3
	s_load_dwordx4 s[0:3], s[8:9], 0x0
	s_mov_b64 s[8:9], 0
	s_waitcnt lgkmcnt(0)
	v_cmp_eq_f64_e64 s[0:1], s[0:1], 1.0
	v_cmp_eq_f64_e64 s[2:3], s[2:3], 0
	s_and_b64 s[0:1], s[0:1], s[2:3]
	s_andn2_b64 vcc, exec, s[0:1]
.LBB56_3:
	s_andn2_b64 vcc, exec, s[8:9]
	s_cbranch_vccnz .LBB56_150
; %bb.4:
	s_load_dword s7, s[16:17], 0x0
	s_waitcnt lgkmcnt(0)
	s_load_dwordx4 s[0:3], s[4:5], 0x38
	s_load_dwordx2 s[20:21], s[4:5], 0x48
	s_lshl_b64 s[8:9], s[22:23], 3
	s_add_u32 s10, s12, s8
	s_addc_u32 s11, s13, s9
	s_waitcnt lgkmcnt(0)
	s_add_u32 s0, s0, s8
	s_addc_u32 s1, s1, s9
	s_load_dwordx2 s[12:13], s[0:1], 0x0
	s_load_dwordx2 s[24:25], s[4:5], 0x28
	s_load_dword s23, s[4:5], 0x0
	s_load_dwordx2 s[8:9], s[10:11], 0x0
	s_lshl_b64 s[0:1], s[2:3], 4
	s_waitcnt lgkmcnt(0)
	s_add_u32 s2, s12, s0
	s_addc_u32 s3, s13, s1
	s_lshl_b32 s30, s6, 6
	s_ashr_i32 s33, s23, 31
	s_lshr_b32 s0, s33, 26
	v_add_u32_e32 v142, s30, v0
	s_add_i32 s0, s23, s0
	v_ashrrev_i32_e32 v143, 31, v142
	s_and_b32 s5, s0, 0xffffffc0
	v_mul_lo_u32 v4, s20, v143
	v_mul_lo_u32 v5, s21, v142
	v_mad_u64_u32 v[2:3], s[0:1], s20, v142, 0
	s_add_i32 s4, s7, -1
	s_sub_i32 s0, s23, s5
	v_add3_u32 v3, v3, v4, v5
	v_lshlrev_b64 v[2:3], 4, v[2:3]
	s_cmp_eq_u32 s6, s4
	v_mov_b32_e32 v4, s3
	v_add_co_u32_e32 v38, vcc, s2, v2
	s_cselect_b32 s28, s0, 0
	v_addc_co_u32_e32 v39, vcc, v4, v3, vcc
	v_cmp_ne_u32_e64 s[0:1], 0, v1
	v_cmp_eq_u32_e64 s[2:3], 0, v1
	s_and_saveexec_b64 s[4:5], s[2:3]
	s_cbranch_execz .LBB56_9
; %bb.5:
	s_cmp_lg_u32 s28, 0
	s_cselect_b64 s[10:11], -1, 0
	v_cmp_le_i32_e32 vcc, s28, v0
	v_mov_b32_e32 v2, 0x4700
	s_and_b64 s[10:11], s[10:11], vcc
	v_lshl_add_u32 v2, v0, 4, v2
	s_and_saveexec_b64 s[12:13], s[10:11]
	s_xor_b64 s[10:11], exec, s[12:13]
; %bb.6:
	v_mov_b32_e32 v3, 0
	v_mov_b32_e32 v4, v3
	;; [unrolled: 1-line block ×4, first 2 shown]
	ds_write_b128 v2, v[3:6]
                                        ; implicit-def: $vgpr2
; %bb.7:
	s_andn2_saveexec_b64 s[10:11], s[10:11]
	s_cbranch_execz .LBB56_9
; %bb.8:
	flat_load_dwordx4 v[3:6], v[38:39]
	s_waitcnt vmcnt(0) lgkmcnt(0)
	ds_write2_b64 v2, v[3:4], v[5:6] offset1:1
.LBB56_9:
	s_or_b64 exec, exec, s[4:5]
	v_lshl_add_u32 v44, v1, 6, v0
	v_and_b32_e32 v10, 31, v0
	v_lshrrev_b32_e32 v13, 5, v44
	v_mov_b32_e32 v11, 0
	v_mad_u64_u32 v[2:3], s[10:11], s24, v13, v[10:11]
	s_lshl_b64 s[4:5], s[14:15], 4
	s_add_u32 s8, s8, s4
	s_addc_u32 s9, s9, s5
	v_mad_u64_u32 v[3:4], s[4:5], s25, v13, v[3:4]
	s_ashr_i32 s31, s30, 31
	s_lshl_b64 s[4:5], s[30:31], 4
	s_add_u32 s4, s8, s4
	v_lshlrev_b64 v[40:41], 4, v[2:3]
	s_addc_u32 s5, s9, s5
	v_mov_b32_e32 v2, s5
	v_add_co_u32_e32 v3, vcc, s4, v40
	s_mul_hi_u32 s4, s24, s30
	s_mul_i32 s5, s24, s31
	s_add_i32 s4, s4, s5
	s_mul_i32 s5, s25, s30
	s_add_i32 s5, s4, s5
	s_mul_i32 s4, s24, s30
	v_addc_co_u32_e32 v2, vcc, v2, v41, vcc
	s_lshl_b64 s[34:35], s[4:5], 4
	v_mov_b32_e32 v4, s35
	v_add_co_u32_e32 v6, vcc, s34, v3
	s_cmp_lg_u32 s28, 0
	v_addc_co_u32_e32 v7, vcc, v2, v4, vcc
	s_cselect_b64 s[36:37], -1, 0
	s_cmp_eq_u32 s28, 0
	s_cselect_b64 s[16:17], -1, 0
	s_mov_b64 s[4:5], -1
	s_and_b64 vcc, exec, s[36:37]
	s_cbranch_vccnz .LBB56_11
; %bb.10:
	flat_load_dwordx4 v[2:5], v[6:7]
	v_mul_u32_u24_e32 v8, 0x210, v13
	s_lshl_b64 s[4:5], s[24:25], 7
	v_lshl_add_u32 v11, v10, 4, v8
	v_mov_b32_e32 v12, s5
	v_add_co_u32_e32 v8, vcc, s4, v6
	v_addc_co_u32_e32 v9, vcc, v7, v12, vcc
	v_add_u32_e32 v14, 0x1080, v11
	s_waitcnt vmcnt(0) lgkmcnt(0)
	ds_write2_b64 v11, v[2:3], v[4:5] offset1:1
	flat_load_dwordx4 v[2:5], v[8:9]
	v_add_co_u32_e32 v8, vcc, s4, v8
	v_addc_co_u32_e32 v9, vcc, v9, v12, vcc
	s_waitcnt vmcnt(0) lgkmcnt(0)
	ds_write2_b64 v14, v[2:3], v[4:5] offset1:1
	flat_load_dwordx4 v[2:5], v[8:9]
	v_add_u32_e32 v14, 0x2100, v11
	v_add_co_u32_e32 v8, vcc, s4, v8
	v_addc_co_u32_e32 v9, vcc, v9, v12, vcc
	s_mov_b64 s[4:5], 0
	s_waitcnt vmcnt(0) lgkmcnt(0)
	ds_write2_b64 v14, v[2:3], v[4:5] offset1:1
	flat_load_dwordx4 v[2:5], v[8:9]
	v_add_u32_e32 v8, 0x3180, v11
	s_waitcnt vmcnt(0) lgkmcnt(0)
	ds_write2_b64 v8, v[2:3], v[4:5] offset1:1
.LBB56_11:
	s_andn2_b64 vcc, exec, s[4:5]
	v_lshlrev_b32_e32 v14, 4, v10
	s_cbranch_vccnz .LBB56_29
; %bb.12:
	v_lshlrev_b32_e32 v4, 4, v10
	v_sub_co_u32_e32 v2, vcc, v6, v4
	s_ashr_i32 s29, s28, 31
	v_subbrev_co_u32_e32 v3, vcc, 0, v7, vcc
	s_lshl_b64 s[8:9], s[28:29], 4
	v_mov_b32_e32 v5, s9
	v_add_co_u32_e32 v2, vcc, s8, v2
	v_addc_co_u32_e32 v3, vcc, v3, v5, vcc
	v_add_co_u32_e32 v2, vcc, -16, v2
	v_addc_co_u32_e32 v3, vcc, -1, v3, vcc
	v_cmp_gt_i32_e32 vcc, s28, v10
	s_movk_i32 s10, 0x210
	v_cndmask_b32_e32 v3, v3, v7, vcc
	v_cndmask_b32_e32 v2, v2, v6, vcc
	v_cmp_le_i32_e64 s[4:5], s28, v13
	v_mad_u32_u24 v5, v13, s10, v14
	s_and_saveexec_b64 s[10:11], s[4:5]
	s_xor_b64 s[4:5], exec, s[10:11]
; %bb.13:
	v_mov_b32_e32 v15, 0
	v_mov_b32_e32 v16, v15
	v_mov_b32_e32 v17, v15
	v_mov_b32_e32 v18, v15
	ds_write_b128 v5, v[15:18]
                                        ; implicit-def: $vgpr5
; %bb.14:
	s_andn2_saveexec_b64 s[4:5], s[4:5]
	s_cbranch_execz .LBB56_16
; %bb.15:
	flat_load_dwordx4 v[15:18], v[2:3]
	s_waitcnt vmcnt(0) lgkmcnt(0)
	ds_write2_b64 v5, v[15:16], v[17:18] offset1:1
.LBB56_16:
	s_or_b64 exec, exec, s[4:5]
	v_add_u32_e32 v8, 8, v13
	v_mul_u32_u24_e32 v5, 0x210, v13
	v_cmp_le_i32_e64 s[4:5], s28, v8
	s_and_saveexec_b64 s[10:11], s[4:5]
	s_xor_b64 s[4:5], exec, s[10:11]
	s_cbranch_execz .LBB56_18
; %bb.17:
	v_mov_b32_e32 v15, 0
	v_add_u32_e32 v8, v5, v14
	v_mov_b32_e32 v16, v15
	v_mov_b32_e32 v17, v15
	v_mov_b32_e32 v18, v15
	ds_write_b128 v8, v[15:18] offset:4224
.LBB56_18:
	s_andn2_saveexec_b64 s[10:11], s[4:5]
	s_cbranch_execz .LBB56_20
; %bb.19:
	s_lshl_b64 s[4:5], s[24:25], 7
	v_mov_b32_e32 v9, s5
	v_add_co_u32_e64 v8, s[4:5], s4, v2
	v_addc_co_u32_e64 v9, s[4:5], v3, v9, s[4:5]
	flat_load_dwordx4 v[15:18], v[8:9]
	s_movk_i32 s4, 0x1080
	v_add3_u32 v8, v5, v14, s4
	s_waitcnt vmcnt(0) lgkmcnt(0)
	ds_write2_b64 v8, v[15:16], v[17:18] offset1:1
.LBB56_20:
	s_or_b64 exec, exec, s[10:11]
	v_add_u32_e32 v8, 16, v13
	v_cmp_le_i32_e64 s[4:5], s28, v8
	s_and_saveexec_b64 s[10:11], s[4:5]
	s_xor_b64 s[4:5], exec, s[10:11]
	s_cbranch_execz .LBB56_22
; %bb.21:
	v_mov_b32_e32 v15, 0
	v_add_u32_e32 v8, v5, v14
	v_mov_b32_e32 v16, v15
	v_mov_b32_e32 v17, v15
	;; [unrolled: 1-line block ×3, first 2 shown]
	ds_write_b128 v8, v[15:18] offset:8448
.LBB56_22:
	s_andn2_saveexec_b64 s[10:11], s[4:5]
	s_cbranch_execz .LBB56_24
; %bb.23:
	s_lshl_b64 s[4:5], s[24:25], 8
	v_mov_b32_e32 v9, s5
	v_add_co_u32_e64 v8, s[4:5], s4, v2
	v_addc_co_u32_e64 v9, s[4:5], v3, v9, s[4:5]
	flat_load_dwordx4 v[15:18], v[8:9]
	s_movk_i32 s4, 0x2100
	v_add3_u32 v8, v5, v14, s4
	s_waitcnt vmcnt(0) lgkmcnt(0)
	ds_write2_b64 v8, v[15:16], v[17:18] offset1:1
.LBB56_24:
	s_or_b64 exec, exec, s[10:11]
	v_add_u32_e32 v8, 24, v13
	v_cmp_le_i32_e64 s[4:5], s28, v8
	s_and_saveexec_b64 s[10:11], s[4:5]
	s_xor_b64 s[4:5], exec, s[10:11]
	s_cbranch_execz .LBB56_26
; %bb.25:
	v_mov_b32_e32 v15, 0
	v_add_u32_e32 v5, v5, v14
	v_mov_b32_e32 v16, v15
	v_mov_b32_e32 v17, v15
	;; [unrolled: 1-line block ×3, first 2 shown]
	ds_write_b128 v5, v[15:18] offset:12672
                                        ; implicit-def: $vgpr5
.LBB56_26:
	s_andn2_saveexec_b64 s[4:5], s[4:5]
	s_cbranch_execz .LBB56_28
; %bb.27:
	v_mov_b32_e32 v8, 0x180
	v_mad_u64_u32 v[8:9], s[10:11], s24, v8, v[2:3]
	s_mul_i32 s10, s25, 0x180
	v_add_u32_e32 v9, s10, v9
	flat_load_dwordx4 v[15:18], v[8:9]
	s_movk_i32 s10, 0x3180
	v_add3_u32 v5, v5, v14, s10
	s_waitcnt vmcnt(0) lgkmcnt(0)
	ds_write2_b64 v5, v[15:16], v[17:18] offset1:1
.LBB56_28:
	s_or_b64 exec, exec, s[4:5]
	v_add_co_u32_e64 v2, s[4:5], v2, v4
	v_addc_co_u32_e64 v3, s[4:5], 0, v3, s[4:5]
	v_mov_b32_e32 v4, s9
	v_subrev_co_u32_e64 v2, s[4:5], s8, v2
	v_subb_co_u32_e64 v3, s[4:5], v3, v4, s[4:5]
	v_add_co_u32_e64 v2, s[4:5], 16, v2
	v_addc_co_u32_e64 v3, s[4:5], 0, v3, s[4:5]
	v_cndmask_b32_e32 v7, v3, v7, vcc
	v_cndmask_b32_e32 v6, v2, v6, vcc
.LBB56_29:
	v_lshlrev_b32_e32 v15, 2, v13
	v_mul_u32_u24_e32 v17, 0x210, v10
	v_cmp_ge_u32_e64 s[18:19], v15, v10
	s_mov_b64 s[4:5], 0
	s_waitcnt lgkmcnt(0)
	s_barrier
                                        ; implicit-def: $vgpr9
	s_and_saveexec_b64 s[8:9], s[18:19]
	s_xor_b64 s[8:9], exec, s[8:9]
	s_cbranch_execz .LBB56_33
; %bb.30:
	v_cmp_eq_u32_e32 vcc, v15, v10
                                        ; implicit-def: $vgpr9
	s_and_saveexec_b64 s[10:11], vcc
	s_xor_b64 s[10:11], exec, s[10:11]
; %bb.31:
	s_mov_b64 s[4:5], exec
	v_add_u32_e32 v9, v14, v17
; %bb.32:
	s_or_b64 exec, exec, s[10:11]
	s_and_b64 s[4:5], s[4:5], exec
.LBB56_33:
	s_or_saveexec_b64 s[8:9], s[8:9]
	v_mov_b32_e32 v4, 0
	v_mov_b32_e32 v5, 0
	v_lshl_or_b32 v8, v10, 9, v14
	s_xor_b64 exec, exec, s[8:9]
	s_cbranch_execz .LBB56_35
; %bb.34:
	s_movk_i32 s10, 0x840
	v_mad_u32_u24 v2, v13, s10, v14
	ds_read_b128 v[2:5], v2
	v_lshl_add_u32 v9, v15, 4, v8
	s_or_b64 s[4:5], s[4:5], exec
	s_waitcnt lgkmcnt(0)
	v_xor_b32_e32 v5, 0x80000000, v5
	ds_write_b64 v9, v[2:3]
.LBB56_35:
	s_or_b64 exec, exec, s[8:9]
	s_and_saveexec_b64 s[8:9], s[4:5]
; %bb.36:
	ds_write_b64 v9, v[4:5] offset:8
; %bb.37:
	s_or_b64 exec, exec, s[8:9]
	v_or_b32_e32 v19, 1, v15
	v_cmp_ge_u32_e64 s[8:9], v19, v10
	s_mov_b64 s[4:5], 0
                                        ; implicit-def: $vgpr9
	s_and_saveexec_b64 s[10:11], s[8:9]
	s_xor_b64 s[10:11], exec, s[10:11]
	s_cbranch_execz .LBB56_41
; %bb.38:
	v_cmp_eq_u32_e32 vcc, v19, v10
                                        ; implicit-def: $vgpr9
	s_and_saveexec_b64 s[12:13], vcc
; %bb.39:
	s_mov_b64 s[4:5], exec
	v_add_u32_e32 v9, v14, v17
; %bb.40:
	s_or_b64 exec, exec, s[12:13]
	s_and_b64 s[4:5], s[4:5], exec
.LBB56_41:
	s_or_saveexec_b64 s[10:11], s[10:11]
	v_mov_b32_e32 v4, 0
	v_mov_b32_e32 v5, 0
	s_xor_b64 exec, exec, s[10:11]
	s_cbranch_execz .LBB56_43
; %bb.42:
	s_movk_i32 s12, 0x210
	v_mad_u32_u24 v2, v19, s12, v14
	ds_read_b128 v[2:5], v2
	v_lshl_add_u32 v11, v15, 4, v8
	v_add_u32_e32 v9, 16, v11
	s_or_b64 s[4:5], s[4:5], exec
	s_waitcnt lgkmcnt(0)
	v_xor_b32_e32 v5, 0x80000000, v5
	ds_write_b64 v11, v[2:3] offset:16
.LBB56_43:
	s_or_b64 exec, exec, s[10:11]
	s_and_saveexec_b64 s[10:11], s[4:5]
; %bb.44:
	ds_write_b64 v9, v[4:5] offset:8
; %bb.45:
	s_or_b64 exec, exec, s[10:11]
	v_or_b32_e32 v20, 2, v15
	v_cmp_ge_u32_e64 s[10:11], v20, v10
	s_mov_b64 s[4:5], 0
                                        ; implicit-def: $vgpr9
	s_and_saveexec_b64 s[12:13], s[10:11]
	s_xor_b64 s[12:13], exec, s[12:13]
	s_cbranch_execz .LBB56_49
; %bb.46:
	v_cmp_eq_u32_e32 vcc, v20, v10
                                        ; implicit-def: $vgpr9
	s_and_saveexec_b64 s[14:15], vcc
; %bb.47:
	s_mov_b64 s[4:5], exec
	v_add_u32_e32 v9, v14, v17
; %bb.48:
	s_or_b64 exec, exec, s[14:15]
	s_and_b64 s[4:5], s[4:5], exec
.LBB56_49:
	s_or_saveexec_b64 s[12:13], s[12:13]
	v_mov_b32_e32 v4, 0
	v_mov_b32_e32 v5, 0
	s_xor_b64 exec, exec, s[12:13]
	s_cbranch_execz .LBB56_51
; %bb.50:
	s_movk_i32 s14, 0x210
	v_mad_u32_u24 v2, v20, s14, v14
	ds_read_b128 v[2:5], v2
	v_lshl_add_u32 v11, v15, 4, v8
	v_add_u32_e32 v9, 32, v11
	s_or_b64 s[4:5], s[4:5], exec
	s_waitcnt lgkmcnt(0)
	v_xor_b32_e32 v5, 0x80000000, v5
	ds_write_b64 v11, v[2:3] offset:32
.LBB56_51:
	s_or_b64 exec, exec, s[12:13]
	s_and_saveexec_b64 s[12:13], s[4:5]
; %bb.52:
	ds_write_b64 v9, v[4:5] offset:8
; %bb.53:
	s_or_b64 exec, exec, s[12:13]
	v_or_b32_e32 v21, 3, v15
	v_cmp_ge_u32_e64 s[12:13], v21, v10
	s_mov_b64 s[4:5], 0
                                        ; implicit-def: $vgpr9
	s_and_saveexec_b64 s[14:15], s[12:13]
	s_xor_b64 s[14:15], exec, s[14:15]
	s_cbranch_execz .LBB56_57
; %bb.54:
	v_cmp_eq_u32_e32 vcc, v21, v10
                                        ; implicit-def: $vgpr9
	s_and_saveexec_b64 s[38:39], vcc
; %bb.55:
	s_mov_b64 s[4:5], exec
	v_add_u32_e32 v9, v14, v17
; %bb.56:
	s_or_b64 exec, exec, s[38:39]
	s_and_b64 s[4:5], s[4:5], exec
                                        ; implicit-def: $vgpr8
.LBB56_57:
	s_or_saveexec_b64 s[14:15], s[14:15]
	v_mov_b32_e32 v4, 0
	v_mov_b32_e32 v5, 0
	s_xor_b64 exec, exec, s[14:15]
	s_cbranch_execz .LBB56_59
; %bb.58:
	s_movk_i32 s29, 0x210
	v_mad_u32_u24 v2, v21, s29, v14
	ds_read_b128 v[2:5], v2
	v_lshl_add_u32 v8, v15, 4, v8
	v_add_u32_e32 v9, 48, v8
	s_or_b64 s[4:5], s[4:5], exec
	s_waitcnt lgkmcnt(0)
	v_xor_b32_e32 v5, 0x80000000, v5
	ds_write_b64 v8, v[2:3] offset:48
.LBB56_59:
	s_or_b64 exec, exec, s[14:15]
	s_and_saveexec_b64 s[14:15], s[4:5]
; %bb.60:
	ds_write_b64 v9, v[4:5] offset:8
; %bb.61:
	s_or_b64 exec, exec, s[14:15]
	s_movk_i32 s4, 0x840
	v_lshlrev_b32_e32 v8, 4, v15
	s_waitcnt lgkmcnt(0)
	s_barrier
	v_mad_u32_u24 v9, v13, s4, v14
	ds_read_b128 v[2:5], v8 offset:18176
	ds_read_b128 v[22:25], v9
	ds_read_b128 v[26:29], v8 offset:18192
	s_movk_i32 s29, 0x210
	v_mad_u32_u24 v9, v19, s29, v14
	ds_read_b128 v[30:33], v9
	ds_read_b128 v[34:37], v8 offset:18208
	s_waitcnt lgkmcnt(3)
	v_mul_f64 v[11:12], v[4:5], v[24:25]
	v_mul_f64 v[24:25], v[2:3], v[24:25]
	ds_read_b128 v[45:48], v9 offset:528
	s_waitcnt lgkmcnt(2)
	v_mul_f64 v[42:43], v[28:29], v[32:33]
	v_mul_f64 v[32:33], v[26:27], v[32:33]
	v_cmp_gt_u32_e64 s[4:5], 32, v44
	v_fma_f64 v[11:12], v[2:3], v[22:23], -v[11:12]
	v_fma_f64 v[49:50], v[4:5], v[22:23], v[24:25]
	ds_read_b128 v[2:5], v8 offset:18224
	ds_read_b128 v[22:25], v9 offset:1056
	v_fma_f64 v[26:27], v[26:27], v[30:31], -v[42:43]
	s_waitcnt lgkmcnt(2)
	v_mul_f64 v[42:43], v[36:37], v[47:48]
	v_fma_f64 v[28:29], v[28:29], v[30:31], v[32:33]
	v_mul_f64 v[30:31], v[34:35], v[47:48]
	s_waitcnt lgkmcnt(0)
	v_mul_f64 v[47:48], v[4:5], v[24:25]
	v_add_f64 v[11:12], v[11:12], 0
	v_add_f64 v[32:33], v[49:50], 0
	v_mul_f64 v[24:25], v[2:3], v[24:25]
	v_mul_u32_u24_e32 v9, 33, v10
	v_fma_f64 v[34:35], v[34:35], v[45:46], -v[42:43]
	s_barrier
	v_add_f64 v[11:12], v[11:12], v[26:27]
	v_fma_f64 v[26:27], v[36:37], v[45:46], v[30:31]
	v_add_f64 v[28:29], v[32:33], v[28:29]
	v_fma_f64 v[30:31], v[2:3], v[22:23], -v[47:48]
	v_fma_f64 v[4:5], v[4:5], v[22:23], v[24:25]
	v_mov_b32_e32 v2, 0
	v_lshlrev_b32_e32 v45, 4, v9
	v_mov_b32_e32 v3, 0
	v_add_f64 v[11:12], v[11:12], v[34:35]
	v_lshl_add_u32 v46, v13, 4, v45
	v_add_f64 v[24:25], v[28:29], v[26:27]
	v_add_f64 v[22:23], v[11:12], v[30:31]
	;; [unrolled: 1-line block ×3, first 2 shown]
	v_mov_b32_e32 v4, 0
	v_mov_b32_e32 v5, 0
	ds_write_b128 v46, v[22:25]
	s_waitcnt lgkmcnt(0)
	s_barrier
	s_and_saveexec_b64 s[14:15], s[4:5]
	s_cbranch_execz .LBB56_63
; %bb.62:
	ds_read_b128 v[2:5], v45
	ds_read_b128 v[22:25], v45 offset:16
	s_waitcnt lgkmcnt(0)
	v_add_f64 v[11:12], v[22:23], v[2:3]
	v_add_f64 v[26:27], v[24:25], v[4:5]
	ds_read_b128 v[2:5], v45 offset:32
	ds_read_b128 v[22:25], v45 offset:48
	s_waitcnt lgkmcnt(1)
	v_add_f64 v[2:3], v[11:12], v[2:3]
	v_add_f64 v[4:5], v[26:27], v[4:5]
	s_waitcnt lgkmcnt(0)
	v_add_f64 v[11:12], v[2:3], v[22:23]
	v_add_f64 v[26:27], v[4:5], v[24:25]
	ds_read_b128 v[2:5], v45 offset:64
	ds_read_b128 v[22:25], v45 offset:80
	s_waitcnt lgkmcnt(1)
	v_add_f64 v[2:3], v[11:12], v[2:3]
	v_add_f64 v[4:5], v[26:27], v[4:5]
	;; [unrolled: 8-line block ×3, first 2 shown]
	s_waitcnt lgkmcnt(0)
	v_add_f64 v[2:3], v[2:3], v[22:23]
	v_add_f64 v[4:5], v[4:5], v[24:25]
.LBB56_63:
	s_or_b64 exec, exec, s[14:15]
	s_lshl_b64 s[14:15], s[24:25], 9
	v_mov_b32_e32 v9, s15
	v_add_co_u32_e32 v6, vcc, s14, v6
	v_addc_co_u32_e32 v7, vcc, v7, v9, vcc
	v_add_co_u32_e32 v11, vcc, 0x200, v6
	v_addc_co_u32_e32 v12, vcc, 0, v7, vcc
	v_cndmask_b32_e64 v9, 0, 1, s[16:17]
	v_mad_u32_u24 v16, v13, s29, v14
	v_cmp_ne_u32_e64 s[14:15], 1, v9
	s_andn2_b64 vcc, exec, s[16:17]
	s_mov_b64 s[16:17], -1
	s_barrier
	s_cbranch_vccnz .LBB56_65
; %bb.64:
	flat_load_dwordx4 v[22:25], v[11:12]
	s_lshl_b64 s[16:17], s[24:25], 7
	v_mov_b32_e32 v9, s17
	v_add_co_u32_e32 v26, vcc, s16, v6
	v_addc_co_u32_e32 v27, vcc, v7, v9, vcc
	v_add_u32_e32 v18, 0x1080, v16
	s_waitcnt vmcnt(0) lgkmcnt(0)
	ds_write2_b64 v16, v[22:23], v[24:25] offset1:1
	flat_load_dwordx4 v[22:25], v[26:27] offset:512
	v_add_co_u32_e32 v26, vcc, s16, v26
	v_addc_co_u32_e32 v27, vcc, v27, v9, vcc
	s_waitcnt vmcnt(0) lgkmcnt(0)
	ds_write2_b64 v18, v[22:23], v[24:25] offset1:1
	flat_load_dwordx4 v[22:25], v[26:27] offset:512
	v_add_u32_e32 v18, 0x2100, v16
	v_add_co_u32_e32 v26, vcc, s16, v26
	v_addc_co_u32_e32 v27, vcc, v27, v9, vcc
	v_add_u32_e32 v9, 0x3180, v16
	s_mov_b64 s[16:17], 0
	s_waitcnt vmcnt(0) lgkmcnt(0)
	ds_write2_b64 v18, v[22:23], v[24:25] offset1:1
	flat_load_dwordx4 v[22:25], v[26:27] offset:512
	s_waitcnt vmcnt(0) lgkmcnt(0)
	ds_write2_b64 v9, v[22:23], v[24:25] offset1:1
.LBB56_65:
	s_andn2_b64 vcc, exec, s[16:17]
	s_cbranch_vccnz .LBB56_83
; %bb.66:
	v_lshlrev_b32_e32 v9, 4, v10
	v_sub_co_u32_e32 v6, vcc, v6, v9
	s_ashr_i32 s29, s28, 31
	v_subbrev_co_u32_e32 v7, vcc, 0, v7, vcc
	s_lshl_b64 s[38:39], s[28:29], 4
	v_mov_b32_e32 v22, s39
	v_add_co_u32_e32 v6, vcc, s38, v6
	v_addc_co_u32_e32 v7, vcc, v7, v22, vcc
	v_or_b32_e32 v18, 32, v10
	v_add_co_u32_e32 v6, vcc, -16, v6
	v_addc_co_u32_e32 v7, vcc, -1, v7, vcc
	v_cmp_gt_i32_e64 s[16:17], s28, v18
	s_sub_i32 s29, s28, 32
	v_cndmask_b32_e64 v7, v7, v12, s[16:17]
	v_cndmask_b32_e64 v6, v6, v11, s[16:17]
	v_cmp_le_i32_e32 vcc, s29, v13
	s_and_saveexec_b64 s[40:41], vcc
	s_xor_b64 s[40:41], exec, s[40:41]
; %bb.67:
	v_mov_b32_e32 v22, 0
	v_mov_b32_e32 v23, v22
	;; [unrolled: 1-line block ×4, first 2 shown]
	ds_write_b128 v16, v[22:25]
; %bb.68:
	s_andn2_saveexec_b64 s[40:41], s[40:41]
	s_cbranch_execz .LBB56_70
; %bb.69:
	flat_load_dwordx4 v[22:25], v[6:7]
	s_waitcnt vmcnt(0) lgkmcnt(0)
	ds_write2_b64 v16, v[22:23], v[24:25] offset1:1
.LBB56_70:
	s_or_b64 exec, exec, s[40:41]
	v_add_u32_e32 v22, 8, v13
	v_mul_u32_u24_e32 v18, 0x210, v13
	v_cmp_le_i32_e32 vcc, s29, v22
	s_and_saveexec_b64 s[40:41], vcc
	s_xor_b64 s[40:41], exec, s[40:41]
	s_cbranch_execz .LBB56_72
; %bb.71:
	v_mov_b32_e32 v22, 0
	v_add_u32_e32 v26, v18, v14
	v_mov_b32_e32 v23, v22
	v_mov_b32_e32 v24, v22
	;; [unrolled: 1-line block ×3, first 2 shown]
	ds_write_b128 v26, v[22:25] offset:4224
.LBB56_72:
	s_andn2_saveexec_b64 s[40:41], s[40:41]
	s_cbranch_execz .LBB56_74
; %bb.73:
	s_lshl_b64 s[42:43], s[24:25], 7
	v_mov_b32_e32 v23, s43
	v_add_co_u32_e32 v22, vcc, s42, v6
	v_addc_co_u32_e32 v23, vcc, v7, v23, vcc
	flat_load_dwordx4 v[22:25], v[22:23]
	s_movk_i32 s42, 0x1080
	v_add3_u32 v26, v18, v14, s42
	s_waitcnt vmcnt(0) lgkmcnt(0)
	ds_write2_b64 v26, v[22:23], v[24:25] offset1:1
.LBB56_74:
	s_or_b64 exec, exec, s[40:41]
	v_add_u32_e32 v22, 16, v13
	v_cmp_le_i32_e32 vcc, s29, v22
	s_and_saveexec_b64 s[40:41], vcc
	s_xor_b64 s[40:41], exec, s[40:41]
	s_cbranch_execz .LBB56_76
; %bb.75:
	v_mov_b32_e32 v22, 0
	v_add_u32_e32 v26, v18, v14
	v_mov_b32_e32 v23, v22
	v_mov_b32_e32 v24, v22
	;; [unrolled: 1-line block ×3, first 2 shown]
	ds_write_b128 v26, v[22:25] offset:8448
.LBB56_76:
	s_andn2_saveexec_b64 s[40:41], s[40:41]
	s_cbranch_execz .LBB56_78
; %bb.77:
	s_lshl_b64 s[42:43], s[24:25], 8
	v_mov_b32_e32 v23, s43
	v_add_co_u32_e32 v22, vcc, s42, v6
	v_addc_co_u32_e32 v23, vcc, v7, v23, vcc
	flat_load_dwordx4 v[22:25], v[22:23]
	s_movk_i32 s42, 0x2100
	v_add3_u32 v26, v18, v14, s42
	s_waitcnt vmcnt(0) lgkmcnt(0)
	ds_write2_b64 v26, v[22:23], v[24:25] offset1:1
.LBB56_78:
	s_or_b64 exec, exec, s[40:41]
	v_add_u32_e32 v22, 24, v13
	v_cmp_le_i32_e32 vcc, s29, v22
	s_and_saveexec_b64 s[40:41], vcc
	s_xor_b64 s[40:41], exec, s[40:41]
	s_cbranch_execz .LBB56_80
; %bb.79:
	v_mov_b32_e32 v22, 0
	v_add_u32_e32 v18, v18, v14
	v_mov_b32_e32 v23, v22
	v_mov_b32_e32 v24, v22
	;; [unrolled: 1-line block ×3, first 2 shown]
	ds_write_b128 v18, v[22:25] offset:12672
                                        ; implicit-def: $vgpr18
.LBB56_80:
	s_andn2_saveexec_b64 s[40:41], s[40:41]
	s_cbranch_execz .LBB56_82
; %bb.81:
	v_mov_b32_e32 v22, 0x180
	v_mad_u64_u32 v[22:23], s[42:43], s24, v22, v[6:7]
	s_mul_i32 s29, s25, 0x180
	v_add_u32_e32 v23, s29, v23
	flat_load_dwordx4 v[22:25], v[22:23]
	s_movk_i32 s29, 0x3180
	v_add3_u32 v18, v18, v14, s29
	s_waitcnt vmcnt(0) lgkmcnt(0)
	ds_write2_b64 v18, v[22:23], v[24:25] offset1:1
.LBB56_82:
	s_or_b64 exec, exec, s[40:41]
	v_add_co_u32_e32 v6, vcc, v6, v9
	v_addc_co_u32_e32 v7, vcc, 0, v7, vcc
	v_mov_b32_e32 v9, s39
	v_subrev_co_u32_e32 v6, vcc, s38, v6
	v_subb_co_u32_e32 v7, vcc, v7, v9, vcc
	v_add_co_u32_e32 v6, vcc, 0x210, v6
	v_addc_co_u32_e32 v7, vcc, 0, v7, vcc
	v_cndmask_b32_e64 v12, v7, v12, s[16:17]
	v_cndmask_b32_e64 v11, v6, v11, s[16:17]
.LBB56_83:
	v_mul_u32_u24_e32 v6, 0x840, v13
	v_add_u32_e32 v18, 0x4700, v8
	v_mul_u32_u24_e32 v23, 0x210, v19
	s_lshl_b64 s[16:17], s[24:25], 5
	s_mov_b64 s[38:39], 0
	s_waitcnt lgkmcnt(0)
	s_barrier
                                        ; implicit-def: $vgpr24
	s_and_saveexec_b64 s[40:41], s[18:19]
	s_xor_b64 s[18:19], exec, s[40:41]
	s_cbranch_execz .LBB56_87
; %bb.84:
	v_cmp_eq_u32_e32 vcc, v15, v10
                                        ; implicit-def: $vgpr24
	s_and_saveexec_b64 s[40:41], vcc
	s_xor_b64 s[40:41], exec, s[40:41]
; %bb.85:
	s_mov_b64 s[38:39], exec
	v_add_u32_e32 v24, v14, v17
; %bb.86:
	s_or_b64 exec, exec, s[40:41]
	s_and_b64 s[38:39], s[38:39], exec
.LBB56_87:
	s_or_saveexec_b64 s[18:19], s[18:19]
	v_mov_b32_e32 v8, 0
	v_mov_b32_e32 v9, 0
	v_add_u32_e32 v22, v14, v6
	s_xor_b64 exec, exec, s[18:19]
	s_cbranch_execz .LBB56_89
; %bb.88:
	ds_read_b128 v[6:9], v22
	v_lshl_add_u32 v24, v15, 4, v45
	s_or_b64 s[38:39], s[38:39], exec
	s_waitcnt lgkmcnt(0)
	v_xor_b32_e32 v9, 0x80000000, v9
	ds_write_b64 v24, v[6:7]
.LBB56_89:
	s_or_b64 exec, exec, s[18:19]
	s_and_saveexec_b64 s[18:19], s[38:39]
; %bb.90:
	ds_write_b64 v24, v[8:9] offset:8
; %bb.91:
	s_or_b64 exec, exec, s[18:19]
	s_mov_b64 s[18:19], 0
                                        ; implicit-def: $vgpr24
	s_and_saveexec_b64 s[38:39], s[8:9]
	s_xor_b64 s[8:9], exec, s[38:39]
	s_cbranch_execz .LBB56_95
; %bb.92:
	v_cmp_eq_u32_e32 vcc, v19, v10
                                        ; implicit-def: $vgpr24
	s_and_saveexec_b64 s[38:39], vcc
; %bb.93:
	s_mov_b64 s[18:19], exec
	v_add_u32_e32 v24, v14, v17
; %bb.94:
	s_or_b64 exec, exec, s[38:39]
	s_and_b64 s[18:19], s[18:19], exec
.LBB56_95:
	s_or_saveexec_b64 s[8:9], s[8:9]
	v_mov_b32_e32 v8, 0
	v_mov_b32_e32 v9, 0
	v_add_u32_e32 v19, v14, v23
	s_xor_b64 exec, exec, s[8:9]
	s_cbranch_execz .LBB56_97
; %bb.96:
	ds_read_b128 v[6:9], v19
	v_lshl_add_u32 v23, v15, 4, v45
	v_add_u32_e32 v24, 16, v23
	s_or_b64 s[18:19], s[18:19], exec
	s_waitcnt lgkmcnt(0)
	v_xor_b32_e32 v9, 0x80000000, v9
	ds_write_b64 v23, v[6:7] offset:16
.LBB56_97:
	s_or_b64 exec, exec, s[8:9]
	s_and_saveexec_b64 s[8:9], s[18:19]
; %bb.98:
	ds_write_b64 v24, v[8:9] offset:8
; %bb.99:
	s_or_b64 exec, exec, s[8:9]
	s_mov_b64 s[8:9], 0
                                        ; implicit-def: $vgpr23
	s_and_saveexec_b64 s[18:19], s[10:11]
	s_xor_b64 s[10:11], exec, s[18:19]
	s_cbranch_execz .LBB56_103
; %bb.100:
	v_cmp_eq_u32_e32 vcc, v20, v10
                                        ; implicit-def: $vgpr23
	s_and_saveexec_b64 s[18:19], vcc
; %bb.101:
	s_mov_b64 s[8:9], exec
	v_add_u32_e32 v23, v14, v17
; %bb.102:
	s_or_b64 exec, exec, s[18:19]
	s_and_b64 s[8:9], s[8:9], exec
.LBB56_103:
	s_or_saveexec_b64 s[10:11], s[10:11]
	v_mov_b32_e32 v8, 0
	v_mov_b32_e32 v9, 0
	s_xor_b64 exec, exec, s[10:11]
	s_cbranch_execz .LBB56_105
; %bb.104:
	ds_read_b128 v[6:9], v19 offset:528
	v_lshl_add_u32 v20, v15, 4, v45
	v_add_u32_e32 v23, 32, v20
	s_or_b64 s[8:9], s[8:9], exec
	s_waitcnt lgkmcnt(0)
	v_xor_b32_e32 v9, 0x80000000, v9
	ds_write_b64 v20, v[6:7] offset:32
.LBB56_105:
	s_or_b64 exec, exec, s[10:11]
	s_and_saveexec_b64 s[10:11], s[8:9]
; %bb.106:
	ds_write_b64 v23, v[8:9] offset:8
; %bb.107:
	s_or_b64 exec, exec, s[10:11]
	s_mov_b64 s[8:9], 0
                                        ; implicit-def: $vgpr20
	s_and_saveexec_b64 s[10:11], s[12:13]
	s_xor_b64 s[10:11], exec, s[10:11]
	s_cbranch_execz .LBB56_111
; %bb.108:
	v_cmp_eq_u32_e32 vcc, v21, v10
                                        ; implicit-def: $vgpr20
	s_and_saveexec_b64 s[12:13], vcc
; %bb.109:
	s_mov_b64 s[8:9], exec
	v_add_u32_e32 v20, v14, v17
; %bb.110:
	s_or_b64 exec, exec, s[12:13]
	s_and_b64 s[8:9], s[8:9], exec
.LBB56_111:
	s_or_saveexec_b64 s[10:11], s[10:11]
	v_mov_b32_e32 v8, 0
	v_mov_b32_e32 v9, 0
	s_xor_b64 exec, exec, s[10:11]
	s_cbranch_execz .LBB56_113
; %bb.112:
	ds_read_b128 v[6:9], v19 offset:1056
	v_lshl_add_u32 v17, v15, 4, v45
	v_add_u32_e32 v20, 48, v17
	s_or_b64 s[8:9], s[8:9], exec
	s_waitcnt lgkmcnt(0)
	v_xor_b32_e32 v9, 0x80000000, v9
	ds_write_b64 v17, v[6:7] offset:48
.LBB56_113:
	s_or_b64 exec, exec, s[10:11]
	s_and_saveexec_b64 s[10:11], s[8:9]
; %bb.114:
	ds_write_b64 v20, v[8:9] offset:8
; %bb.115:
	s_or_b64 exec, exec, s[10:11]
	s_waitcnt lgkmcnt(0)
	s_barrier
	ds_read_b128 v[6:9], v22
	ds_read_b128 v[20:23], v18 offset:512
	ds_read_b128 v[24:27], v18 offset:528
	;; [unrolled: 1-line block ×3, first 2 shown]
	ds_read_b128 v[32:35], v19
	ds_read_b128 v[47:50], v18 offset:544
	ds_read_b128 v[51:54], v19 offset:528
	v_cmp_eq_u32_e64 s[10:11], 1, v13
	s_waitcnt lgkmcnt(5)
	v_mul_f64 v[36:37], v[22:23], v[8:9]
	v_mul_f64 v[8:9], v[20:21], v[8:9]
	s_waitcnt lgkmcnt(2)
	v_mul_f64 v[42:43], v[26:27], v[34:35]
	v_mul_f64 v[34:35], v[24:25], v[34:35]
	v_fma_f64 v[19:20], v[20:21], v[6:7], -v[36:37]
	v_fma_f64 v[21:22], v[22:23], v[6:7], v[8:9]
	s_waitcnt lgkmcnt(0)
	v_mul_f64 v[36:37], v[49:50], v[53:54]
	v_mul_f64 v[53:54], v[47:48], v[53:54]
	v_fma_f64 v[23:24], v[24:25], v[32:33], -v[42:43]
	v_fma_f64 v[25:26], v[26:27], v[32:33], v[34:35]
	ds_read_b128 v[6:9], v18 offset:560
	s_waitcnt lgkmcnt(0)
	v_add_f64 v[19:20], v[19:20], 0
	v_add_f64 v[21:22], v[21:22], 0
	v_fma_f64 v[34:35], v[47:48], v[51:52], -v[36:37]
	v_mul_f64 v[32:33], v[8:9], v[30:31]
	v_mul_f64 v[30:31], v[6:7], v[30:31]
	v_fma_f64 v[36:37], v[49:50], v[51:52], v[53:54]
	s_barrier
	v_add_f64 v[19:20], v[19:20], v[23:24]
	v_add_f64 v[21:22], v[21:22], v[25:26]
	v_fma_f64 v[6:7], v[6:7], v[28:29], -v[32:33]
	v_fma_f64 v[8:9], v[8:9], v[28:29], v[30:31]
	v_add_f64 v[19:20], v[19:20], v[34:35]
	v_add_f64 v[21:22], v[21:22], v[36:37]
	;; [unrolled: 1-line block ×4, first 2 shown]
	ds_write_b128 v46, v[6:9]
	s_waitcnt lgkmcnt(0)
	s_barrier
	s_and_saveexec_b64 s[8:9], s[10:11]
	s_cbranch_execz .LBB56_117
; %bb.116:
	ds_read_b128 v[2:5], v45
	ds_read_b128 v[6:9], v45 offset:16
	s_waitcnt lgkmcnt(0)
	v_add_f64 v[19:20], v[6:7], v[2:3]
	v_add_f64 v[21:22], v[8:9], v[4:5]
	ds_read_b128 v[2:5], v45 offset:32
	ds_read_b128 v[6:9], v45 offset:48
	s_waitcnt lgkmcnt(1)
	v_add_f64 v[2:3], v[19:20], v[2:3]
	v_add_f64 v[4:5], v[21:22], v[4:5]
	s_waitcnt lgkmcnt(0)
	v_add_f64 v[19:20], v[2:3], v[6:7]
	v_add_f64 v[21:22], v[4:5], v[8:9]
	ds_read_b128 v[2:5], v45 offset:64
	ds_read_b128 v[6:9], v45 offset:80
	s_waitcnt lgkmcnt(1)
	v_add_f64 v[2:3], v[19:20], v[2:3]
	v_add_f64 v[4:5], v[21:22], v[4:5]
	;; [unrolled: 8-line block ×3, first 2 shown]
	s_waitcnt lgkmcnt(0)
	v_add_f64 v[2:3], v[2:3], v[6:7]
	v_add_f64 v[4:5], v[4:5], v[8:9]
.LBB56_117:
	s_or_b64 exec, exec, s[8:9]
	s_lshl_b64 s[8:9], s[16:17], 4
	v_mov_b32_e32 v6, s9
	v_subrev_co_u32_e64 v42, s[8:9], s8, v11
	s_and_b64 vcc, exec, s[14:15]
	v_subb_co_u32_e64 v43, s[8:9], v12, v6, s[8:9]
	s_barrier
	s_cbranch_vccnz .LBB56_119
; %bb.118:
	flat_load_dwordx4 v[6:9], v[42:43]
	s_lshl_b64 s[8:9], s[24:25], 7
	v_mov_b32_e32 v17, s9
	v_add_co_u32_e32 v11, vcc, s8, v42
	v_addc_co_u32_e32 v12, vcc, v43, v17, vcc
	s_movk_i32 s9, 0x210
	s_waitcnt vmcnt(0) lgkmcnt(0)
	ds_write2_b64 v16, v[6:7], v[8:9] offset1:1
	flat_load_dwordx4 v[19:22], v[11:12]
	v_add_u32_e32 v8, 8, v13
	v_mad_u32_u24 v6, v8, s9, v14
	v_add_co_u32_e32 v11, vcc, s8, v11
	v_addc_co_u32_e32 v12, vcc, v12, v17, vcc
	v_add_u32_e32 v9, 24, v13
	s_waitcnt vmcnt(0) lgkmcnt(0)
	ds_write2_b64 v6, v[19:20], v[21:22] offset1:1
	flat_load_dwordx4 v[19:22], v[11:12]
	v_mov_b32_e32 v6, 0x1080
	v_mad_u32_u24 v6, v8, s9, v6
	v_add_u32_e32 v7, v14, v6
	v_add_co_u32_e32 v11, vcc, s8, v11
	v_addc_co_u32_e32 v12, vcc, v12, v17, vcc
	s_waitcnt vmcnt(0) lgkmcnt(0)
	ds_write2_b64 v7, v[19:20], v[21:22] offset1:1
	flat_load_dwordx4 v[19:22], v[11:12]
	v_mov_b32_e32 v12, 0x2100
	v_mad_u32_u24 v12, v8, s9, v12
	v_add_u32_e32 v11, 16, v13
	v_mul_u32_u24_e32 v7, 0x210, v8
	v_add_u32_e32 v17, v14, v12
	s_waitcnt vmcnt(0) lgkmcnt(0)
	ds_write2_b64 v17, v[19:20], v[21:22] offset1:1
	s_cbranch_execz .LBB56_120
	s_branch .LBB56_137
.LBB56_119:
                                        ; implicit-def: $vgpr8
                                        ; implicit-def: $vgpr7
                                        ; implicit-def: $vgpr11
                                        ; implicit-def: $vgpr6
                                        ; implicit-def: $vgpr9
                                        ; implicit-def: $vgpr12
.LBB56_120:
	v_or_b32_e32 v6, 32, v10
	v_lshlrev_b32_e32 v7, 4, v6
	v_sub_co_u32_e32 v7, vcc, v42, v7
	s_ashr_i32 s29, s28, 31
	v_subbrev_co_u32_e32 v8, vcc, 0, v43, vcc
	s_lshl_b64 s[12:13], s[28:29], 4
	v_mov_b32_e32 v9, s13
	v_add_co_u32_e32 v7, vcc, s12, v7
	v_addc_co_u32_e32 v8, vcc, v8, v9, vcc
	v_add_co_u32_e32 v9, vcc, -16, v7
	v_addc_co_u32_e32 v7, vcc, -1, v8, vcc
	v_cmp_gt_i32_e64 s[8:9], s28, v6
	v_cndmask_b32_e64 v7, v7, v43, s[8:9]
	v_cndmask_b32_e64 v6, v9, v42, s[8:9]
	v_cmp_le_i32_e32 vcc, s28, v13
	s_and_saveexec_b64 s[14:15], vcc
	s_xor_b64 s[14:15], exec, s[14:15]
; %bb.121:
	v_mov_b32_e32 v19, 0
	v_mov_b32_e32 v20, v19
	v_mov_b32_e32 v21, v19
	v_mov_b32_e32 v22, v19
	ds_write_b128 v16, v[19:22]
; %bb.122:
	s_andn2_saveexec_b64 s[14:15], s[14:15]
	s_cbranch_execz .LBB56_124
; %bb.123:
	flat_load_dwordx4 v[19:22], v[6:7]
	s_waitcnt vmcnt(0) lgkmcnt(0)
	ds_write2_b64 v16, v[19:20], v[21:22] offset1:1
.LBB56_124:
	s_or_b64 exec, exec, s[14:15]
	v_add_u32_e32 v8, 8, v13
	v_cmp_le_i32_e32 vcc, s28, v8
	s_and_saveexec_b64 s[14:15], vcc
	s_xor_b64 s[14:15], exec, s[14:15]
	s_cbranch_execz .LBB56_126
; %bb.125:
	s_movk_i32 s16, 0x210
	v_mov_b32_e32 v19, 0
	v_mad_u32_u24 v9, v8, s16, v14
	v_mov_b32_e32 v20, v19
	v_mov_b32_e32 v21, v19
	;; [unrolled: 1-line block ×3, first 2 shown]
	ds_write_b128 v9, v[19:22]
.LBB56_126:
	s_andn2_saveexec_b64 s[14:15], s[14:15]
	s_cbranch_execz .LBB56_128
; %bb.127:
	s_lshl_b64 s[16:17], s[24:25], 7
	v_mov_b32_e32 v9, s17
	v_add_co_u32_e32 v11, vcc, s16, v6
	v_addc_co_u32_e32 v12, vcc, v7, v9, vcc
	flat_load_dwordx4 v[19:22], v[11:12]
	s_movk_i32 s16, 0x210
	v_mad_u32_u24 v9, v8, s16, v14
	s_waitcnt vmcnt(0) lgkmcnt(0)
	ds_write2_b64 v9, v[19:20], v[21:22] offset1:1
.LBB56_128:
	s_or_b64 exec, exec, s[14:15]
	v_add_u32_e32 v11, 16, v13
	v_cmp_le_i32_e32 vcc, s28, v11
	s_and_saveexec_b64 s[14:15], vcc
	s_xor_b64 s[14:15], exec, s[14:15]
	s_cbranch_execz .LBB56_130
; %bb.129:
	s_movk_i32 s16, 0x210
	v_mov_b32_e32 v19, 0
	v_mad_u32_u24 v9, v11, s16, v14
	v_mov_b32_e32 v20, v19
	v_mov_b32_e32 v21, v19
	;; [unrolled: 1-line block ×3, first 2 shown]
	ds_write_b128 v9, v[19:22]
.LBB56_130:
	s_andn2_saveexec_b64 s[14:15], s[14:15]
	s_cbranch_execz .LBB56_132
; %bb.131:
	s_lshl_b64 s[16:17], s[24:25], 8
	v_mov_b32_e32 v9, s17
	v_add_co_u32_e32 v19, vcc, s16, v6
	v_addc_co_u32_e32 v20, vcc, v7, v9, vcc
	flat_load_dwordx4 v[19:22], v[19:20]
	s_movk_i32 s16, 0x210
	v_mad_u32_u24 v9, v11, s16, v14
	s_waitcnt vmcnt(0) lgkmcnt(0)
	ds_write2_b64 v9, v[19:20], v[21:22] offset1:1
.LBB56_132:
	s_or_b64 exec, exec, s[14:15]
	v_add_u32_e32 v9, 24, v13
	v_cmp_le_i32_e32 vcc, s28, v9
                                        ; implicit-def: $vgpr12
	s_and_saveexec_b64 s[14:15], vcc
	s_xor_b64 s[14:15], exec, s[14:15]
	s_cbranch_execz .LBB56_134
; %bb.133:
	s_movk_i32 s16, 0x210
	v_mov_b32_e32 v19, 0
	v_mul_u32_u24_e32 v12, 0x210, v9
	v_mad_u32_u24 v17, v9, s16, v14
	v_mov_b32_e32 v20, v19
	v_mov_b32_e32 v21, v19
	;; [unrolled: 1-line block ×3, first 2 shown]
	ds_write_b128 v17, v[19:22]
.LBB56_134:
	s_andn2_saveexec_b64 s[14:15], s[14:15]
	s_cbranch_execz .LBB56_136
; %bb.135:
	v_mov_b32_e32 v12, 0x180
	v_mad_u64_u32 v[19:20], s[16:17], s24, v12, v[6:7]
	s_mul_i32 s16, s25, 0x180
	v_mul_u32_u24_e32 v12, 0x210, v9
	v_add_u32_e32 v20, s16, v20
	flat_load_dwordx4 v[19:22], v[19:20]
	s_movk_i32 s16, 0x210
	v_mad_u32_u24 v17, v9, s16, v14
	s_waitcnt vmcnt(0) lgkmcnt(0)
	ds_write2_b64 v17, v[19:20], v[21:22] offset1:1
.LBB56_136:
	s_or_b64 exec, exec, s[14:15]
	v_lshlrev_b32_e32 v10, 4, v10
	v_add_co_u32_e32 v6, vcc, v6, v10
	v_addc_co_u32_e32 v7, vcc, 0, v7, vcc
	v_mov_b32_e32 v10, s13
	v_subrev_co_u32_e32 v6, vcc, s12, v6
	v_subb_co_u32_e32 v7, vcc, v7, v10, vcc
	v_add_co_u32_e32 v6, vcc, 0x210, v6
	s_movk_i32 s12, 0x210
	v_addc_co_u32_e32 v7, vcc, 0, v7, vcc
	v_cndmask_b32_e64 v42, v6, v42, s[8:9]
	v_mov_b32_e32 v6, 0x1080
	v_cndmask_b32_e64 v43, v7, v43, s[8:9]
	v_mul_u32_u24_e32 v7, 0x210, v8
	v_mad_u32_u24 v6, v8, s12, v6
.LBB56_137:
	v_lshlrev_b32_e32 v10, 4, v13
	s_waitcnt lgkmcnt(0)
	s_barrier
	ds_read_b128 v[19:22], v10 offset:18176
	ds_read_b128 v[23:26], v16
	v_add_u32_e32 v7, v14, v7
	v_lshlrev_b32_e32 v8, 4, v8
	v_lshlrev_b32_e32 v10, 4, v11
	ds_read_b128 v[27:30], v8 offset:18176
	ds_read_b128 v[31:34], v7
	s_waitcnt lgkmcnt(2)
	v_mul_f64 v[7:8], v[21:22], v[25:26]
	v_add_u32_e32 v6, v14, v6
	ds_read_b128 v[47:50], v10 offset:18176
	ds_read_b128 v[51:54], v6
	v_mul_f64 v[10:11], v[19:20], v[25:26]
	s_waitcnt lgkmcnt(2)
	v_mul_f64 v[16:17], v[29:30], v[33:34]
	v_mul_f64 v[25:26], v[27:28], v[33:34]
	v_fma_f64 v[6:7], v[19:20], v[23:24], -v[7:8]
	s_waitcnt lgkmcnt(0)
	v_mul_f64 v[19:20], v[49:50], v[53:54]
	v_fma_f64 v[21:22], v[21:22], v[23:24], v[10:11]
	v_fma_f64 v[16:17], v[27:28], v[31:32], -v[16:17]
	v_fma_f64 v[25:26], v[29:30], v[31:32], v[25:26]
	v_mul_f64 v[27:28], v[47:48], v[53:54]
	v_add_u32_e32 v10, v14, v12
	v_add_f64 v[23:24], v[6:7], 0
	v_lshlrev_b32_e32 v6, 4, v9
	ds_read_b128 v[6:9], v6 offset:18176
	ds_read2_b64 v[10:13], v10 offset1:1
	v_add_f64 v[21:22], v[21:22], 0
	v_fma_f64 v[19:20], v[47:48], v[51:52], -v[19:20]
	v_lshl_add_u32 v14, v15, 4, v45
	v_fma_f64 v[27:28], v[49:50], v[51:52], v[27:28]
	v_add_f64 v[16:17], v[23:24], v[16:17]
	s_waitcnt lgkmcnt(0)
	v_mul_f64 v[23:24], v[8:9], v[12:13]
	v_mul_f64 v[12:13], v[6:7], v[12:13]
	v_add_f64 v[21:22], v[21:22], v[25:26]
	v_add_f64 v[16:17], v[16:17], v[19:20]
	v_fma_f64 v[34:35], v[6:7], v[10:11], -v[23:24]
	v_fma_f64 v[36:37], v[8:9], v[10:11], v[12:13]
	v_add_f64 v[19:20], v[21:22], v[27:28]
	ds_read_b128 v[30:33], v18 offset:512
	ds_read_b128 v[22:25], v18 offset:528
	;; [unrolled: 1-line block ×4, first 2 shown]
	v_add_f64 v[47:48], v[16:17], v[34:35]
	v_add_f64 v[49:50], v[19:20], v[36:37]
	ds_read_b128 v[34:37], v14
	ds_read_b128 v[26:29], v14 offset:16
	ds_read_b128 v[18:21], v14 offset:32
	;; [unrolled: 1-line block ×3, first 2 shown]
	s_waitcnt lgkmcnt(0)
	s_barrier
	ds_write_b128 v46, v[47:50]
	s_waitcnt lgkmcnt(0)
	s_barrier
	s_and_saveexec_b64 s[8:9], s[10:11]
	s_cbranch_execz .LBB56_139
; %bb.138:
	ds_read_b128 v[47:50], v45
	ds_read_b128 v[51:54], v45 offset:16
	s_waitcnt lgkmcnt(1)
	v_add_f64 v[2:3], v[2:3], v[47:48]
	v_add_f64 v[4:5], v[4:5], v[49:50]
	s_waitcnt lgkmcnt(0)
	v_add_f64 v[51:52], v[2:3], v[51:52]
	v_add_f64 v[53:54], v[4:5], v[53:54]
	ds_read_b128 v[2:5], v45 offset:32
	ds_read_b128 v[47:50], v45 offset:48
	s_waitcnt lgkmcnt(1)
	v_add_f64 v[2:3], v[51:52], v[2:3]
	v_add_f64 v[4:5], v[53:54], v[4:5]
	s_waitcnt lgkmcnt(0)
	v_add_f64 v[51:52], v[2:3], v[47:48]
	v_add_f64 v[53:54], v[4:5], v[49:50]
	ds_read_b128 v[2:5], v45 offset:64
	;; [unrolled: 8-line block ×3, first 2 shown]
	ds_read_b128 v[47:50], v45 offset:112
	s_waitcnt lgkmcnt(1)
	v_add_f64 v[2:3], v[51:52], v[2:3]
	v_add_f64 v[4:5], v[53:54], v[4:5]
	s_waitcnt lgkmcnt(0)
	v_add_f64 v[2:3], v[2:3], v[47:48]
	v_add_f64 v[4:5], v[4:5], v[49:50]
.LBB56_139:
	s_or_b64 exec, exec, s[8:9]
	v_mul_f64 v[47:48], v[36:37], v[32:33]
	v_mul_f64 v[36:37], v[36:37], v[30:31]
	;; [unrolled: 1-line block ×4, first 2 shown]
	s_barrier
	v_fma_f64 v[30:31], v[34:35], v[30:31], v[47:48]
	v_fma_f64 v[32:33], v[34:35], v[32:33], -v[36:37]
	v_mul_f64 v[34:35], v[20:21], v[12:13]
	v_mul_f64 v[20:21], v[20:21], v[10:11]
	v_fma_f64 v[22:23], v[26:27], v[22:23], v[49:50]
	v_fma_f64 v[24:25], v[26:27], v[24:25], -v[28:29]
	v_add_f64 v[26:27], v[30:31], 0
	v_add_f64 v[28:29], v[32:33], 0
	v_mul_f64 v[30:31], v[16:17], v[8:9]
	v_mul_f64 v[16:17], v[16:17], v[6:7]
	v_fma_f64 v[10:11], v[18:19], v[10:11], v[34:35]
	v_fma_f64 v[12:13], v[18:19], v[12:13], -v[20:21]
	v_add_f64 v[18:19], v[26:27], v[22:23]
	v_add_f64 v[20:21], v[28:29], v[24:25]
	v_fma_f64 v[6:7], v[14:15], v[6:7], v[30:31]
	v_fma_f64 v[8:9], v[14:15], v[8:9], -v[16:17]
	v_add_f64 v[10:11], v[18:19], v[10:11]
	v_add_f64 v[12:13], v[20:21], v[12:13]
	;; [unrolled: 1-line block ×4, first 2 shown]
	ds_write_b128 v46, v[6:9]
	s_waitcnt lgkmcnt(0)
	s_barrier
	s_and_saveexec_b64 s[8:9], s[4:5]
	s_cbranch_execz .LBB56_141
; %bb.140:
	ds_read_b128 v[6:9], v45
	ds_read_b128 v[10:13], v45 offset:16
	s_waitcnt lgkmcnt(1)
	v_add_f64 v[2:3], v[2:3], v[6:7]
	v_add_f64 v[4:5], v[4:5], v[8:9]
	s_waitcnt lgkmcnt(0)
	v_add_f64 v[10:11], v[2:3], v[10:11]
	v_add_f64 v[12:13], v[4:5], v[12:13]
	ds_read_b128 v[2:5], v45 offset:32
	ds_read_b128 v[6:9], v45 offset:48
	s_waitcnt lgkmcnt(1)
	v_add_f64 v[2:3], v[10:11], v[2:3]
	v_add_f64 v[4:5], v[12:13], v[4:5]
	s_waitcnt lgkmcnt(0)
	v_add_f64 v[10:11], v[2:3], v[6:7]
	v_add_f64 v[12:13], v[4:5], v[8:9]
	ds_read_b128 v[2:5], v45 offset:64
	;; [unrolled: 8-line block ×3, first 2 shown]
	ds_read_b128 v[6:9], v45 offset:112
	s_waitcnt lgkmcnt(1)
	v_add_f64 v[2:3], v[10:11], v[2:3]
	v_add_f64 v[4:5], v[12:13], v[4:5]
	s_waitcnt lgkmcnt(0)
	v_add_f64 v[2:3], v[2:3], v[6:7]
	v_add_f64 v[4:5], v[4:5], v[8:9]
.LBB56_141:
	s_or_b64 exec, exec, s[8:9]
	s_mul_hi_u32 s4, s23, s22
	s_mul_i32 s33, s33, s22
	s_add_i32 s4, s4, s33
	s_mul_i32 s8, s23, s22
	s_mul_i32 s4, s4, s7
	s_mul_hi_u32 s5, s8, s7
	s_add_i32 s5, s5, s4
	s_mul_i32 s4, s8, s7
	s_lshl_b64 s[4:5], s[4:5], 4
	s_add_u32 s7, s26, s4
	s_mul_i32 s4, s23, s6
	s_addc_u32 s8, s27, s5
	s_ashr_i32 s5, s4, 31
	s_lshl_b64 s[4:5], s[4:5], 4
	s_add_u32 s7, s7, s4
	v_cmp_le_i32_e32 vcc, s28, v0
	s_addc_u32 s14, s8, s5
	s_and_b64 vcc, s[36:37], vcc
	s_cmp_lt_i32 s6, 1
	v_lshlrev_b32_e32 v148, 4, v0
	s_barrier
	s_cbranch_scc1 .LBB56_148
; %bb.142:
	s_mul_i32 s4, s20, s31
	s_mul_hi_u32 s5, s20, s30
	s_add_i32 s4, s5, s4
	s_mul_i32 s5, s21, s30
	s_add_i32 s5, s4, s5
	s_mul_i32 s4, s20, s30
	s_lshl_b64 s[4:5], s[4:5], 4
	v_mov_b32_e32 v6, s5
	v_subrev_co_u32_e64 v149, s[4:5], s4, v38
	v_subb_co_u32_e64 v150, s[4:5], v39, v6, s[4:5]
	v_mov_b32_e32 v6, s35
	v_subrev_co_u32_e64 v8, s[4:5], s34, v42
	v_lshlrev_b32_e32 v11, 2, v1
	v_subb_co_u32_e64 v10, s[4:5], v43, v6, s[4:5]
	v_mad_u64_u32 v[6:7], s[4:5], s24, v11, 0
	s_movk_i32 s8, 0xfe00
	v_add_co_u32_e64 v13, s[4:5], s8, v8
	v_addc_co_u32_e64 v10, s[4:5], -1, v10, s[4:5]
	v_mad_u64_u32 v[7:8], s[4:5], s25, v11, v[7:8]
	v_sub_co_u32_e64 v8, s[4:5], v13, v40
	v_lshlrev_b64 v[6:7], 4, v[6:7]
	v_subb_co_u32_e64 v10, s[4:5], v10, v41, s[4:5]
	v_add_co_u32_e64 v6, s[4:5], v8, v6
	v_addc_co_u32_e64 v7, s[4:5], v10, v7, s[4:5]
	s_ashr_i32 s29, s28, 31
	s_lshl_b64 s[4:5], s[28:29], 4
	v_mov_b32_e32 v8, s5
	v_add_co_u32_e64 v10, s[4:5], s4, v6
	v_addc_co_u32_e64 v8, s[4:5], v7, v8, s[4:5]
	v_add_co_u32_e64 v10, s[4:5], -16, v10
	v_addc_co_u32_e64 v8, s[4:5], -1, v8, s[4:5]
	v_add_co_u32_e64 v6, s[4:5], v6, v148
	v_addc_co_u32_e64 v7, s[4:5], 0, v7, s[4:5]
	v_cndmask_b32_e32 v11, v7, v8, vcc
	v_and_b32_e32 v7, 48, v0
	v_lshrrev_b32_e32 v9, 4, v44
	v_and_b32_e32 v12, 15, v0
	v_cndmask_b32_e32 v10, v6, v10, vcc
	v_mov_b32_e32 v6, 0x4300
	s_movk_i32 s8, 0x430
	v_lshlrev_b32_e32 v7, 4, v7
	v_lshl_add_u32 v152, v1, 6, v6
	v_lshlrev_b32_e32 v6, 6, v9
	v_mad_u32_u24 v156, v12, s8, v7
	v_or_b32_e32 v7, 0xf0, v148
	v_mad_u32_u24 v155, v12, s8, v6
	v_mad_u32_u24 v157, v12, s8, v7
	s_mul_i32 s8, s25, 0xd0
	s_mul_hi_u32 s9, s24, 0xd0
	s_movk_i32 s4, 0x10c0
	v_mul_i32_i24_e32 v6, 0xffffffd0, v9
	s_lshl_b64 s[10:11], s[24:25], 4
	s_add_i32 s15, s9, s8
	v_mov_b32_e32 v145, 0
	v_add_u32_e32 v151, 0x4300, v148
	v_add_u32_e32 v153, 0x4700, v148
	v_mad_u32_u24 v154, v1, s4, v148
	v_cmp_gt_u32_e64 s[4:5], 64, v44
	s_mul_i32 s16, s24, 0xd0
	s_mov_b32 s17, 0
	v_mov_b32_e32 v158, s11
	v_mov_b32_e32 v159, s15
	v_add_u32_e32 v160, v155, v6
	s_branch .LBB56_144
.LBB56_143:                             ;   in Loop: Header=BB56_144 Depth=1
	s_or_b64 exec, exec, s[12:13]
	v_mul_f64 v[86:87], v[8:9], v[36:37]
	v_mul_f64 v[36:37], v[6:7], v[36:37]
	;; [unrolled: 1-line block ×4, first 2 shown]
	s_add_i32 s17, s17, 64
	s_add_i32 s6, s6, -1
	s_cmp_eq_u32 s6, 0
	v_fma_f64 v[6:7], v[6:7], v[34:35], -v[86:87]
	v_fma_f64 v[8:9], v[8:9], v[34:35], v[36:37]
	v_mul_f64 v[34:35], v[16:17], v[28:29]
	v_mul_f64 v[28:29], v[14:15], v[28:29]
	v_fma_f64 v[18:19], v[18:19], v[30:31], -v[88:89]
	v_fma_f64 v[20:21], v[20:21], v[30:31], v[32:33]
	s_waitcnt vmcnt(0)
	s_barrier
	v_add_f64 v[2:3], v[2:3], v[6:7]
	v_add_f64 v[4:5], v[4:5], v[8:9]
	v_mul_f64 v[6:7], v[12:13], v[24:25]
	v_mul_f64 v[8:9], v[10:11], v[24:25]
	v_fma_f64 v[14:15], v[14:15], v[26:27], -v[34:35]
	v_fma_f64 v[16:17], v[16:17], v[26:27], v[28:29]
	v_add_f64 v[2:3], v[2:3], v[18:19]
	v_add_f64 v[4:5], v[4:5], v[20:21]
	v_mul_f64 v[18:19], v[48:49], v[84:85]
	v_mul_f64 v[20:21], v[46:47], v[84:85]
	v_fma_f64 v[6:7], v[10:11], v[22:23], -v[6:7]
	v_fma_f64 v[8:9], v[12:13], v[22:23], v[8:9]
	v_mul_f64 v[10:11], v[52:53], v[80:81]
	v_mul_f64 v[12:13], v[50:51], v[80:81]
	v_add_f64 v[2:3], v[2:3], v[14:15]
	v_add_f64 v[4:5], v[4:5], v[16:17]
	v_fma_f64 v[14:15], v[46:47], v[82:83], -v[18:19]
	v_fma_f64 v[16:17], v[48:49], v[82:83], v[20:21]
	v_fma_f64 v[10:11], v[50:51], v[78:79], -v[10:11]
	v_fma_f64 v[12:13], v[52:53], v[78:79], v[12:13]
	v_add_f64 v[2:3], v[2:3], v[6:7]
	v_add_f64 v[4:5], v[4:5], v[8:9]
	v_mul_f64 v[6:7], v[44:45], v[76:77]
	v_mul_f64 v[8:9], v[42:43], v[76:77]
	v_add_f64 v[2:3], v[2:3], v[14:15]
	v_add_f64 v[4:5], v[4:5], v[16:17]
	v_mul_f64 v[14:15], v[40:41], v[72:73]
	v_mul_f64 v[16:17], v[38:39], v[72:73]
	v_fma_f64 v[6:7], v[42:43], v[74:75], -v[6:7]
	v_fma_f64 v[8:9], v[44:45], v[74:75], v[8:9]
	v_add_f64 v[2:3], v[2:3], v[10:11]
	v_add_f64 v[4:5], v[4:5], v[12:13]
	v_mul_f64 v[10:11], v[64:65], v[124:125]
	v_mul_f64 v[12:13], v[62:63], v[124:125]
	v_fma_f64 v[14:15], v[38:39], v[70:71], -v[14:15]
	v_fma_f64 v[16:17], v[40:41], v[70:71], v[16:17]
	;; [unrolled: 6-line block ×9, first 2 shown]
	v_add_f64 v[2:3], v[2:3], v[14:15]
	v_add_f64 v[4:5], v[4:5], v[16:17]
	v_fma_f64 v[6:7], v[106:107], v[126:127], -v[6:7]
	v_fma_f64 v[8:9], v[108:109], v[126:127], v[8:9]
	v_add_f64 v[2:3], v[2:3], v[10:11]
	v_add_f64 v[4:5], v[4:5], v[12:13]
	v_add_co_u32_e64 v10, s[8:9], s16, v146
	v_add_f64 v[2:3], v[2:3], v[6:7]
	v_add_f64 v[4:5], v[4:5], v[8:9]
	v_mov_b32_e32 v6, s15
	v_addc_co_u32_e64 v11, s[8:9], v147, v6, s[8:9]
	s_cbranch_scc1 .LBB56_148
.LBB56_144:                             ; =>This Inner Loop Header: Depth=1
	s_and_saveexec_b64 s[12:13], s[2:3]
	s_cbranch_execz .LBB56_146
; %bb.145:                              ;   in Loop: Header=BB56_144 Depth=1
	s_mul_i32 s8, s21, s17
	s_mul_hi_u32 s9, s20, s17
	s_add_i32 s9, s9, s8
	s_mul_i32 s8, s20, s17
	s_lshl_b64 s[8:9], s[8:9], 4
	v_mov_b32_e32 v7, s9
	v_add_co_u32_e64 v6, s[8:9], s8, v149
	v_addc_co_u32_e64 v7, s[8:9], v150, v7, s[8:9]
	flat_load_dwordx4 v[6:9], v[6:7]
	s_waitcnt vmcnt(0) lgkmcnt(0)
	ds_write2_b64 v151, v[6:7], v[8:9] offset1:1
.LBB56_146:                             ;   in Loop: Header=BB56_144 Depth=1
	s_or_b64 exec, exec, s[12:13]
	s_waitcnt lgkmcnt(0)
	s_barrier
	flat_load_dwordx4 v[6:9], v[10:11]
	v_add_co_u32_e64 v10, s[8:9], s10, v10
	v_addc_co_u32_e64 v11, s[8:9], v11, v158, s[8:9]
	v_add_co_u32_e64 v12, s[8:9], s10, v10
	v_addc_co_u32_e64 v13, s[8:9], v11, v158, s[8:9]
	v_add_co_u32_e64 v42, s[8:9], s10, v12
	flat_load_dwordx4 v[18:21], v[10:11]
	flat_load_dwordx4 v[14:17], v[12:13]
	v_addc_co_u32_e64 v43, s[8:9], v13, v158, s[8:9]
	flat_load_dwordx4 v[10:13], v[42:43]
	ds_read_b128 v[38:41], v153
	ds_read_b128 v[34:37], v152
	ds_read_b128 v[30:33], v152 offset:16
	ds_read_b128 v[26:29], v152 offset:32
	ds_read_b128 v[22:25], v152 offset:48
	v_add_co_u32_e64 v54, s[8:9], s16, v42
	v_addc_co_u32_e64 v55, s[8:9], v43, v159, s[8:9]
	v_add_co_u32_e64 v56, s[8:9], s10, v54
	v_addc_co_u32_e64 v57, s[8:9], v55, v158, s[8:9]
	s_waitcnt vmcnt(0) lgkmcnt(0)
	v_mul_f64 v[42:43], v[8:9], v[40:41]
	v_mul_f64 v[44:45], v[8:9], v[38:39]
	v_fma_f64 v[42:43], v[6:7], v[38:39], v[42:43]
	v_fma_f64 v[44:45], v[6:7], v[40:41], -v[44:45]
	v_mul_f64 v[46:47], v[20:21], v[40:41]
	v_mul_f64 v[48:49], v[20:21], v[38:39]
	;; [unrolled: 1-line block ×6, first 2 shown]
	v_fma_f64 v[46:47], v[18:19], v[38:39], v[46:47]
	v_fma_f64 v[48:49], v[18:19], v[40:41], -v[48:49]
	v_fma_f64 v[50:51], v[14:15], v[38:39], v[50:51]
	v_fma_f64 v[52:53], v[14:15], v[40:41], -v[52:53]
	;; [unrolled: 2-line block ×3, first 2 shown]
	v_add_co_u32_e64 v58, s[8:9], s10, v56
	v_addc_co_u32_e64 v59, s[8:9], v57, v158, s[8:9]
	ds_write_b128 v154, v[42:45]
	ds_write_b128 v154, v[46:49] offset:1072
	ds_write_b128 v154, v[50:53] offset:2144
	;; [unrolled: 1-line block ×3, first 2 shown]
	s_waitcnt lgkmcnt(0)
	s_barrier
	ds_read_b128 v[126:129], v155
	ds_read_b128 v[130:133], v155 offset:16
	ds_read_b128 v[90:93], v155 offset:32
	;; [unrolled: 1-line block ×3, first 2 shown]
	s_waitcnt lgkmcnt(0)
	s_barrier
	flat_load_dwordx4 v[46:49], v[54:55]
	flat_load_dwordx4 v[50:53], v[56:57]
	;; [unrolled: 1-line block ×3, first 2 shown]
	v_add_co_u32_e64 v54, s[8:9], s10, v58
	v_addc_co_u32_e64 v55, s[8:9], v59, v158, s[8:9]
	flat_load_dwordx4 v[38:41], v[54:55]
	v_add_co_u32_e64 v94, s[8:9], s16, v54
	v_addc_co_u32_e64 v95, s[8:9], v55, v159, s[8:9]
	ds_read_b128 v[54:57], v153
	v_add_co_u32_e64 v96, s[8:9], s10, v94
	v_addc_co_u32_e64 v97, s[8:9], v95, v158, s[8:9]
	v_add_co_u32_e64 v98, s[8:9], s10, v96
	v_addc_co_u32_e64 v99, s[8:9], v97, v158, s[8:9]
	s_waitcnt vmcnt(0) lgkmcnt(0)
	v_mul_f64 v[58:59], v[48:49], v[56:57]
	v_mul_f64 v[60:61], v[48:49], v[54:55]
	;; [unrolled: 1-line block ×8, first 2 shown]
	v_fma_f64 v[58:59], v[46:47], v[54:55], v[58:59]
	v_fma_f64 v[60:61], v[46:47], v[56:57], -v[60:61]
	v_fma_f64 v[62:63], v[50:51], v[54:55], v[62:63]
	v_fma_f64 v[64:65], v[50:51], v[56:57], -v[64:65]
	;; [unrolled: 2-line block ×4, first 2 shown]
	ds_read_b128 v[82:85], v152 offset:256
	ds_read_b128 v[78:81], v152 offset:272
	;; [unrolled: 1-line block ×4, first 2 shown]
	ds_write_b128 v154, v[58:61]
	ds_write_b128 v154, v[62:65] offset:1072
	ds_write_b128 v154, v[66:69] offset:2144
	;; [unrolled: 1-line block ×3, first 2 shown]
	s_waitcnt lgkmcnt(0)
	s_barrier
	ds_read_b128 v[161:164], v155
	ds_read_b128 v[165:168], v155 offset:16
	ds_read_b128 v[169:172], v155 offset:32
	;; [unrolled: 1-line block ×3, first 2 shown]
	s_waitcnt lgkmcnt(0)
	s_barrier
	flat_load_dwordx4 v[62:65], v[94:95]
	flat_load_dwordx4 v[58:61], v[96:97]
	;; [unrolled: 1-line block ×3, first 2 shown]
	v_add_co_u32_e64 v94, s[8:9], s10, v98
	v_addc_co_u32_e64 v95, s[8:9], v99, v158, s[8:9]
	flat_load_dwordx4 v[66:69], v[94:95]
	v_add_co_u32_e64 v134, s[8:9], s16, v94
	v_addc_co_u32_e64 v135, s[8:9], v95, v159, s[8:9]
	ds_read_b128 v[94:97], v153
	v_add_co_u32_e64 v136, s[8:9], s10, v134
	v_addc_co_u32_e64 v137, s[8:9], v135, v158, s[8:9]
	v_add_co_u32_e64 v138, s[8:9], s10, v136
	v_addc_co_u32_e64 v139, s[8:9], v137, v158, s[8:9]
	;; [unrolled: 2-line block ×3, first 2 shown]
	v_add_f64 v[213:214], v[161:162], 0
	v_add_f64 v[165:166], v[213:214], v[165:166]
	;; [unrolled: 1-line block ×3, first 2 shown]
	s_waitcnt vmcnt(0) lgkmcnt(0)
	v_mul_f64 v[98:99], v[64:65], v[96:97]
	v_mul_f64 v[100:101], v[64:65], v[94:95]
	;; [unrolled: 1-line block ×8, first 2 shown]
	v_fma_f64 v[98:99], v[62:63], v[94:95], v[98:99]
	v_fma_f64 v[100:101], v[62:63], v[96:97], -v[100:101]
	v_fma_f64 v[102:103], v[58:59], v[94:95], v[102:103]
	v_fma_f64 v[104:105], v[58:59], v[96:97], -v[104:105]
	;; [unrolled: 2-line block ×4, first 2 shown]
	ds_read_b128 v[122:125], v152 offset:512
	ds_read_b128 v[118:121], v152 offset:528
	;; [unrolled: 1-line block ×4, first 2 shown]
	ds_write_b128 v154, v[98:101]
	ds_write_b128 v154, v[102:105] offset:1072
	ds_write_b128 v154, v[106:109] offset:2144
	;; [unrolled: 1-line block ×3, first 2 shown]
	s_waitcnt lgkmcnt(0)
	s_barrier
	ds_read_b128 v[177:180], v155
	ds_read_b128 v[181:184], v155 offset:16
	ds_read_b128 v[185:188], v155 offset:32
	;; [unrolled: 1-line block ×3, first 2 shown]
	s_waitcnt lgkmcnt(0)
	s_barrier
	flat_load_dwordx4 v[98:101], v[134:135]
	flat_load_dwordx4 v[94:97], v[136:137]
	;; [unrolled: 1-line block ×4, first 2 shown]
	v_add_f64 v[134:135], v[126:127], 0
	v_add_f64 v[136:137], v[128:129], 0
	ds_read_b128 v[126:129], v153
	v_add_f64 v[177:178], v[177:178], 0
	v_add_f64 v[179:180], v[179:180], 0
	;; [unrolled: 1-line block ×9, first 2 shown]
	s_waitcnt vmcnt(0) lgkmcnt(0)
	v_mul_f64 v[130:131], v[100:101], v[128:129]
	v_mul_f64 v[132:133], v[100:101], v[126:127]
	;; [unrolled: 1-line block ×8, first 2 shown]
	v_fma_f64 v[193:194], v[98:99], v[126:127], v[130:131]
	v_fma_f64 v[195:196], v[98:99], v[128:129], -v[132:133]
	v_fma_f64 v[197:198], v[94:95], v[126:127], v[134:135]
	v_fma_f64 v[199:200], v[94:95], v[128:129], -v[136:137]
	;; [unrolled: 2-line block ×4, first 2 shown]
	ds_read_b128 v[138:141], v152 offset:768
	ds_read_b128 v[134:137], v152 offset:784
	;; [unrolled: 1-line block ×4, first 2 shown]
	ds_write_b128 v154, v[193:196]
	ds_write_b128 v154, v[197:200] offset:1072
	ds_write_b128 v154, v[201:204] offset:2144
	;; [unrolled: 1-line block ×3, first 2 shown]
	s_waitcnt lgkmcnt(0)
	s_barrier
	ds_read_b128 v[193:196], v155
	v_add_f64 v[197:198], v[163:164], 0
	ds_read_b128 v[161:164], v155 offset:16
	v_add_f64 v[199:200], v[209:210], v[90:91]
	ds_read_b128 v[90:93], v155 offset:32
	s_waitcnt lgkmcnt(2)
	v_add_f64 v[193:194], v[193:194], 0
	v_add_f64 v[195:196], v[195:196], 0
	;; [unrolled: 1-line block ×4, first 2 shown]
	s_waitcnt lgkmcnt(1)
	v_add_f64 v[183:184], v[193:194], v[161:162]
	v_add_f64 v[193:194], v[195:196], v[163:164]
	ds_read_b128 v[161:164], v155 offset:48
	s_waitcnt lgkmcnt(0)
	v_add_f64 v[167:168], v[167:168], v[171:172]
	v_add_f64 v[171:172], v[179:180], v[187:188]
	s_barrier
	v_add_f64 v[177:178], v[183:184], v[90:91]
	v_add_f64 v[179:180], v[193:194], v[92:93]
	;; [unrolled: 1-line block ×8, first 2 shown]
	ds_write_b128 v160, v[86:89]
	ds_write_b128 v160, v[90:93] offset:256
	ds_write_b128 v160, v[165:168] offset:512
	;; [unrolled: 1-line block ×3, first 2 shown]
	s_waitcnt lgkmcnt(0)
	s_barrier
	s_and_saveexec_b64 s[12:13], s[4:5]
	s_cbranch_execz .LBB56_143
; %bb.147:                              ;   in Loop: Header=BB56_144 Depth=1
	ds_read_b128 v[86:89], v156
	ds_read_b128 v[90:93], v156 offset:16
	v_add_u32_e32 v144, s17, v0
	s_waitcnt lgkmcnt(0)
	v_add_f64 v[161:162], v[90:91], v[86:87]
	v_add_f64 v[163:164], v[92:93], v[88:89]
	ds_read_b128 v[86:89], v156 offset:32
	ds_read_b128 v[90:93], v156 offset:48
	s_waitcnt lgkmcnt(1)
	v_add_f64 v[86:87], v[161:162], v[86:87]
	v_add_f64 v[88:89], v[163:164], v[88:89]
	s_waitcnt lgkmcnt(0)
	v_add_f64 v[161:162], v[86:87], v[90:91]
	v_add_f64 v[163:164], v[88:89], v[92:93]
	ds_read_b128 v[86:89], v156 offset:64
	ds_read_b128 v[90:93], v156 offset:80
	s_waitcnt lgkmcnt(1)
	v_add_f64 v[86:87], v[161:162], v[86:87]
	v_add_f64 v[88:89], v[163:164], v[88:89]
	;; [unrolled: 8-line block ×6, first 2 shown]
	s_waitcnt lgkmcnt(0)
	v_add_f64 v[161:162], v[86:87], v[90:91]
	v_add_f64 v[163:164], v[88:89], v[92:93]
	ds_read_b128 v[86:89], v156 offset:224
	ds_read_b128 v[90:93], v157
	s_waitcnt lgkmcnt(1)
	v_add_f64 v[86:87], v[161:162], v[86:87]
	v_add_f64 v[88:89], v[163:164], v[88:89]
	s_waitcnt lgkmcnt(0)
	v_add_f64 v[86:87], v[86:87], v[90:91]
	v_add_f64 v[88:89], v[88:89], v[92:93]
	v_lshlrev_b64 v[90:91], 4, v[144:145]
	v_mov_b32_e32 v92, s14
	v_add_co_u32_e64 v90, s[8:9], s7, v90
	v_addc_co_u32_e64 v91, s[8:9], v92, v91, s[8:9]
	global_store_dwordx4 v[90:91], v[86:89], off
	s_branch .LBB56_143
.LBB56_148:
	s_movk_i32 s2, 0x430
	v_mad_u32_u24 v0, v1, s2, v148
	s_nor_b64 s[0:1], s[0:1], vcc
	ds_write_b128 v0, v[2:5]
	s_waitcnt lgkmcnt(0)
	s_barrier
	s_and_saveexec_b64 s[2:3], s[0:1]
	s_cbranch_execz .LBB56_150
; %bb.149:
	ds_read_b128 v[0:3], v148 offset:1072
	ds_read_b128 v[4:7], v148
	s_waitcnt lgkmcnt(0)
	v_add_f64 v[8:9], v[0:1], v[4:5]
	v_add_f64 v[10:11], v[2:3], v[6:7]
	ds_read_b128 v[0:3], v148 offset:2144
	ds_read_b128 v[4:7], v148 offset:3216
	s_waitcnt lgkmcnt(1)
	v_add_f64 v[0:1], v[8:9], v[0:1]
	v_add_f64 v[2:3], v[10:11], v[2:3]
	s_waitcnt lgkmcnt(0)
	v_add_f64 v[0:1], v[0:1], v[4:5]
	v_add_f64 v[2:3], v[2:3], v[6:7]
	v_lshlrev_b64 v[4:5], 4, v[142:143]
	v_mov_b32_e32 v6, s14
	v_add_co_u32_e32 v4, vcc, s7, v4
	v_addc_co_u32_e32 v5, vcc, v6, v5, vcc
	global_store_dwordx4 v[4:5], v[0:3], off
.LBB56_150:
	s_endpgm
	.section	.rodata,"a",@progbits
	.p2align	6, 0x0
	.amdhsa_kernel _ZL26rocblas_hemvn_kernel_lowerILb1ELi64ELi4ELi33ELi32ELi16ElPK19rocblas_complex_numIdEPKS3_PS1_EviT6_lT7_lT5_lS8_lS9_lS7_lT8_i
		.amdhsa_group_segment_fixed_size 19200
		.amdhsa_private_segment_fixed_size 0
		.amdhsa_kernarg_size 376
		.amdhsa_user_sgpr_count 6
		.amdhsa_user_sgpr_private_segment_buffer 1
		.amdhsa_user_sgpr_dispatch_ptr 0
		.amdhsa_user_sgpr_queue_ptr 0
		.amdhsa_user_sgpr_kernarg_segment_ptr 1
		.amdhsa_user_sgpr_dispatch_id 0
		.amdhsa_user_sgpr_flat_scratch_init 0
		.amdhsa_user_sgpr_private_segment_size 0
		.amdhsa_uses_dynamic_stack 0
		.amdhsa_system_sgpr_private_segment_wavefront_offset 0
		.amdhsa_system_sgpr_workgroup_id_x 1
		.amdhsa_system_sgpr_workgroup_id_y 0
		.amdhsa_system_sgpr_workgroup_id_z 1
		.amdhsa_system_sgpr_workgroup_info 0
		.amdhsa_system_vgpr_workitem_id 1
		.amdhsa_next_free_vgpr 215
		.amdhsa_next_free_sgpr 98
		.amdhsa_reserve_vcc 1
		.amdhsa_reserve_flat_scratch 0
		.amdhsa_float_round_mode_32 0
		.amdhsa_float_round_mode_16_64 0
		.amdhsa_float_denorm_mode_32 3
		.amdhsa_float_denorm_mode_16_64 3
		.amdhsa_dx10_clamp 1
		.amdhsa_ieee_mode 1
		.amdhsa_fp16_overflow 0
		.amdhsa_exception_fp_ieee_invalid_op 0
		.amdhsa_exception_fp_denorm_src 0
		.amdhsa_exception_fp_ieee_div_zero 0
		.amdhsa_exception_fp_ieee_overflow 0
		.amdhsa_exception_fp_ieee_underflow 0
		.amdhsa_exception_fp_ieee_inexact 0
		.amdhsa_exception_int_div_zero 0
	.end_amdhsa_kernel
	.section	.text._ZL26rocblas_hemvn_kernel_lowerILb1ELi64ELi4ELi33ELi32ELi16ElPK19rocblas_complex_numIdEPKS3_PS1_EviT6_lT7_lT5_lS8_lS9_lS7_lT8_i,"axG",@progbits,_ZL26rocblas_hemvn_kernel_lowerILb1ELi64ELi4ELi33ELi32ELi16ElPK19rocblas_complex_numIdEPKS3_PS1_EviT6_lT7_lT5_lS8_lS9_lS7_lT8_i,comdat
.Lfunc_end56:
	.size	_ZL26rocblas_hemvn_kernel_lowerILb1ELi64ELi4ELi33ELi32ELi16ElPK19rocblas_complex_numIdEPKS3_PS1_EviT6_lT7_lT5_lS8_lS9_lS7_lT8_i, .Lfunc_end56-_ZL26rocblas_hemvn_kernel_lowerILb1ELi64ELi4ELi33ELi32ELi16ElPK19rocblas_complex_numIdEPKS3_PS1_EviT6_lT7_lT5_lS8_lS9_lS7_lT8_i
                                        ; -- End function
	.set _ZL26rocblas_hemvn_kernel_lowerILb1ELi64ELi4ELi33ELi32ELi16ElPK19rocblas_complex_numIdEPKS3_PS1_EviT6_lT7_lT5_lS8_lS9_lS7_lT8_i.num_vgpr, 215
	.set _ZL26rocblas_hemvn_kernel_lowerILb1ELi64ELi4ELi33ELi32ELi16ElPK19rocblas_complex_numIdEPKS3_PS1_EviT6_lT7_lT5_lS8_lS9_lS7_lT8_i.num_agpr, 0
	.set _ZL26rocblas_hemvn_kernel_lowerILb1ELi64ELi4ELi33ELi32ELi16ElPK19rocblas_complex_numIdEPKS3_PS1_EviT6_lT7_lT5_lS8_lS9_lS7_lT8_i.numbered_sgpr, 44
	.set _ZL26rocblas_hemvn_kernel_lowerILb1ELi64ELi4ELi33ELi32ELi16ElPK19rocblas_complex_numIdEPKS3_PS1_EviT6_lT7_lT5_lS8_lS9_lS7_lT8_i.num_named_barrier, 0
	.set _ZL26rocblas_hemvn_kernel_lowerILb1ELi64ELi4ELi33ELi32ELi16ElPK19rocblas_complex_numIdEPKS3_PS1_EviT6_lT7_lT5_lS8_lS9_lS7_lT8_i.private_seg_size, 0
	.set _ZL26rocblas_hemvn_kernel_lowerILb1ELi64ELi4ELi33ELi32ELi16ElPK19rocblas_complex_numIdEPKS3_PS1_EviT6_lT7_lT5_lS8_lS9_lS7_lT8_i.uses_vcc, 1
	.set _ZL26rocblas_hemvn_kernel_lowerILb1ELi64ELi4ELi33ELi32ELi16ElPK19rocblas_complex_numIdEPKS3_PS1_EviT6_lT7_lT5_lS8_lS9_lS7_lT8_i.uses_flat_scratch, 0
	.set _ZL26rocblas_hemvn_kernel_lowerILb1ELi64ELi4ELi33ELi32ELi16ElPK19rocblas_complex_numIdEPKS3_PS1_EviT6_lT7_lT5_lS8_lS9_lS7_lT8_i.has_dyn_sized_stack, 0
	.set _ZL26rocblas_hemvn_kernel_lowerILb1ELi64ELi4ELi33ELi32ELi16ElPK19rocblas_complex_numIdEPKS3_PS1_EviT6_lT7_lT5_lS8_lS9_lS7_lT8_i.has_recursion, 0
	.set _ZL26rocblas_hemvn_kernel_lowerILb1ELi64ELi4ELi33ELi32ELi16ElPK19rocblas_complex_numIdEPKS3_PS1_EviT6_lT7_lT5_lS8_lS9_lS7_lT8_i.has_indirect_call, 0
	.section	.AMDGPU.csdata,"",@progbits
; Kernel info:
; codeLenInByte = 10072
; TotalNumSgprs: 48
; NumVgprs: 215
; ScratchSize: 0
; MemoryBound: 0
; FloatMode: 240
; IeeeMode: 1
; LDSByteSize: 19200 bytes/workgroup (compile time only)
; SGPRBlocks: 12
; VGPRBlocks: 53
; NumSGPRsForWavesPerEU: 102
; NumVGPRsForWavesPerEU: 215
; Occupancy: 1
; WaveLimiterHint : 1
; COMPUTE_PGM_RSRC2:SCRATCH_EN: 0
; COMPUTE_PGM_RSRC2:USER_SGPR: 6
; COMPUTE_PGM_RSRC2:TRAP_HANDLER: 0
; COMPUTE_PGM_RSRC2:TGID_X_EN: 1
; COMPUTE_PGM_RSRC2:TGID_Y_EN: 0
; COMPUTE_PGM_RSRC2:TGID_Z_EN: 1
; COMPUTE_PGM_RSRC2:TIDIG_COMP_CNT: 1
	.section	.text._ZL36rocblas_hemvn_kernel_lower_block_sumILi64ElPK19rocblas_complex_numIdEPKPS1_S1_EviT1_lS7_lT2_lT0_lPT3_i,"axG",@progbits,_ZL36rocblas_hemvn_kernel_lower_block_sumILi64ElPK19rocblas_complex_numIdEPKPS1_S1_EviT1_lS7_lT2_lT0_lPT3_i,comdat
	.globl	_ZL36rocblas_hemvn_kernel_lower_block_sumILi64ElPK19rocblas_complex_numIdEPKPS1_S1_EviT1_lS7_lT2_lT0_lPT3_i ; -- Begin function _ZL36rocblas_hemvn_kernel_lower_block_sumILi64ElPK19rocblas_complex_numIdEPKPS1_S1_EviT1_lS7_lT2_lT0_lPT3_i
	.p2align	8
	.type	_ZL36rocblas_hemvn_kernel_lower_block_sumILi64ElPK19rocblas_complex_numIdEPKPS1_S1_EviT1_lS7_lT2_lT0_lPT3_i,@function
_ZL36rocblas_hemvn_kernel_lower_block_sumILi64ElPK19rocblas_complex_numIdEPKPS1_S1_EviT1_lS7_lT2_lT0_lPT3_i: ; @_ZL36rocblas_hemvn_kernel_lower_block_sumILi64ElPK19rocblas_complex_numIdEPKPS1_S1_EviT1_lS7_lT2_lT0_lPT3_i
; %bb.0:
	s_load_dwordx8 s[20:27], s[4:5], 0x8
	s_mov_b32 s18, s7
	s_waitcnt lgkmcnt(0)
	s_mul_i32 s0, s23, s7
	s_mul_hi_u32 s1, s22, s7
	s_add_i32 s1, s1, s0
	s_mul_i32 s0, s22, s7
	s_lshl_b64 s[0:1], s[0:1], 4
	s_add_u32 s0, s20, s0
	s_addc_u32 s1, s21, s1
	s_load_dwordx4 s[12:15], s[0:1], 0x0
	s_mul_i32 s7, s27, s7
	s_mul_hi_u32 s9, s26, s18
	s_mul_i32 s8, s26, s18
	s_add_i32 s9, s9, s7
	s_waitcnt lgkmcnt(0)
	v_cmp_neq_f64_e64 s[0:1], s[12:13], 0
	v_cmp_neq_f64_e64 s[2:3], s[14:15], 0
	s_lshl_b64 s[8:9], s[8:9], 4
	s_add_u32 s16, s24, s8
	s_addc_u32 s17, s25, s9
	s_load_dwordx4 s[8:11], s[16:17], 0x0
	s_or_b64 s[0:1], s[0:1], s[2:3]
	s_mov_b64 s[2:3], -1
	s_and_b64 vcc, exec, s[0:1]
	s_cbranch_vccnz .LBB57_2
; %bb.1:
	s_waitcnt lgkmcnt(0)
	v_cmp_neq_f64_e64 s[2:3], s[8:9], 1.0
	v_cmp_neq_f64_e64 s[16:17], s[10:11], 0
	s_or_b64 s[2:3], s[2:3], s[16:17]
.LBB57_2:
	s_andn2_b64 vcc, exec, s[2:3]
	s_cbranch_vccnz .LBB57_22
; %bb.3:
	s_load_dwordx2 s[16:17], s[4:5], 0x28
	s_mov_b32 s19, 0
	s_xor_b64 s[22:23], s[0:1], -1
	s_lshl_b64 s[24:25], s[18:19], 3
	s_load_dword s20, s[4:5], 0x0
	s_load_dwordx4 s[0:3], s[4:5], 0x30
	s_waitcnt lgkmcnt(0)
	s_add_u32 s16, s16, s24
	s_addc_u32 s17, s17, s25
	s_load_dwordx2 s[16:17], s[16:17], 0x0
	v_lshl_or_b32 v6, s6, 6, v0
	s_lshl_b64 s[0:1], s[0:1], 4
	s_waitcnt lgkmcnt(0)
	s_add_u32 s7, s16, s0
	s_addc_u32 s19, s17, s1
	s_andn2_b64 vcc, exec, s[22:23]
	v_cmp_gt_i32_e64 s[0:1], s20, v6
	s_cbranch_vccnz .LBB57_8
; %bb.4:
	s_mov_b64 s[22:23], 0
	s_mov_b64 s[16:17], 0
                                        ; implicit-def: $vgpr2_vgpr3
                                        ; implicit-def: $vgpr4_vgpr5
	s_and_saveexec_b64 s[24:25], s[0:1]
	s_cbranch_execz .LBB57_9
; %bb.5:
	v_cmp_neq_f64_e64 s[0:1], s[8:9], 0
	v_cmp_neq_f64_e64 s[16:17], s[10:11], 0
	v_ashrrev_i32_e32 v0, 31, v6
	v_mul_lo_u32 v7, s3, v6
	v_mad_u64_u32 v[4:5], s[26:27], s2, v6, 0
	v_mul_lo_u32 v8, s2, v0
	v_mov_b32_e32 v2, 0
	v_mov_b32_e32 v0, 0
	s_or_b64 s[0:1], s[0:1], s[16:17]
	v_mov_b32_e32 v3, 0
	s_andn2_b64 vcc, exec, s[0:1]
	v_mov_b32_e32 v1, 0
	v_add3_u32 v5, v5, v8, v7
	s_cbranch_vccnz .LBB57_7
; %bb.6:
	v_lshlrev_b64 v[0:1], 4, v[4:5]
	v_mov_b32_e32 v2, s19
	v_add_co_u32_e32 v0, vcc, s7, v0
	v_addc_co_u32_e32 v1, vcc, v2, v1, vcc
	flat_load_dwordx4 v[7:10], v[0:1]
	s_waitcnt vmcnt(0) lgkmcnt(0)
	v_mul_f64 v[0:1], s[10:11], v[9:10]
	v_mul_f64 v[2:3], s[8:9], v[9:10]
	v_fma_f64 v[0:1], s[8:9], v[7:8], -v[0:1]
	v_fma_f64 v[2:3], s[10:11], v[7:8], v[2:3]
.LBB57_7:
	s_mov_b64 s[16:17], exec
	s_or_b64 exec, exec, s[24:25]
	s_and_b64 vcc, exec, s[22:23]
	s_cbranch_vccnz .LBB57_10
	s_branch .LBB57_20
.LBB57_8:
	s_mov_b64 s[16:17], 0
                                        ; implicit-def: $vgpr2_vgpr3
                                        ; implicit-def: $vgpr4_vgpr5
	s_cbranch_execnz .LBB57_10
	s_branch .LBB57_20
.LBB57_9:
	s_or_b64 exec, exec, s[24:25]
	s_and_b64 vcc, exec, s[22:23]
	s_cbranch_vccz .LBB57_20
.LBB57_10:
	v_cmp_gt_i32_e32 vcc, s20, v6
                                        ; implicit-def: $vgpr2_vgpr3
                                        ; implicit-def: $vgpr4_vgpr5
	s_and_saveexec_b64 s[0:1], vcc
	s_cbranch_execz .LBB57_19
; %bb.11:
	s_load_dword s22, s[4:5], 0x58
	v_mov_b32_e32 v0, 0
	v_mov_b32_e32 v2, 0
	;; [unrolled: 1-line block ×4, first 2 shown]
	s_waitcnt lgkmcnt(0)
	s_cmp_ge_i32 s6, s22
	s_cbranch_scc1 .LBB57_14
; %bb.12:
	s_ashr_i32 s21, s20, 31
	s_mul_i32 s23, s20, s6
	s_load_dwordx2 s[4:5], s[4:5], 0x48
	v_add_u32_e32 v0, s23, v6
	s_mul_hi_u32 s23, s20, s18
	s_mul_i32 s24, s21, s18
	s_add_i32 s23, s23, s24
	s_mul_i32 s18, s20, s18
	s_mul_i32 s23, s23, s22
	s_mul_hi_u32 s24, s18, s22
	s_add_i32 s25, s24, s23
	s_mul_i32 s24, s18, s22
	v_ashrrev_i32_e32 v1, 31, v0
	s_lshl_b64 s[24:25], s[24:25], 4
	v_lshlrev_b64 v[0:1], 4, v[0:1]
	s_waitcnt lgkmcnt(0)
	s_add_u32 s4, s4, s24
	s_addc_u32 s5, s5, s25
	v_mov_b32_e32 v2, s5
	v_add_co_u32_e32 v0, vcc, s4, v0
	v_addc_co_u32_e32 v1, vcc, v2, v1, vcc
	v_add_co_u32_e32 v4, vcc, 8, v0
	v_addc_co_u32_e32 v5, vcc, 0, v1, vcc
	s_lshl_b64 s[4:5], s[20:21], 4
	v_mov_b32_e32 v0, 0
	v_mov_b32_e32 v2, 0
	;; [unrolled: 1-line block ×5, first 2 shown]
.LBB57_13:                              ; =>This Inner Loop Header: Depth=1
	global_load_dwordx4 v[8:11], v[4:5], off offset:-8
	s_add_i32 s6, s6, 1
	v_add_co_u32_e32 v4, vcc, s4, v4
	s_cmp_ge_i32 s6, s22
	v_addc_co_u32_e32 v5, vcc, v5, v7, vcc
	s_waitcnt vmcnt(0)
	v_add_f64 v[2:3], v[2:3], v[8:9]
	v_add_f64 v[0:1], v[0:1], v[10:11]
	s_cbranch_scc0 .LBB57_13
.LBB57_14:
	v_mul_f64 v[4:5], s[14:15], v[0:1]
	v_mul_f64 v[7:8], s[12:13], v[0:1]
	v_cmp_neq_f64_e64 s[4:5], s[8:9], 0
	v_cmp_neq_f64_e64 s[20:21], s[10:11], 0
	v_fma_f64 v[0:1], s[12:13], v[2:3], -v[4:5]
	v_fma_f64 v[2:3], s[14:15], v[2:3], v[7:8]
	v_ashrrev_i32_e32 v4, 31, v6
	v_mul_lo_u32 v7, s3, v6
	v_mul_lo_u32 v8, s2, v4
	s_or_b64 s[4:5], s[4:5], s[20:21]
	s_andn2_b64 vcc, exec, s[4:5]
	s_mov_b64 s[4:5], 0
	s_cbranch_vccz .LBB57_16
; %bb.15:
	v_mad_u64_u32 v[4:5], s[12:13], s2, v6, 0
	v_add3_u32 v5, v5, v8, v7
	s_andn2_b64 vcc, exec, s[4:5]
	s_cbranch_vccz .LBB57_17
	s_branch .LBB57_18
.LBB57_16:
                                        ; implicit-def: $vgpr4_vgpr5
.LBB57_17:
	v_mad_u64_u32 v[4:5], s[2:3], s2, v6, 0
	v_mov_b32_e32 v9, s19
	v_add3_u32 v5, v5, v8, v7
	v_lshlrev_b64 v[6:7], 4, v[4:5]
	v_add_co_u32_e32 v6, vcc, s7, v6
	v_addc_co_u32_e32 v7, vcc, v9, v7, vcc
	flat_load_dwordx4 v[6:9], v[6:7]
	s_waitcnt vmcnt(0) lgkmcnt(0)
	v_mul_f64 v[10:11], s[10:11], v[8:9]
	v_mul_f64 v[8:9], s[8:9], v[8:9]
	v_fma_f64 v[10:11], s[8:9], v[6:7], -v[10:11]
	v_fma_f64 v[6:7], s[10:11], v[6:7], v[8:9]
	v_add_f64 v[0:1], v[0:1], v[10:11]
	v_add_f64 v[2:3], v[2:3], v[6:7]
.LBB57_18:
	s_or_b64 s[16:17], s[16:17], exec
.LBB57_19:
	s_or_b64 exec, exec, s[0:1]
.LBB57_20:
	s_and_saveexec_b64 s[0:1], s[16:17]
	s_cbranch_execz .LBB57_22
; %bb.21:
	v_lshlrev_b64 v[4:5], 4, v[4:5]
	v_mov_b32_e32 v6, s19
	v_add_co_u32_e32 v4, vcc, s7, v4
	v_addc_co_u32_e32 v5, vcc, v6, v5, vcc
	flat_store_dwordx4 v[4:5], v[0:3]
.LBB57_22:
	s_endpgm
	.section	.rodata,"a",@progbits
	.p2align	6, 0x0
	.amdhsa_kernel _ZL36rocblas_hemvn_kernel_lower_block_sumILi64ElPK19rocblas_complex_numIdEPKPS1_S1_EviT1_lS7_lT2_lT0_lPT3_i
		.amdhsa_group_segment_fixed_size 0
		.amdhsa_private_segment_fixed_size 0
		.amdhsa_kernarg_size 344
		.amdhsa_user_sgpr_count 6
		.amdhsa_user_sgpr_private_segment_buffer 1
		.amdhsa_user_sgpr_dispatch_ptr 0
		.amdhsa_user_sgpr_queue_ptr 0
		.amdhsa_user_sgpr_kernarg_segment_ptr 1
		.amdhsa_user_sgpr_dispatch_id 0
		.amdhsa_user_sgpr_flat_scratch_init 0
		.amdhsa_user_sgpr_private_segment_size 0
		.amdhsa_uses_dynamic_stack 0
		.amdhsa_system_sgpr_private_segment_wavefront_offset 0
		.amdhsa_system_sgpr_workgroup_id_x 1
		.amdhsa_system_sgpr_workgroup_id_y 0
		.amdhsa_system_sgpr_workgroup_id_z 1
		.amdhsa_system_sgpr_workgroup_info 0
		.amdhsa_system_vgpr_workitem_id 0
		.amdhsa_next_free_vgpr 12
		.amdhsa_next_free_sgpr 28
		.amdhsa_reserve_vcc 1
		.amdhsa_reserve_flat_scratch 0
		.amdhsa_float_round_mode_32 0
		.amdhsa_float_round_mode_16_64 0
		.amdhsa_float_denorm_mode_32 3
		.amdhsa_float_denorm_mode_16_64 3
		.amdhsa_dx10_clamp 1
		.amdhsa_ieee_mode 1
		.amdhsa_fp16_overflow 0
		.amdhsa_exception_fp_ieee_invalid_op 0
		.amdhsa_exception_fp_denorm_src 0
		.amdhsa_exception_fp_ieee_div_zero 0
		.amdhsa_exception_fp_ieee_overflow 0
		.amdhsa_exception_fp_ieee_underflow 0
		.amdhsa_exception_fp_ieee_inexact 0
		.amdhsa_exception_int_div_zero 0
	.end_amdhsa_kernel
	.section	.text._ZL36rocblas_hemvn_kernel_lower_block_sumILi64ElPK19rocblas_complex_numIdEPKPS1_S1_EviT1_lS7_lT2_lT0_lPT3_i,"axG",@progbits,_ZL36rocblas_hemvn_kernel_lower_block_sumILi64ElPK19rocblas_complex_numIdEPKPS1_S1_EviT1_lS7_lT2_lT0_lPT3_i,comdat
.Lfunc_end57:
	.size	_ZL36rocblas_hemvn_kernel_lower_block_sumILi64ElPK19rocblas_complex_numIdEPKPS1_S1_EviT1_lS7_lT2_lT0_lPT3_i, .Lfunc_end57-_ZL36rocblas_hemvn_kernel_lower_block_sumILi64ElPK19rocblas_complex_numIdEPKPS1_S1_EviT1_lS7_lT2_lT0_lPT3_i
                                        ; -- End function
	.set _ZL36rocblas_hemvn_kernel_lower_block_sumILi64ElPK19rocblas_complex_numIdEPKPS1_S1_EviT1_lS7_lT2_lT0_lPT3_i.num_vgpr, 12
	.set _ZL36rocblas_hemvn_kernel_lower_block_sumILi64ElPK19rocblas_complex_numIdEPKPS1_S1_EviT1_lS7_lT2_lT0_lPT3_i.num_agpr, 0
	.set _ZL36rocblas_hemvn_kernel_lower_block_sumILi64ElPK19rocblas_complex_numIdEPKPS1_S1_EviT1_lS7_lT2_lT0_lPT3_i.numbered_sgpr, 28
	.set _ZL36rocblas_hemvn_kernel_lower_block_sumILi64ElPK19rocblas_complex_numIdEPKPS1_S1_EviT1_lS7_lT2_lT0_lPT3_i.num_named_barrier, 0
	.set _ZL36rocblas_hemvn_kernel_lower_block_sumILi64ElPK19rocblas_complex_numIdEPKPS1_S1_EviT1_lS7_lT2_lT0_lPT3_i.private_seg_size, 0
	.set _ZL36rocblas_hemvn_kernel_lower_block_sumILi64ElPK19rocblas_complex_numIdEPKPS1_S1_EviT1_lS7_lT2_lT0_lPT3_i.uses_vcc, 1
	.set _ZL36rocblas_hemvn_kernel_lower_block_sumILi64ElPK19rocblas_complex_numIdEPKPS1_S1_EviT1_lS7_lT2_lT0_lPT3_i.uses_flat_scratch, 0
	.set _ZL36rocblas_hemvn_kernel_lower_block_sumILi64ElPK19rocblas_complex_numIdEPKPS1_S1_EviT1_lS7_lT2_lT0_lPT3_i.has_dyn_sized_stack, 0
	.set _ZL36rocblas_hemvn_kernel_lower_block_sumILi64ElPK19rocblas_complex_numIdEPKPS1_S1_EviT1_lS7_lT2_lT0_lPT3_i.has_recursion, 0
	.set _ZL36rocblas_hemvn_kernel_lower_block_sumILi64ElPK19rocblas_complex_numIdEPKPS1_S1_EviT1_lS7_lT2_lT0_lPT3_i.has_indirect_call, 0
	.section	.AMDGPU.csdata,"",@progbits
; Kernel info:
; codeLenInByte = 932
; TotalNumSgprs: 32
; NumVgprs: 12
; ScratchSize: 0
; MemoryBound: 0
; FloatMode: 240
; IeeeMode: 1
; LDSByteSize: 0 bytes/workgroup (compile time only)
; SGPRBlocks: 3
; VGPRBlocks: 2
; NumSGPRsForWavesPerEU: 32
; NumVGPRsForWavesPerEU: 12
; Occupancy: 10
; WaveLimiterHint : 1
; COMPUTE_PGM_RSRC2:SCRATCH_EN: 0
; COMPUTE_PGM_RSRC2:USER_SGPR: 6
; COMPUTE_PGM_RSRC2:TRAP_HANDLER: 0
; COMPUTE_PGM_RSRC2:TGID_X_EN: 1
; COMPUTE_PGM_RSRC2:TGID_Y_EN: 0
; COMPUTE_PGM_RSRC2:TGID_Z_EN: 1
; COMPUTE_PGM_RSRC2:TIDIG_COMP_CNT: 0
	.section	.text._ZL26rocblas_hemvn_kernel_lowerILb1ELi64ELi4ELi33ELi32ELi16EiPK19rocblas_complex_numIdEPKS3_PS1_EviT6_lT7_lT5_lS8_lS9_lS7_lT8_i,"axG",@progbits,_ZL26rocblas_hemvn_kernel_lowerILb1ELi64ELi4ELi33ELi32ELi16EiPK19rocblas_complex_numIdEPKS3_PS1_EviT6_lT7_lT5_lS8_lS9_lS7_lT8_i,comdat
	.globl	_ZL26rocblas_hemvn_kernel_lowerILb1ELi64ELi4ELi33ELi32ELi16EiPK19rocblas_complex_numIdEPKS3_PS1_EviT6_lT7_lT5_lS8_lS9_lS7_lT8_i ; -- Begin function _ZL26rocblas_hemvn_kernel_lowerILb1ELi64ELi4ELi33ELi32ELi16EiPK19rocblas_complex_numIdEPKS3_PS1_EviT6_lT7_lT5_lS8_lS9_lS7_lT8_i
	.p2align	8
	.type	_ZL26rocblas_hemvn_kernel_lowerILb1ELi64ELi4ELi33ELi32ELi16EiPK19rocblas_complex_numIdEPKS3_PS1_EviT6_lT7_lT5_lS8_lS9_lS7_lT8_i,@function
_ZL26rocblas_hemvn_kernel_lowerILb1ELi64ELi4ELi33ELi32ELi16EiPK19rocblas_complex_numIdEPKS3_PS1_EviT6_lT7_lT5_lS8_lS9_lS7_lT8_i: ; @_ZL26rocblas_hemvn_kernel_lowerILb1ELi64ELi4ELi33ELi32ELi16EiPK19rocblas_complex_numIdEPKS3_PS1_EviT6_lT7_lT5_lS8_lS9_lS7_lT8_i
; %bb.0:
	s_load_dwordx2 s[0:1], s[4:5], 0x84
	s_add_u32 s16, s4, 0x78
	s_addc_u32 s17, s5, 0
	s_waitcnt lgkmcnt(0)
	s_lshr_b32 s2, s0, 16
	s_and_b32 s0, s0, 0xffff
	s_and_b32 s1, s1, 0xffff
	s_mul_i32 s0, s2, s0
	s_mul_i32 s0, s0, s1
	s_cmpk_lg_i32 s0, 0x100
	s_cbranch_scc1 .LBB58_150
; %bb.1:
	s_load_dwordx8 s[8:15], s[4:5], 0x8
	s_mov_b32 s20, s7
	v_mov_b32_e32 v2, v1
	s_mov_b32 s21, 0
	s_waitcnt lgkmcnt(0)
	s_mul_i32 s1, s11, s7
	s_mul_hi_u32 s2, s10, s7
	s_mul_i32 s0, s10, s7
	s_add_i32 s1, s2, s1
	s_lshl_b64 s[0:1], s[0:1], 4
	s_add_u32 s8, s8, s0
	s_addc_u32 s9, s9, s1
	s_load_dwordx4 s[0:3], s[8:9], 0x0
	s_waitcnt lgkmcnt(0)
	v_cmp_neq_f64_e64 s[8:9], s[0:1], 0
	v_cmp_neq_f64_e64 s[10:11], s[2:3], 0
	s_load_dwordx2 s[22:23], s[4:5], 0x68
	s_load_dwordx4 s[0:3], s[4:5], 0x58
	s_or_b64 s[10:11], s[8:9], s[10:11]
	s_mov_b64 s[8:9], -1
	s_and_b64 vcc, exec, s[10:11]
	s_cbranch_vccnz .LBB58_3
; %bb.2:
	s_waitcnt lgkmcnt(0)
	s_mul_i32 s3, s3, s20
	s_mul_hi_u32 s7, s2, s20
	s_add_i32 s3, s7, s3
	s_mul_i32 s2, s2, s20
	s_lshl_b64 s[2:3], s[2:3], 4
	s_add_u32 s8, s0, s2
	s_addc_u32 s9, s1, s3
	s_load_dwordx4 s[0:3], s[8:9], 0x0
	s_mov_b64 s[8:9], 0
	s_waitcnt lgkmcnt(0)
	v_cmp_eq_f64_e64 s[0:1], s[0:1], 1.0
	v_cmp_eq_f64_e64 s[2:3], s[2:3], 0
	s_and_b64 s[0:1], s[0:1], s[2:3]
	s_andn2_b64 vcc, exec, s[0:1]
.LBB58_3:
	s_andn2_b64 vcc, exec, s[8:9]
	s_cbranch_vccnz .LBB58_150
; %bb.4:
	s_waitcnt lgkmcnt(0)
	s_load_dwordx4 s[0:3], s[4:5], 0x38
	s_load_dword s7, s[4:5], 0x48
	s_lshl_b64 s[8:9], s[20:21], 3
	s_add_u32 s10, s12, s8
	s_addc_u32 s11, s13, s9
	s_waitcnt lgkmcnt(0)
	s_add_u32 s0, s0, s8
	s_addc_u32 s1, s1, s9
	s_load_dwordx2 s[12:13], s[0:1], 0x0
	s_load_dword s21, s[4:5], 0x0
	s_load_dword s33, s[16:17], 0x0
	s_load_dwordx2 s[8:9], s[10:11], 0x0
	s_lshl_b64 s[0:1], s[2:3], 4
	s_waitcnt lgkmcnt(0)
	s_add_u32 s0, s12, s0
	s_addc_u32 s1, s13, s1
	s_lshl_b32 s26, s6, 6
	v_add_u32_e32 v143, s26, v0
	v_mul_lo_u32 v3, s7, v143
	s_ashr_i32 s42, s21, 31
	s_lshr_b32 s3, s42, 26
	s_add_i32 s3, s21, s3
	v_ashrrev_i32_e32 v4, 31, v3
	s_andn2_b32 s3, s3, 63
	v_lshlrev_b64 v[3:4], 4, v[3:4]
	s_add_i32 s2, s33, -1
	s_sub_i32 s3, s21, s3
	s_cmp_eq_u32 s6, s2
	v_mov_b32_e32 v1, s1
	v_add_co_u32_e32 v39, vcc, s0, v3
	s_cselect_b32 s24, s3, 0
	v_addc_co_u32_e32 v40, vcc, v1, v4, vcc
	v_cmp_ne_u32_e64 s[0:1], 0, v2
	v_cmp_eq_u32_e64 s[2:3], 0, v2
	s_and_saveexec_b64 s[10:11], s[2:3]
	s_cbranch_execz .LBB58_9
; %bb.5:
	s_cmp_lg_u32 s24, 0
	s_cselect_b64 s[12:13], -1, 0
	v_cmp_le_i32_e32 vcc, s24, v0
	v_mov_b32_e32 v1, 0x4700
	s_and_b64 s[12:13], s[12:13], vcc
	v_lshl_add_u32 v1, v0, 4, v1
	s_and_saveexec_b64 s[16:17], s[12:13]
	s_xor_b64 s[12:13], exec, s[16:17]
; %bb.6:
	v_mov_b32_e32 v3, 0
	v_mov_b32_e32 v4, v3
	;; [unrolled: 1-line block ×4, first 2 shown]
	ds_write_b128 v1, v[3:6]
                                        ; implicit-def: $vgpr1
; %bb.7:
	s_andn2_saveexec_b64 s[12:13], s[12:13]
	s_cbranch_execz .LBB58_9
; %bb.8:
	flat_load_dwordx4 v[3:6], v[39:40]
	s_waitcnt vmcnt(0) lgkmcnt(0)
	ds_write2_b64 v1, v[3:4], v[5:6] offset1:1
.LBB58_9:
	s_or_b64 exec, exec, s[10:11]
	s_load_dword s28, s[4:5], 0x28
	v_lshl_add_u32 v45, v2, 6, v0
	v_and_b32_e32 v1, 31, v0
	v_lshrrev_b32_e32 v13, 5, v45
	s_lshl_b64 s[10:11], s[14:15], 4
	s_waitcnt lgkmcnt(0)
	v_mad_u64_u32 v[3:4], s[4:5], s28, v13, v[1:2]
	s_add_u32 s8, s8, s10
	s_addc_u32 s9, s9, s11
	s_ashr_i32 s27, s26, 31
	v_ashrrev_i32_e32 v4, 31, v3
	s_lshl_b64 s[4:5], s[26:27], 4
	v_lshlrev_b64 v[41:42], 4, v[3:4]
	s_add_u32 s4, s8, s4
	s_addc_u32 s5, s9, s5
	v_add_co_u32_e32 v4, vcc, s4, v41
	s_mul_i32 s4, s28, s26
	v_mov_b32_e32 v3, s5
	s_ashr_i32 s5, s4, 31
	v_addc_co_u32_e32 v3, vcc, v3, v42, vcc
	s_lshl_b64 s[30:31], s[4:5], 4
	v_mov_b32_e32 v5, s31
	v_add_co_u32_e32 v7, vcc, s30, v4
	s_cmp_lg_u32 s24, 0
	v_addc_co_u32_e32 v8, vcc, v3, v5, vcc
	s_cselect_b64 s[34:35], -1, 0
	s_cmp_eq_u32 s24, 0
	s_cselect_b64 s[16:17], -1, 0
	s_mov_b64 s[4:5], -1
	s_and_b64 vcc, exec, s[34:35]
	s_cbranch_vccnz .LBB58_11
; %bb.10:
	flat_load_dwordx4 v[3:6], v[7:8]
	s_lshl_b32 s4, s28, 3
	s_ashr_i32 s5, s4, 31
	v_mul_u32_u24_e32 v9, 0x210, v13
	s_lshl_b64 s[4:5], s[4:5], 4
	v_lshl_add_u32 v11, v1, 4, v9
	v_mov_b32_e32 v10, s5
	v_add_co_u32_e32 v9, vcc, s4, v7
	v_addc_co_u32_e32 v10, vcc, v8, v10, vcc
	s_ashr_i32 s29, s28, 31
	s_lshl_b64 s[4:5], s[28:29], 7
	v_add_u32_e32 v12, 0x1080, v11
	v_mov_b32_e32 v14, s5
	s_waitcnt vmcnt(0) lgkmcnt(0)
	ds_write2_b64 v11, v[3:4], v[5:6] offset1:1
	flat_load_dwordx4 v[3:6], v[9:10]
	v_add_co_u32_e32 v9, vcc, s4, v9
	v_addc_co_u32_e32 v10, vcc, v10, v14, vcc
	s_waitcnt vmcnt(0) lgkmcnt(0)
	ds_write2_b64 v12, v[3:4], v[5:6] offset1:1
	flat_load_dwordx4 v[3:6], v[9:10]
	v_add_u32_e32 v12, 0x2100, v11
	v_add_co_u32_e32 v9, vcc, s4, v9
	v_addc_co_u32_e32 v10, vcc, v10, v14, vcc
	s_mov_b64 s[4:5], 0
	s_waitcnt vmcnt(0) lgkmcnt(0)
	ds_write2_b64 v12, v[3:4], v[5:6] offset1:1
	flat_load_dwordx4 v[3:6], v[9:10]
	v_add_u32_e32 v9, 0x3180, v11
	s_waitcnt vmcnt(0) lgkmcnt(0)
	ds_write2_b64 v9, v[3:4], v[5:6] offset1:1
.LBB58_11:
	s_andn2_b64 vcc, exec, s[4:5]
	v_lshlrev_b32_e32 v14, 4, v1
	s_cbranch_vccnz .LBB58_29
; %bb.12:
	v_sub_co_u32_e32 v3, vcc, v7, v14
	s_ashr_i32 s25, s24, 31
	v_subbrev_co_u32_e32 v4, vcc, 0, v8, vcc
	s_lshl_b64 s[8:9], s[24:25], 4
	v_mov_b32_e32 v5, s9
	v_add_co_u32_e32 v3, vcc, s8, v3
	v_addc_co_u32_e32 v4, vcc, v4, v5, vcc
	v_add_co_u32_e32 v3, vcc, -16, v3
	v_addc_co_u32_e32 v4, vcc, -1, v4, vcc
	v_cmp_gt_i32_e32 vcc, s24, v1
	s_movk_i32 s10, 0x210
	v_cndmask_b32_e32 v4, v4, v8, vcc
	v_cndmask_b32_e32 v3, v3, v7, vcc
	v_cmp_le_i32_e64 s[4:5], s24, v13
	v_mad_u32_u24 v5, v13, s10, v14
	s_and_saveexec_b64 s[10:11], s[4:5]
	s_xor_b64 s[4:5], exec, s[10:11]
; %bb.13:
	v_mov_b32_e32 v9, 0
	v_mov_b32_e32 v10, v9
	;; [unrolled: 1-line block ×4, first 2 shown]
	ds_write_b128 v5, v[9:12]
                                        ; implicit-def: $vgpr5
; %bb.14:
	s_andn2_saveexec_b64 s[4:5], s[4:5]
	s_cbranch_execz .LBB58_16
; %bb.15:
	flat_load_dwordx4 v[9:12], v[3:4]
	s_waitcnt vmcnt(0) lgkmcnt(0)
	ds_write2_b64 v5, v[9:10], v[11:12] offset1:1
.LBB58_16:
	s_or_b64 exec, exec, s[4:5]
	v_add_u32_e32 v6, 8, v13
	v_mul_u32_u24_e32 v5, 0x210, v13
	v_cmp_le_i32_e64 s[4:5], s24, v6
	s_and_saveexec_b64 s[10:11], s[4:5]
	s_xor_b64 s[4:5], exec, s[10:11]
	s_cbranch_execz .LBB58_18
; %bb.17:
	v_mov_b32_e32 v9, 0
	v_add_u32_e32 v6, v5, v14
	v_mov_b32_e32 v10, v9
	v_mov_b32_e32 v11, v9
	;; [unrolled: 1-line block ×3, first 2 shown]
	ds_write_b128 v6, v[9:12] offset:4224
.LBB58_18:
	s_andn2_saveexec_b64 s[10:11], s[4:5]
	s_cbranch_execz .LBB58_20
; %bb.19:
	s_lshl_b32 s4, s28, 3
	s_ashr_i32 s5, s4, 31
	s_lshl_b64 s[4:5], s[4:5], 4
	v_mov_b32_e32 v6, s5
	v_add_co_u32_e64 v9, s[4:5], s4, v3
	v_addc_co_u32_e64 v10, s[4:5], v4, v6, s[4:5]
	flat_load_dwordx4 v[9:12], v[9:10]
	s_movk_i32 s4, 0x1080
	v_add3_u32 v6, v5, v14, s4
	s_waitcnt vmcnt(0) lgkmcnt(0)
	ds_write2_b64 v6, v[9:10], v[11:12] offset1:1
.LBB58_20:
	s_or_b64 exec, exec, s[10:11]
	v_add_u32_e32 v6, 16, v13
	v_cmp_le_i32_e64 s[4:5], s24, v6
	s_and_saveexec_b64 s[10:11], s[4:5]
	s_xor_b64 s[4:5], exec, s[10:11]
	s_cbranch_execz .LBB58_22
; %bb.21:
	v_mov_b32_e32 v9, 0
	v_add_u32_e32 v6, v5, v14
	v_mov_b32_e32 v10, v9
	v_mov_b32_e32 v11, v9
	;; [unrolled: 1-line block ×3, first 2 shown]
	ds_write_b128 v6, v[9:12] offset:8448
.LBB58_22:
	s_andn2_saveexec_b64 s[10:11], s[4:5]
	s_cbranch_execz .LBB58_24
; %bb.23:
	s_lshl_b32 s4, s28, 4
	s_ashr_i32 s5, s4, 31
	s_lshl_b64 s[4:5], s[4:5], 4
	v_mov_b32_e32 v6, s5
	v_add_co_u32_e64 v9, s[4:5], s4, v3
	v_addc_co_u32_e64 v10, s[4:5], v4, v6, s[4:5]
	flat_load_dwordx4 v[9:12], v[9:10]
	s_movk_i32 s4, 0x2100
	v_add3_u32 v6, v5, v14, s4
	s_waitcnt vmcnt(0) lgkmcnt(0)
	ds_write2_b64 v6, v[9:10], v[11:12] offset1:1
.LBB58_24:
	s_or_b64 exec, exec, s[10:11]
	v_add_u32_e32 v6, 24, v13
	v_cmp_le_i32_e64 s[4:5], s24, v6
	s_and_saveexec_b64 s[10:11], s[4:5]
	s_xor_b64 s[4:5], exec, s[10:11]
	s_cbranch_execz .LBB58_26
; %bb.25:
	v_mov_b32_e32 v9, 0
	v_add_u32_e32 v5, v5, v14
	v_mov_b32_e32 v10, v9
	v_mov_b32_e32 v11, v9
	;; [unrolled: 1-line block ×3, first 2 shown]
	ds_write_b128 v5, v[9:12] offset:12672
                                        ; implicit-def: $vgpr5
.LBB58_26:
	s_andn2_saveexec_b64 s[10:11], s[4:5]
	s_cbranch_execz .LBB58_28
; %bb.27:
	s_mul_i32 s4, s28, 24
	s_ashr_i32 s5, s4, 31
	s_lshl_b64 s[4:5], s[4:5], 4
	v_mov_b32_e32 v6, s5
	v_add_co_u32_e64 v9, s[4:5], s4, v3
	v_addc_co_u32_e64 v10, s[4:5], v4, v6, s[4:5]
	flat_load_dwordx4 v[9:12], v[9:10]
	s_movk_i32 s4, 0x3180
	v_add3_u32 v5, v5, v14, s4
	s_waitcnt vmcnt(0) lgkmcnt(0)
	ds_write2_b64 v5, v[9:10], v[11:12] offset1:1
.LBB58_28:
	s_or_b64 exec, exec, s[10:11]
	v_add_co_u32_e64 v3, s[4:5], v3, v14
	v_addc_co_u32_e64 v4, s[4:5], 0, v4, s[4:5]
	v_mov_b32_e32 v5, s9
	v_subrev_co_u32_e64 v3, s[4:5], s8, v3
	v_subb_co_u32_e64 v4, s[4:5], v4, v5, s[4:5]
	v_add_co_u32_e64 v3, s[4:5], 16, v3
	v_addc_co_u32_e64 v4, s[4:5], 0, v4, s[4:5]
	v_cndmask_b32_e32 v8, v4, v8, vcc
	v_cndmask_b32_e32 v7, v3, v7, vcc
.LBB58_29:
	v_lshlrev_b32_e32 v15, 2, v13
	v_mul_u32_u24_e32 v16, 0x210, v1
	v_cmp_ge_u32_e64 s[18:19], v15, v1
	s_mov_b64 s[4:5], 0
	s_waitcnt lgkmcnt(0)
	s_barrier
                                        ; implicit-def: $vgpr10
	s_and_saveexec_b64 s[8:9], s[18:19]
	s_xor_b64 s[8:9], exec, s[8:9]
	s_cbranch_execz .LBB58_33
; %bb.30:
	v_cmp_eq_u32_e32 vcc, v15, v1
                                        ; implicit-def: $vgpr10
	s_and_saveexec_b64 s[10:11], vcc
	s_xor_b64 s[10:11], exec, s[10:11]
; %bb.31:
	s_mov_b64 s[4:5], exec
	v_add_u32_e32 v10, v14, v16
; %bb.32:
	s_or_b64 exec, exec, s[10:11]
	s_and_b64 s[4:5], s[4:5], exec
.LBB58_33:
	s_or_saveexec_b64 s[8:9], s[8:9]
	v_mov_b32_e32 v5, 0
	v_mov_b32_e32 v6, 0
	v_lshl_or_b32 v9, v1, 9, v14
	s_xor_b64 exec, exec, s[8:9]
	s_cbranch_execz .LBB58_35
; %bb.34:
	s_movk_i32 s10, 0x840
	v_mad_u32_u24 v3, v13, s10, v14
	ds_read_b128 v[3:6], v3
	v_lshl_add_u32 v10, v15, 4, v9
	s_or_b64 s[4:5], s[4:5], exec
	s_waitcnt lgkmcnt(0)
	v_xor_b32_e32 v6, 0x80000000, v6
	ds_write_b64 v10, v[3:4]
.LBB58_35:
	s_or_b64 exec, exec, s[8:9]
	s_and_saveexec_b64 s[8:9], s[4:5]
; %bb.36:
	ds_write_b64 v10, v[5:6] offset:8
; %bb.37:
	s_or_b64 exec, exec, s[8:9]
	v_or_b32_e32 v18, 1, v15
	v_cmp_ge_u32_e64 s[8:9], v18, v1
	s_mov_b64 s[4:5], 0
                                        ; implicit-def: $vgpr10
	s_and_saveexec_b64 s[10:11], s[8:9]
	s_xor_b64 s[10:11], exec, s[10:11]
	s_cbranch_execz .LBB58_41
; %bb.38:
	v_cmp_eq_u32_e32 vcc, v18, v1
                                        ; implicit-def: $vgpr10
	s_and_saveexec_b64 s[12:13], vcc
; %bb.39:
	s_mov_b64 s[4:5], exec
	v_add_u32_e32 v10, v14, v16
; %bb.40:
	s_or_b64 exec, exec, s[12:13]
	s_and_b64 s[4:5], s[4:5], exec
.LBB58_41:
	s_or_saveexec_b64 s[10:11], s[10:11]
	v_mov_b32_e32 v5, 0
	v_mov_b32_e32 v6, 0
	s_xor_b64 exec, exec, s[10:11]
	s_cbranch_execz .LBB58_43
; %bb.42:
	s_movk_i32 s12, 0x210
	v_mad_u32_u24 v3, v18, s12, v14
	ds_read_b128 v[3:6], v3
	v_lshl_add_u32 v11, v15, 4, v9
	v_add_u32_e32 v10, 16, v11
	s_or_b64 s[4:5], s[4:5], exec
	s_waitcnt lgkmcnt(0)
	v_xor_b32_e32 v6, 0x80000000, v6
	ds_write_b64 v11, v[3:4] offset:16
.LBB58_43:
	s_or_b64 exec, exec, s[10:11]
	s_and_saveexec_b64 s[10:11], s[4:5]
; %bb.44:
	ds_write_b64 v10, v[5:6] offset:8
; %bb.45:
	s_or_b64 exec, exec, s[10:11]
	v_or_b32_e32 v19, 2, v15
	v_cmp_ge_u32_e64 s[10:11], v19, v1
	s_mov_b64 s[4:5], 0
                                        ; implicit-def: $vgpr10
	s_and_saveexec_b64 s[12:13], s[10:11]
	s_xor_b64 s[12:13], exec, s[12:13]
	s_cbranch_execz .LBB58_49
; %bb.46:
	v_cmp_eq_u32_e32 vcc, v19, v1
                                        ; implicit-def: $vgpr10
	s_and_saveexec_b64 s[14:15], vcc
; %bb.47:
	s_mov_b64 s[4:5], exec
	v_add_u32_e32 v10, v14, v16
; %bb.48:
	s_or_b64 exec, exec, s[14:15]
	s_and_b64 s[4:5], s[4:5], exec
.LBB58_49:
	s_or_saveexec_b64 s[12:13], s[12:13]
	v_mov_b32_e32 v5, 0
	v_mov_b32_e32 v6, 0
	s_xor_b64 exec, exec, s[12:13]
	s_cbranch_execz .LBB58_51
; %bb.50:
	s_movk_i32 s14, 0x210
	v_mad_u32_u24 v3, v19, s14, v14
	ds_read_b128 v[3:6], v3
	v_lshl_add_u32 v11, v15, 4, v9
	v_add_u32_e32 v10, 32, v11
	s_or_b64 s[4:5], s[4:5], exec
	s_waitcnt lgkmcnt(0)
	v_xor_b32_e32 v6, 0x80000000, v6
	ds_write_b64 v11, v[3:4] offset:32
.LBB58_51:
	s_or_b64 exec, exec, s[12:13]
	s_and_saveexec_b64 s[12:13], s[4:5]
; %bb.52:
	ds_write_b64 v10, v[5:6] offset:8
; %bb.53:
	s_or_b64 exec, exec, s[12:13]
	v_or_b32_e32 v20, 3, v15
	v_cmp_ge_u32_e64 s[12:13], v20, v1
	s_mov_b64 s[4:5], 0
                                        ; implicit-def: $vgpr10
	s_and_saveexec_b64 s[14:15], s[12:13]
	s_xor_b64 s[14:15], exec, s[14:15]
	s_cbranch_execz .LBB58_57
; %bb.54:
	v_cmp_eq_u32_e32 vcc, v20, v1
                                        ; implicit-def: $vgpr10
	s_and_saveexec_b64 s[36:37], vcc
; %bb.55:
	s_mov_b64 s[4:5], exec
	v_add_u32_e32 v10, v14, v16
; %bb.56:
	s_or_b64 exec, exec, s[36:37]
	s_and_b64 s[4:5], s[4:5], exec
                                        ; implicit-def: $vgpr9
.LBB58_57:
	s_or_saveexec_b64 s[14:15], s[14:15]
	v_mov_b32_e32 v5, 0
	v_mov_b32_e32 v6, 0
	s_xor_b64 exec, exec, s[14:15]
	s_cbranch_execz .LBB58_59
; %bb.58:
	s_movk_i32 s25, 0x210
	v_mad_u32_u24 v3, v20, s25, v14
	ds_read_b128 v[3:6], v3
	v_lshl_add_u32 v9, v15, 4, v9
	v_add_u32_e32 v10, 48, v9
	s_or_b64 s[4:5], s[4:5], exec
	s_waitcnt lgkmcnt(0)
	v_xor_b32_e32 v6, 0x80000000, v6
	ds_write_b64 v9, v[3:4] offset:48
.LBB58_59:
	s_or_b64 exec, exec, s[14:15]
	s_and_saveexec_b64 s[14:15], s[4:5]
; %bb.60:
	ds_write_b64 v10, v[5:6] offset:8
; %bb.61:
	s_or_b64 exec, exec, s[14:15]
	s_movk_i32 s4, 0x840
	v_lshlrev_b32_e32 v9, 4, v15
	s_waitcnt lgkmcnt(0)
	s_barrier
	v_mad_u32_u24 v10, v13, s4, v14
	ds_read_b128 v[3:6], v9 offset:18176
	ds_read_b128 v[21:24], v10
	ds_read_b128 v[25:28], v9 offset:18192
	s_movk_i32 s4, 0x210
	v_mad_u32_u24 v12, v18, s4, v14
	ds_read_b128 v[29:32], v12
	ds_read_b128 v[33:36], v9 offset:18208
	s_waitcnt lgkmcnt(3)
	v_mul_f64 v[10:11], v[5:6], v[23:24]
	v_mul_f64 v[23:24], v[3:4], v[23:24]
	ds_read_b128 v[46:49], v12 offset:528
	s_waitcnt lgkmcnt(2)
	v_mul_f64 v[37:38], v[27:28], v[31:32]
	v_mul_f64 v[31:32], v[25:26], v[31:32]
	v_cmp_gt_u32_e64 s[4:5], 32, v45
	v_fma_f64 v[10:11], v[3:4], v[21:22], -v[10:11]
	v_fma_f64 v[43:44], v[5:6], v[21:22], v[23:24]
	ds_read_b128 v[3:6], v9 offset:18224
	ds_read_b128 v[21:24], v12 offset:1056
	v_fma_f64 v[25:26], v[25:26], v[29:30], -v[37:38]
	s_waitcnt lgkmcnt(2)
	v_mul_f64 v[37:38], v[35:36], v[48:49]
	v_fma_f64 v[27:28], v[27:28], v[29:30], v[31:32]
	v_mul_f64 v[29:30], v[33:34], v[48:49]
	s_waitcnt lgkmcnt(0)
	v_add_f64 v[10:11], v[10:11], 0
	v_add_f64 v[31:32], v[43:44], 0
	v_mul_f64 v[43:44], v[5:6], v[23:24]
	v_mul_f64 v[23:24], v[3:4], v[23:24]
	v_fma_f64 v[33:34], v[33:34], v[46:47], -v[37:38]
	s_barrier
	v_add_f64 v[10:11], v[10:11], v[25:26]
	v_fma_f64 v[25:26], v[35:36], v[46:47], v[29:30]
	v_add_f64 v[27:28], v[31:32], v[27:28]
	v_fma_f64 v[29:30], v[3:4], v[21:22], -v[43:44]
	v_fma_f64 v[5:6], v[5:6], v[21:22], v[23:24]
	v_mov_b32_e32 v3, 0
	v_mov_b32_e32 v4, 0
	v_add_f64 v[10:11], v[10:11], v[33:34]
	v_add_f64 v[23:24], v[27:28], v[25:26]
	;; [unrolled: 1-line block ×3, first 2 shown]
	v_mul_u32_u24_e32 v10, 33, v1
	v_add_f64 v[23:24], v[23:24], v[5:6]
	v_mov_b32_e32 v5, 0
	v_lshlrev_b32_e32 v46, 4, v10
	v_mov_b32_e32 v6, 0
	v_lshl_add_u32 v47, v13, 4, v46
	ds_write_b128 v47, v[21:24]
	s_waitcnt lgkmcnt(0)
	s_barrier
	s_and_saveexec_b64 s[14:15], s[4:5]
	s_cbranch_execz .LBB58_63
; %bb.62:
	ds_read_b128 v[3:6], v46
	ds_read_b128 v[21:24], v46 offset:16
	s_waitcnt lgkmcnt(0)
	v_add_f64 v[10:11], v[21:22], v[3:4]
	v_add_f64 v[25:26], v[23:24], v[5:6]
	ds_read_b128 v[3:6], v46 offset:32
	ds_read_b128 v[21:24], v46 offset:48
	s_waitcnt lgkmcnt(1)
	v_add_f64 v[3:4], v[10:11], v[3:4]
	v_add_f64 v[5:6], v[25:26], v[5:6]
	s_waitcnt lgkmcnt(0)
	v_add_f64 v[10:11], v[3:4], v[21:22]
	v_add_f64 v[25:26], v[5:6], v[23:24]
	ds_read_b128 v[3:6], v46 offset:64
	ds_read_b128 v[21:24], v46 offset:80
	s_waitcnt lgkmcnt(1)
	v_add_f64 v[3:4], v[10:11], v[3:4]
	v_add_f64 v[5:6], v[25:26], v[5:6]
	;; [unrolled: 8-line block ×3, first 2 shown]
	s_waitcnt lgkmcnt(0)
	v_add_f64 v[3:4], v[3:4], v[21:22]
	v_add_f64 v[5:6], v[5:6], v[23:24]
.LBB58_63:
	s_or_b64 exec, exec, s[14:15]
	s_lshl_b32 s14, s28, 5
	s_ashr_i32 s15, s14, 31
	s_lshl_b64 s[36:37], s[14:15], 4
	v_mov_b32_e32 v10, s37
	v_add_co_u32_e32 v7, vcc, s36, v7
	v_addc_co_u32_e32 v8, vcc, v8, v10, vcc
	v_add_co_u32_e32 v11, vcc, 0x200, v7
	v_addc_co_u32_e32 v12, vcc, 0, v8, vcc
	v_cndmask_b32_e64 v10, 0, 1, s[16:17]
	v_cmp_ne_u32_e64 s[14:15], 1, v10
	s_andn2_b64 vcc, exec, s[16:17]
	s_mov_b64 s[16:17], -1
	s_barrier
	s_cbranch_vccnz .LBB58_65
; %bb.64:
	flat_load_dwordx4 v[21:24], v[11:12]
	s_movk_i32 s17, 0x210
	s_lshl_b32 s16, s28, 3
	v_mad_u32_u24 v10, v13, s17, v14
	s_ashr_i32 s17, s16, 31
	s_lshl_b64 s[16:17], s[16:17], 4
	v_mov_b32_e32 v17, s17
	v_add_co_u32_e32 v25, vcc, s16, v7
	v_addc_co_u32_e32 v26, vcc, v8, v17, vcc
	s_ashr_i32 s29, s28, 31
	s_lshl_b64 s[16:17], s[28:29], 7
	v_add_u32_e32 v17, 0x1080, v10
	v_mov_b32_e32 v27, s17
	s_waitcnt vmcnt(0) lgkmcnt(0)
	ds_write2_b64 v10, v[21:22], v[23:24] offset1:1
	flat_load_dwordx4 v[21:24], v[25:26] offset:512
	v_add_co_u32_e32 v25, vcc, s16, v25
	v_addc_co_u32_e32 v26, vcc, v26, v27, vcc
	s_waitcnt vmcnt(0) lgkmcnt(0)
	ds_write2_b64 v17, v[21:22], v[23:24] offset1:1
	flat_load_dwordx4 v[21:24], v[25:26] offset:512
	v_add_u32_e32 v17, 0x2100, v10
	v_add_co_u32_e32 v25, vcc, s16, v25
	v_addc_co_u32_e32 v26, vcc, v26, v27, vcc
	v_add_u32_e32 v10, 0x3180, v10
	s_mov_b64 s[16:17], 0
	s_waitcnt vmcnt(0) lgkmcnt(0)
	ds_write2_b64 v17, v[21:22], v[23:24] offset1:1
	flat_load_dwordx4 v[21:24], v[25:26] offset:512
	s_waitcnt vmcnt(0) lgkmcnt(0)
	ds_write2_b64 v10, v[21:22], v[23:24] offset1:1
.LBB58_65:
	s_andn2_b64 vcc, exec, s[16:17]
	s_cbranch_vccnz .LBB58_83
; %bb.66:
	v_sub_co_u32_e32 v7, vcc, v7, v14
	s_ashr_i32 s25, s24, 31
	v_subbrev_co_u32_e32 v8, vcc, 0, v8, vcc
	s_lshl_b64 s[38:39], s[24:25], 4
	v_mov_b32_e32 v17, s39
	v_add_co_u32_e32 v7, vcc, s38, v7
	v_addc_co_u32_e32 v8, vcc, v8, v17, vcc
	v_or_b32_e32 v10, 32, v1
	v_add_co_u32_e32 v7, vcc, -16, v7
	v_addc_co_u32_e32 v8, vcc, -1, v8, vcc
	v_cmp_gt_i32_e64 s[16:17], s24, v10
	s_sub_i32 s25, s24, 32
	s_movk_i32 s27, 0x210
	v_cndmask_b32_e64 v8, v8, v12, s[16:17]
	v_cndmask_b32_e64 v7, v7, v11, s[16:17]
	v_cmp_le_i32_e32 vcc, s25, v13
	v_mad_u32_u24 v10, v13, s27, v14
	s_and_saveexec_b64 s[40:41], vcc
	s_xor_b64 s[40:41], exec, s[40:41]
; %bb.67:
	v_mov_b32_e32 v21, 0
	v_mov_b32_e32 v22, v21
	;; [unrolled: 1-line block ×4, first 2 shown]
	ds_write_b128 v10, v[21:24]
                                        ; implicit-def: $vgpr10
; %bb.68:
	s_andn2_saveexec_b64 s[40:41], s[40:41]
	s_cbranch_execz .LBB58_70
; %bb.69:
	flat_load_dwordx4 v[21:24], v[7:8]
	s_waitcnt vmcnt(0) lgkmcnt(0)
	ds_write2_b64 v10, v[21:22], v[23:24] offset1:1
.LBB58_70:
	s_or_b64 exec, exec, s[40:41]
	v_add_u32_e32 v17, 8, v13
	v_mul_u32_u24_e32 v10, 0x210, v13
	v_cmp_le_i32_e32 vcc, s25, v17
	s_and_saveexec_b64 s[40:41], vcc
	s_xor_b64 s[40:41], exec, s[40:41]
	s_cbranch_execz .LBB58_72
; %bb.71:
	v_mov_b32_e32 v21, 0
	v_add_u32_e32 v17, v10, v14
	v_mov_b32_e32 v22, v21
	v_mov_b32_e32 v23, v21
	;; [unrolled: 1-line block ×3, first 2 shown]
	ds_write_b128 v17, v[21:24] offset:4224
.LBB58_72:
	s_andn2_saveexec_b64 s[40:41], s[40:41]
	s_cbranch_execz .LBB58_74
; %bb.73:
	s_lshl_b32 s44, s28, 3
	s_ashr_i32 s45, s44, 31
	s_lshl_b64 s[44:45], s[44:45], 4
	v_mov_b32_e32 v17, s45
	v_add_co_u32_e32 v21, vcc, s44, v7
	v_addc_co_u32_e32 v22, vcc, v8, v17, vcc
	flat_load_dwordx4 v[21:24], v[21:22]
	s_movk_i32 s27, 0x1080
	v_add3_u32 v17, v10, v14, s27
	s_waitcnt vmcnt(0) lgkmcnt(0)
	ds_write2_b64 v17, v[21:22], v[23:24] offset1:1
.LBB58_74:
	s_or_b64 exec, exec, s[40:41]
	v_add_u32_e32 v17, 16, v13
	v_cmp_le_i32_e32 vcc, s25, v17
	s_and_saveexec_b64 s[40:41], vcc
	s_xor_b64 s[40:41], exec, s[40:41]
	s_cbranch_execz .LBB58_76
; %bb.75:
	v_mov_b32_e32 v21, 0
	v_add_u32_e32 v17, v10, v14
	v_mov_b32_e32 v22, v21
	v_mov_b32_e32 v23, v21
	;; [unrolled: 1-line block ×3, first 2 shown]
	ds_write_b128 v17, v[21:24] offset:8448
.LBB58_76:
	s_andn2_saveexec_b64 s[40:41], s[40:41]
	s_cbranch_execz .LBB58_78
; %bb.77:
	s_lshl_b32 s44, s28, 4
	s_ashr_i32 s45, s44, 31
	s_lshl_b64 s[44:45], s[44:45], 4
	v_mov_b32_e32 v17, s45
	v_add_co_u32_e32 v21, vcc, s44, v7
	v_addc_co_u32_e32 v22, vcc, v8, v17, vcc
	flat_load_dwordx4 v[21:24], v[21:22]
	s_movk_i32 s27, 0x2100
	v_add3_u32 v17, v10, v14, s27
	s_waitcnt vmcnt(0) lgkmcnt(0)
	ds_write2_b64 v17, v[21:22], v[23:24] offset1:1
.LBB58_78:
	s_or_b64 exec, exec, s[40:41]
	v_add_u32_e32 v17, 24, v13
	v_cmp_le_i32_e32 vcc, s25, v17
	s_and_saveexec_b64 s[40:41], vcc
	s_xor_b64 s[40:41], exec, s[40:41]
	s_cbranch_execz .LBB58_80
; %bb.79:
	v_mov_b32_e32 v21, 0
	v_add_u32_e32 v10, v10, v14
	v_mov_b32_e32 v22, v21
	v_mov_b32_e32 v23, v21
	;; [unrolled: 1-line block ×3, first 2 shown]
	ds_write_b128 v10, v[21:24] offset:12672
                                        ; implicit-def: $vgpr10
.LBB58_80:
	s_andn2_saveexec_b64 s[40:41], s[40:41]
	s_cbranch_execz .LBB58_82
; %bb.81:
	s_mul_i32 s44, s28, 24
	s_ashr_i32 s45, s44, 31
	s_lshl_b64 s[44:45], s[44:45], 4
	v_mov_b32_e32 v17, s45
	v_add_co_u32_e32 v21, vcc, s44, v7
	v_addc_co_u32_e32 v22, vcc, v8, v17, vcc
	flat_load_dwordx4 v[21:24], v[21:22]
	s_movk_i32 s25, 0x3180
	v_add3_u32 v10, v10, v14, s25
	s_waitcnt vmcnt(0) lgkmcnt(0)
	ds_write2_b64 v10, v[21:22], v[23:24] offset1:1
.LBB58_82:
	s_or_b64 exec, exec, s[40:41]
	v_add_co_u32_e32 v7, vcc, v7, v14
	v_addc_co_u32_e32 v8, vcc, 0, v8, vcc
	v_mov_b32_e32 v10, s39
	v_subrev_co_u32_e32 v7, vcc, s38, v7
	v_subb_co_u32_e32 v8, vcc, v8, v10, vcc
	v_add_co_u32_e32 v7, vcc, 0x210, v7
	v_addc_co_u32_e32 v8, vcc, 0, v8, vcc
	v_cndmask_b32_e64 v12, v8, v12, s[16:17]
	v_cndmask_b32_e64 v11, v7, v11, s[16:17]
.LBB58_83:
	v_mul_u32_u24_e32 v7, 0x840, v13
	v_add_u32_e32 v17, 0x4700, v9
	v_mul_u32_u24_e32 v22, 0x210, v18
	s_mov_b64 s[16:17], 0
	s_waitcnt lgkmcnt(0)
	s_barrier
                                        ; implicit-def: $vgpr23
	s_and_saveexec_b64 s[38:39], s[18:19]
	s_xor_b64 s[18:19], exec, s[38:39]
	s_cbranch_execz .LBB58_87
; %bb.84:
	v_cmp_eq_u32_e32 vcc, v15, v1
                                        ; implicit-def: $vgpr23
	s_and_saveexec_b64 s[38:39], vcc
	s_xor_b64 s[38:39], exec, s[38:39]
; %bb.85:
	s_mov_b64 s[16:17], exec
	v_add_u32_e32 v23, v14, v16
; %bb.86:
	s_or_b64 exec, exec, s[38:39]
	s_and_b64 s[16:17], s[16:17], exec
.LBB58_87:
	s_or_saveexec_b64 s[18:19], s[18:19]
	v_mov_b32_e32 v9, 0
	v_mov_b32_e32 v10, 0
	v_add_u32_e32 v21, v14, v7
	s_xor_b64 exec, exec, s[18:19]
	s_cbranch_execz .LBB58_89
; %bb.88:
	ds_read_b128 v[7:10], v21
	v_lshl_add_u32 v23, v15, 4, v46
	s_or_b64 s[16:17], s[16:17], exec
	s_waitcnt lgkmcnt(0)
	v_xor_b32_e32 v10, 0x80000000, v10
	ds_write_b64 v23, v[7:8]
.LBB58_89:
	s_or_b64 exec, exec, s[18:19]
	s_and_saveexec_b64 s[18:19], s[16:17]
; %bb.90:
	ds_write_b64 v23, v[9:10] offset:8
; %bb.91:
	s_or_b64 exec, exec, s[18:19]
	s_mov_b64 s[16:17], 0
                                        ; implicit-def: $vgpr23
	s_and_saveexec_b64 s[18:19], s[8:9]
	s_xor_b64 s[8:9], exec, s[18:19]
	s_cbranch_execz .LBB58_95
; %bb.92:
	v_cmp_eq_u32_e32 vcc, v18, v1
                                        ; implicit-def: $vgpr23
	s_and_saveexec_b64 s[18:19], vcc
; %bb.93:
	s_mov_b64 s[16:17], exec
	v_add_u32_e32 v23, v14, v16
; %bb.94:
	s_or_b64 exec, exec, s[18:19]
	s_and_b64 s[16:17], s[16:17], exec
.LBB58_95:
	s_or_saveexec_b64 s[8:9], s[8:9]
	v_mov_b32_e32 v9, 0
	v_mov_b32_e32 v10, 0
	v_add_u32_e32 v18, v14, v22
	s_xor_b64 exec, exec, s[8:9]
	s_cbranch_execz .LBB58_97
; %bb.96:
	ds_read_b128 v[7:10], v18
	v_lshl_add_u32 v22, v15, 4, v46
	v_add_u32_e32 v23, 16, v22
	s_or_b64 s[16:17], s[16:17], exec
	s_waitcnt lgkmcnt(0)
	v_xor_b32_e32 v10, 0x80000000, v10
	ds_write_b64 v22, v[7:8] offset:16
.LBB58_97:
	s_or_b64 exec, exec, s[8:9]
	s_and_saveexec_b64 s[8:9], s[16:17]
; %bb.98:
	ds_write_b64 v23, v[9:10] offset:8
; %bb.99:
	s_or_b64 exec, exec, s[8:9]
	s_mov_b64 s[8:9], 0
                                        ; implicit-def: $vgpr22
	s_and_saveexec_b64 s[16:17], s[10:11]
	s_xor_b64 s[10:11], exec, s[16:17]
	s_cbranch_execz .LBB58_103
; %bb.100:
	v_cmp_eq_u32_e32 vcc, v19, v1
                                        ; implicit-def: $vgpr22
	s_and_saveexec_b64 s[16:17], vcc
; %bb.101:
	s_mov_b64 s[8:9], exec
	v_add_u32_e32 v22, v14, v16
; %bb.102:
	s_or_b64 exec, exec, s[16:17]
	s_and_b64 s[8:9], s[8:9], exec
.LBB58_103:
	s_or_saveexec_b64 s[10:11], s[10:11]
	v_mov_b32_e32 v9, 0
	v_mov_b32_e32 v10, 0
	s_xor_b64 exec, exec, s[10:11]
	s_cbranch_execz .LBB58_105
; %bb.104:
	ds_read_b128 v[7:10], v18 offset:528
	v_lshl_add_u32 v19, v15, 4, v46
	v_add_u32_e32 v22, 32, v19
	s_or_b64 s[8:9], s[8:9], exec
	s_waitcnt lgkmcnt(0)
	v_xor_b32_e32 v10, 0x80000000, v10
	ds_write_b64 v19, v[7:8] offset:32
.LBB58_105:
	s_or_b64 exec, exec, s[10:11]
	s_and_saveexec_b64 s[10:11], s[8:9]
; %bb.106:
	ds_write_b64 v22, v[9:10] offset:8
; %bb.107:
	s_or_b64 exec, exec, s[10:11]
	s_mov_b64 s[8:9], 0
                                        ; implicit-def: $vgpr19
	s_and_saveexec_b64 s[10:11], s[12:13]
	s_xor_b64 s[10:11], exec, s[10:11]
	s_cbranch_execz .LBB58_111
; %bb.108:
	v_cmp_eq_u32_e32 vcc, v20, v1
                                        ; implicit-def: $vgpr19
	s_and_saveexec_b64 s[12:13], vcc
; %bb.109:
	s_mov_b64 s[8:9], exec
	v_add_u32_e32 v19, v14, v16
; %bb.110:
	s_or_b64 exec, exec, s[12:13]
	s_and_b64 s[8:9], s[8:9], exec
.LBB58_111:
	s_or_saveexec_b64 s[10:11], s[10:11]
	v_mov_b32_e32 v9, 0
	v_mov_b32_e32 v10, 0
	s_xor_b64 exec, exec, s[10:11]
	s_cbranch_execz .LBB58_113
; %bb.112:
	ds_read_b128 v[7:10], v18 offset:1056
	v_lshl_add_u32 v16, v15, 4, v46
	v_add_u32_e32 v19, 48, v16
	s_or_b64 s[8:9], s[8:9], exec
	s_waitcnt lgkmcnt(0)
	v_xor_b32_e32 v10, 0x80000000, v10
	ds_write_b64 v16, v[7:8] offset:48
.LBB58_113:
	s_or_b64 exec, exec, s[10:11]
	s_and_saveexec_b64 s[10:11], s[8:9]
; %bb.114:
	ds_write_b64 v19, v[9:10] offset:8
; %bb.115:
	s_or_b64 exec, exec, s[10:11]
	s_waitcnt lgkmcnt(0)
	s_barrier
	ds_read_b128 v[7:10], v21
	ds_read_b128 v[19:22], v17 offset:512
	ds_read_b128 v[23:26], v17 offset:528
	;; [unrolled: 1-line block ×3, first 2 shown]
	ds_read_b128 v[31:34], v18
	ds_read_b128 v[35:38], v17 offset:544
	ds_read_b128 v[48:51], v18 offset:528
	v_cmp_eq_u32_e64 s[10:11], 1, v13
	s_waitcnt lgkmcnt(5)
	v_mul_f64 v[43:44], v[21:22], v[9:10]
	v_mul_f64 v[9:10], v[19:20], v[9:10]
	s_waitcnt lgkmcnt(2)
	v_mul_f64 v[52:53], v[25:26], v[33:34]
	v_mul_f64 v[33:34], v[23:24], v[33:34]
	v_fma_f64 v[18:19], v[19:20], v[7:8], -v[43:44]
	v_fma_f64 v[20:21], v[21:22], v[7:8], v[9:10]
	s_waitcnt lgkmcnt(0)
	v_mul_f64 v[43:44], v[37:38], v[50:51]
	v_mul_f64 v[50:51], v[35:36], v[50:51]
	v_fma_f64 v[22:23], v[23:24], v[31:32], -v[52:53]
	v_fma_f64 v[24:25], v[25:26], v[31:32], v[33:34]
	ds_read_b128 v[7:10], v17 offset:560
	s_waitcnt lgkmcnt(0)
	v_add_f64 v[18:19], v[18:19], 0
	v_add_f64 v[20:21], v[20:21], 0
	v_fma_f64 v[33:34], v[35:36], v[48:49], -v[43:44]
	v_mul_f64 v[31:32], v[9:10], v[29:30]
	v_mul_f64 v[29:30], v[7:8], v[29:30]
	v_fma_f64 v[35:36], v[37:38], v[48:49], v[50:51]
	s_barrier
	v_add_f64 v[18:19], v[18:19], v[22:23]
	v_add_f64 v[20:21], v[20:21], v[24:25]
	v_fma_f64 v[7:8], v[7:8], v[27:28], -v[31:32]
	v_fma_f64 v[9:10], v[9:10], v[27:28], v[29:30]
	v_add_f64 v[18:19], v[18:19], v[33:34]
	v_add_f64 v[20:21], v[20:21], v[35:36]
	;; [unrolled: 1-line block ×4, first 2 shown]
	ds_write_b128 v47, v[7:10]
	s_waitcnt lgkmcnt(0)
	s_barrier
	s_and_saveexec_b64 s[8:9], s[10:11]
	s_cbranch_execz .LBB58_117
; %bb.116:
	ds_read_b128 v[3:6], v46
	ds_read_b128 v[7:10], v46 offset:16
	s_waitcnt lgkmcnt(0)
	v_add_f64 v[18:19], v[7:8], v[3:4]
	v_add_f64 v[20:21], v[9:10], v[5:6]
	ds_read_b128 v[3:6], v46 offset:32
	ds_read_b128 v[7:10], v46 offset:48
	s_waitcnt lgkmcnt(1)
	v_add_f64 v[3:4], v[18:19], v[3:4]
	v_add_f64 v[5:6], v[20:21], v[5:6]
	s_waitcnt lgkmcnt(0)
	v_add_f64 v[18:19], v[3:4], v[7:8]
	v_add_f64 v[20:21], v[5:6], v[9:10]
	ds_read_b128 v[3:6], v46 offset:64
	ds_read_b128 v[7:10], v46 offset:80
	s_waitcnt lgkmcnt(1)
	v_add_f64 v[3:4], v[18:19], v[3:4]
	v_add_f64 v[5:6], v[20:21], v[5:6]
	;; [unrolled: 8-line block ×3, first 2 shown]
	s_waitcnt lgkmcnt(0)
	v_add_f64 v[3:4], v[3:4], v[7:8]
	v_add_f64 v[5:6], v[5:6], v[9:10]
.LBB58_117:
	s_or_b64 exec, exec, s[8:9]
	v_mov_b32_e32 v7, s37
	v_subrev_co_u32_e64 v43, s[8:9], s36, v11
	s_and_b64 vcc, exec, s[14:15]
	v_subb_co_u32_e64 v44, s[8:9], v12, v7, s[8:9]
	s_barrier
	s_cbranch_vccnz .LBB58_119
; %bb.118:
	flat_load_dwordx4 v[7:10], v[43:44]
	s_lshl_b32 s8, s28, 3
	s_ashr_i32 s9, s8, 31
	s_movk_i32 s12, 0x210
	s_lshl_b64 s[8:9], s[8:9], 4
	v_mad_u32_u24 v11, v13, s12, v14
	v_mov_b32_e32 v12, s9
	v_add_co_u32_e32 v18, vcc, s8, v43
	v_addc_co_u32_e32 v19, vcc, v44, v12, vcc
	s_ashr_i32 s29, s28, 31
	s_lshl_b64 s[8:9], s[28:29], 7
	v_mov_b32_e32 v16, s9
	s_waitcnt vmcnt(0) lgkmcnt(0)
	ds_write2_b64 v11, v[7:8], v[9:10] offset1:1
	flat_load_dwordx4 v[9:12], v[18:19]
	v_mov_b32_e32 v7, 0x1080
	v_mad_u32_u24 v8, v13, s12, v7
	v_add_u32_e32 v7, v14, v8
	v_add_co_u32_e32 v18, vcc, s8, v18
	v_addc_co_u32_e32 v19, vcc, v19, v16, vcc
	s_waitcnt vmcnt(0) lgkmcnt(0)
	ds_write2_b64 v7, v[9:10], v[11:12] offset1:1
	flat_load_dwordx4 v[9:12], v[18:19]
	v_mov_b32_e32 v7, 0x2100
	v_mad_u32_u24 v7, v13, s12, v7
	v_add_u32_e32 v20, v14, v7
	v_add_co_u32_e32 v18, vcc, s8, v18
	v_addc_co_u32_e32 v19, vcc, v19, v16, vcc
	v_mov_b32_e32 v16, 0x3180
	v_mad_u32_u24 v16, v13, s12, v16
	v_add_u32_e32 v22, v14, v16
	s_waitcnt vmcnt(0) lgkmcnt(0)
	ds_write2_b64 v20, v[9:10], v[11:12] offset1:1
	flat_load_dwordx4 v[18:21], v[18:19]
	v_mul_u32_u24_e32 v11, 0x210, v13
	v_add_u32_e32 v10, 8, v13
	v_add_u32_e32 v9, 16, v13
	;; [unrolled: 1-line block ×3, first 2 shown]
	s_waitcnt vmcnt(0) lgkmcnt(0)
	ds_write2_b64 v22, v[18:19], v[20:21] offset1:1
	s_cbranch_execz .LBB58_120
	s_branch .LBB58_137
.LBB58_119:
                                        ; implicit-def: $vgpr11
                                        ; implicit-def: $vgpr10
                                        ; implicit-def: $vgpr8
                                        ; implicit-def: $vgpr9
                                        ; implicit-def: $vgpr7
                                        ; implicit-def: $vgpr12
                                        ; implicit-def: $vgpr16
.LBB58_120:
	v_or_b32_e32 v1, 32, v1
	v_lshlrev_b32_e32 v7, 4, v1
	v_sub_co_u32_e32 v7, vcc, v43, v7
	s_ashr_i32 s25, s24, 31
	v_subbrev_co_u32_e32 v8, vcc, 0, v44, vcc
	s_lshl_b64 s[12:13], s[24:25], 4
	v_mov_b32_e32 v9, s13
	v_add_co_u32_e32 v7, vcc, s12, v7
	v_addc_co_u32_e32 v8, vcc, v8, v9, vcc
	v_add_co_u32_e32 v7, vcc, -16, v7
	v_addc_co_u32_e32 v8, vcc, -1, v8, vcc
	v_cmp_gt_i32_e64 s[8:9], s24, v1
	s_movk_i32 s14, 0x210
	v_cndmask_b32_e64 v8, v8, v44, s[8:9]
	v_cndmask_b32_e64 v7, v7, v43, s[8:9]
	v_cmp_le_i32_e32 vcc, s24, v13
	v_mad_u32_u24 v1, v13, s14, v14
	s_and_saveexec_b64 s[14:15], vcc
	s_xor_b64 s[14:15], exec, s[14:15]
; %bb.121:
	v_mov_b32_e32 v9, 0
	v_mov_b32_e32 v10, v9
	;; [unrolled: 1-line block ×4, first 2 shown]
	ds_write_b128 v1, v[9:12]
                                        ; implicit-def: $vgpr1
; %bb.122:
	s_andn2_saveexec_b64 s[14:15], s[14:15]
	s_cbranch_execz .LBB58_124
; %bb.123:
	flat_load_dwordx4 v[9:12], v[7:8]
	s_waitcnt vmcnt(0) lgkmcnt(0)
	ds_write2_b64 v1, v[9:10], v[11:12] offset1:1
.LBB58_124:
	s_or_b64 exec, exec, s[14:15]
	v_add_u32_e32 v10, 8, v13
	v_mul_u32_u24_e32 v11, 0x210, v13
	v_cmp_le_i32_e32 vcc, s24, v10
	s_and_saveexec_b64 s[14:15], vcc
	s_xor_b64 s[14:15], exec, s[14:15]
	s_cbranch_execz .LBB58_126
; %bb.125:
	v_mov_b32_e32 v18, 0
	v_add_u32_e32 v1, v11, v14
	v_mov_b32_e32 v19, v18
	v_mov_b32_e32 v20, v18
	;; [unrolled: 1-line block ×3, first 2 shown]
	ds_write_b128 v1, v[18:21] offset:4224
.LBB58_126:
	s_andn2_saveexec_b64 s[14:15], s[14:15]
	s_cbranch_execz .LBB58_128
; %bb.127:
	s_lshl_b32 s16, s28, 3
	s_ashr_i32 s17, s16, 31
	s_lshl_b64 s[16:17], s[16:17], 4
	v_mov_b32_e32 v1, s17
	v_add_co_u32_e32 v18, vcc, s16, v7
	v_addc_co_u32_e32 v19, vcc, v8, v1, vcc
	flat_load_dwordx4 v[18:21], v[18:19]
	s_movk_i32 s16, 0x1080
	v_add3_u32 v1, v11, v14, s16
	s_waitcnt vmcnt(0) lgkmcnt(0)
	ds_write2_b64 v1, v[18:19], v[20:21] offset1:1
.LBB58_128:
	s_or_b64 exec, exec, s[14:15]
	v_add_u32_e32 v9, 16, v13
	v_cmp_le_i32_e32 vcc, s24, v9
	s_and_saveexec_b64 s[14:15], vcc
	s_xor_b64 s[14:15], exec, s[14:15]
	s_cbranch_execz .LBB58_130
; %bb.129:
	v_mov_b32_e32 v18, 0
	v_add_u32_e32 v1, v11, v14
	v_mov_b32_e32 v19, v18
	v_mov_b32_e32 v20, v18
	;; [unrolled: 1-line block ×3, first 2 shown]
	ds_write_b128 v1, v[18:21] offset:8448
.LBB58_130:
	s_andn2_saveexec_b64 s[14:15], s[14:15]
	s_cbranch_execz .LBB58_132
; %bb.131:
	s_lshl_b32 s16, s28, 4
	s_ashr_i32 s17, s16, 31
	s_lshl_b64 s[16:17], s[16:17], 4
	v_mov_b32_e32 v1, s17
	v_add_co_u32_e32 v18, vcc, s16, v7
	v_addc_co_u32_e32 v19, vcc, v8, v1, vcc
	flat_load_dwordx4 v[18:21], v[18:19]
	s_movk_i32 s16, 0x2100
	v_add3_u32 v1, v11, v14, s16
	s_waitcnt vmcnt(0) lgkmcnt(0)
	ds_write2_b64 v1, v[18:19], v[20:21] offset1:1
.LBB58_132:
	s_or_b64 exec, exec, s[14:15]
	v_add_u32_e32 v12, 24, v13
	v_cmp_le_i32_e32 vcc, s24, v12
                                        ; implicit-def: $vgpr16
	s_and_saveexec_b64 s[14:15], vcc
	s_xor_b64 s[14:15], exec, s[14:15]
	s_cbranch_execz .LBB58_134
; %bb.133:
	v_add_u32_e32 v16, 0x3180, v11
	v_mov_b32_e32 v18, 0
	v_add_u32_e32 v1, v14, v16
	v_mov_b32_e32 v19, v18
	v_mov_b32_e32 v20, v18
	;; [unrolled: 1-line block ×3, first 2 shown]
	ds_write_b128 v1, v[18:21]
.LBB58_134:
	s_andn2_saveexec_b64 s[14:15], s[14:15]
	s_cbranch_execz .LBB58_136
; %bb.135:
	s_mul_i32 s16, s28, 24
	s_ashr_i32 s17, s16, 31
	s_lshl_b64 s[16:17], s[16:17], 4
	v_mov_b32_e32 v1, s17
	v_add_co_u32_e32 v18, vcc, s16, v7
	v_addc_co_u32_e32 v19, vcc, v8, v1, vcc
	flat_load_dwordx4 v[18:21], v[18:19]
	v_add_u32_e32 v16, 0x3180, v11
	v_add_u32_e32 v1, v14, v16
	s_waitcnt vmcnt(0) lgkmcnt(0)
	ds_write2_b64 v1, v[18:19], v[20:21] offset1:1
.LBB58_136:
	s_or_b64 exec, exec, s[14:15]
	v_add_co_u32_e32 v1, vcc, v7, v14
	v_addc_co_u32_e32 v7, vcc, 0, v8, vcc
	v_mov_b32_e32 v8, s13
	v_subrev_co_u32_e32 v1, vcc, s12, v1
	v_subb_co_u32_e32 v7, vcc, v7, v8, vcc
	v_add_co_u32_e32 v1, vcc, 0x210, v1
	v_addc_co_u32_e32 v7, vcc, 0, v7, vcc
	v_cndmask_b32_e64 v44, v7, v44, s[8:9]
	v_cndmask_b32_e64 v43, v1, v43, s[8:9]
	v_add_u32_e32 v8, 0x1080, v11
	v_add_u32_e32 v7, 0x2100, v11
.LBB58_137:
	v_add_u32_e32 v1, v14, v11
	v_lshlrev_b32_e32 v11, 4, v13
	s_waitcnt lgkmcnt(0)
	s_barrier
	ds_read_b128 v[18:21], v11 offset:18176
	ds_read_b128 v[22:25], v1
	v_add_u32_e32 v1, v14, v8
	v_lshlrev_b32_e32 v8, 4, v10
	ds_read_b128 v[26:29], v8 offset:18176
	ds_read_b128 v[30:33], v1
	v_add_u32_e32 v1, v14, v7
	s_waitcnt lgkmcnt(2)
	v_mul_f64 v[34:35], v[20:21], v[24:25]
	v_mul_f64 v[24:25], v[18:19], v[24:25]
	v_lshlrev_b32_e32 v7, 4, v9
	s_waitcnt lgkmcnt(0)
	v_mul_f64 v[48:49], v[28:29], v[32:33]
	v_mul_f64 v[32:33], v[26:27], v[32:33]
	v_lshlrev_b32_e32 v11, 4, v12
	v_fma_f64 v[18:19], v[18:19], v[22:23], -v[34:35]
	v_fma_f64 v[22:23], v[20:21], v[22:23], v[24:25]
	ds_read_b128 v[7:10], v7 offset:18176
	ds_read_b128 v[34:37], v1
	v_fma_f64 v[26:27], v[26:27], v[30:31], -v[48:49]
	v_fma_f64 v[28:29], v[28:29], v[30:31], v[32:33]
	v_add_u32_e32 v1, v14, v16
	s_waitcnt lgkmcnt(0)
	v_mul_f64 v[48:49], v[9:10], v[36:37]
	v_add_f64 v[24:25], v[18:19], 0
	v_mul_f64 v[36:37], v[7:8], v[36:37]
	v_add_f64 v[22:23], v[22:23], 0
	ds_read_b128 v[11:14], v11 offset:18176
	ds_read2_b64 v[18:21], v1 offset1:1
	v_lshl_add_u32 v1, v15, 4, v46
	v_fma_f64 v[7:8], v[7:8], v[34:35], -v[48:49]
	v_add_f64 v[24:25], v[24:25], v[26:27]
	s_waitcnt lgkmcnt(0)
	v_mul_f64 v[26:27], v[13:14], v[20:21]
	v_fma_f64 v[9:10], v[9:10], v[34:35], v[36:37]
	v_mul_f64 v[20:21], v[11:12], v[20:21]
	v_add_f64 v[22:23], v[22:23], v[28:29]
	v_add_f64 v[29:30], v[24:25], v[7:8]
	v_fma_f64 v[27:28], v[11:12], v[18:19], -v[26:27]
	v_fma_f64 v[18:19], v[13:14], v[18:19], v[20:21]
	v_add_f64 v[20:21], v[22:23], v[9:10]
	ds_read_b128 v[31:34], v1
	ds_read_b128 v[23:26], v1 offset:16
	ds_read_b128 v[11:14], v1 offset:32
	;; [unrolled: 1-line block ×3, first 2 shown]
	v_add_f64 v[48:49], v[29:30], v[27:28]
	v_add_f64 v[50:51], v[20:21], v[18:19]
	ds_read_b128 v[35:38], v17 offset:512
	ds_read_b128 v[27:30], v17 offset:528
	;; [unrolled: 1-line block ×4, first 2 shown]
	s_waitcnt lgkmcnt(0)
	s_barrier
	ds_write_b128 v47, v[48:51]
	s_waitcnt lgkmcnt(0)
	s_barrier
	s_and_saveexec_b64 s[8:9], s[10:11]
	s_cbranch_execz .LBB58_139
; %bb.138:
	ds_read_b128 v[48:51], v46
	ds_read_b128 v[52:55], v46 offset:16
	s_waitcnt lgkmcnt(1)
	v_add_f64 v[3:4], v[3:4], v[48:49]
	v_add_f64 v[5:6], v[5:6], v[50:51]
	s_waitcnt lgkmcnt(0)
	v_add_f64 v[52:53], v[3:4], v[52:53]
	v_add_f64 v[54:55], v[5:6], v[54:55]
	ds_read_b128 v[3:6], v46 offset:32
	ds_read_b128 v[48:51], v46 offset:48
	s_waitcnt lgkmcnt(1)
	v_add_f64 v[3:4], v[52:53], v[3:4]
	v_add_f64 v[5:6], v[54:55], v[5:6]
	s_waitcnt lgkmcnt(0)
	v_add_f64 v[52:53], v[3:4], v[48:49]
	v_add_f64 v[54:55], v[5:6], v[50:51]
	ds_read_b128 v[3:6], v46 offset:64
	;; [unrolled: 8-line block ×3, first 2 shown]
	ds_read_b128 v[48:51], v46 offset:112
	s_waitcnt lgkmcnt(1)
	v_add_f64 v[3:4], v[52:53], v[3:4]
	v_add_f64 v[5:6], v[54:55], v[5:6]
	s_waitcnt lgkmcnt(0)
	v_add_f64 v[3:4], v[3:4], v[48:49]
	v_add_f64 v[5:6], v[5:6], v[50:51]
.LBB58_139:
	s_or_b64 exec, exec, s[8:9]
	v_mul_f64 v[48:49], v[33:34], v[37:38]
	v_mul_f64 v[33:34], v[33:34], v[35:36]
	v_mul_f64 v[50:51], v[25:26], v[29:30]
	v_mul_f64 v[25:26], v[25:26], v[27:28]
	s_barrier
	v_fma_f64 v[35:36], v[31:32], v[35:36], v[48:49]
	v_fma_f64 v[31:32], v[31:32], v[37:38], -v[33:34]
	v_mul_f64 v[33:34], v[13:14], v[21:22]
	v_mul_f64 v[13:14], v[13:14], v[19:20]
	v_fma_f64 v[27:28], v[23:24], v[27:28], v[50:51]
	v_fma_f64 v[23:24], v[23:24], v[29:30], -v[25:26]
	v_add_f64 v[25:26], v[35:36], 0
	v_add_f64 v[29:30], v[31:32], 0
	v_mul_f64 v[31:32], v[9:10], v[17:18]
	v_mul_f64 v[9:10], v[9:10], v[15:16]
	v_fma_f64 v[19:20], v[11:12], v[19:20], v[33:34]
	v_fma_f64 v[11:12], v[11:12], v[21:22], -v[13:14]
	v_add_f64 v[13:14], v[25:26], v[27:28]
	v_add_f64 v[21:22], v[29:30], v[23:24]
	v_fma_f64 v[15:16], v[7:8], v[15:16], v[31:32]
	v_fma_f64 v[9:10], v[7:8], v[17:18], -v[9:10]
	v_add_f64 v[7:8], v[13:14], v[19:20]
	v_add_f64 v[11:12], v[21:22], v[11:12]
	v_add_f64 v[7:8], v[7:8], v[15:16]
	v_add_f64 v[9:10], v[11:12], v[9:10]
	ds_write_b128 v47, v[7:10]
	s_waitcnt lgkmcnt(0)
	s_barrier
	s_and_saveexec_b64 s[8:9], s[4:5]
	s_cbranch_execz .LBB58_141
; %bb.140:
	ds_read_b128 v[7:10], v46
	ds_read_b128 v[11:14], v46 offset:16
	s_waitcnt lgkmcnt(1)
	v_add_f64 v[3:4], v[3:4], v[7:8]
	v_add_f64 v[5:6], v[5:6], v[9:10]
	s_waitcnt lgkmcnt(0)
	v_add_f64 v[11:12], v[3:4], v[11:12]
	v_add_f64 v[13:14], v[5:6], v[13:14]
	ds_read_b128 v[3:6], v46 offset:32
	ds_read_b128 v[7:10], v46 offset:48
	s_waitcnt lgkmcnt(1)
	v_add_f64 v[3:4], v[11:12], v[3:4]
	v_add_f64 v[5:6], v[13:14], v[5:6]
	s_waitcnt lgkmcnt(0)
	v_add_f64 v[11:12], v[3:4], v[7:8]
	v_add_f64 v[13:14], v[5:6], v[9:10]
	ds_read_b128 v[3:6], v46 offset:64
	;; [unrolled: 8-line block ×3, first 2 shown]
	ds_read_b128 v[7:10], v46 offset:112
	s_waitcnt lgkmcnt(1)
	v_add_f64 v[3:4], v[11:12], v[3:4]
	v_add_f64 v[5:6], v[13:14], v[5:6]
	s_waitcnt lgkmcnt(0)
	v_add_f64 v[3:4], v[3:4], v[7:8]
	v_add_f64 v[5:6], v[5:6], v[9:10]
.LBB58_141:
	s_or_b64 exec, exec, s[8:9]
	s_mul_hi_u32 s4, s21, s20
	s_mul_i32 s42, s42, s20
	s_add_i32 s4, s4, s42
	s_mul_i32 s8, s21, s20
	s_mul_i32 s4, s4, s33
	s_mul_hi_u32 s5, s8, s33
	s_add_i32 s5, s5, s4
	s_mul_i32 s4, s8, s33
	s_lshl_b64 s[4:5], s[4:5], 4
	s_add_u32 s8, s22, s4
	s_mul_i32 s4, s21, s6
	s_addc_u32 s9, s23, s5
	s_ashr_i32 s5, s4, 31
	s_lshl_b64 s[4:5], s[4:5], 4
	s_add_u32 s16, s8, s4
	v_cmp_le_i32_e32 vcc, s24, v0
	s_addc_u32 s17, s9, s5
	s_and_b64 s[4:5], s[34:35], vcc
	s_cmp_lt_i32 s6, 1
	v_lshlrev_b32_e32 v146, 4, v0
	s_barrier
	s_cbranch_scc1 .LBB58_148
; %bb.142:
	s_mul_i32 s8, s7, s26
	s_ashr_i32 s9, s8, 31
	s_lshl_b64 s[8:9], s[8:9], 4
	v_mov_b32_e32 v1, s9
	v_subrev_co_u32_e32 v147, vcc, s8, v39
	v_subb_co_u32_e32 v148, vcc, v40, v1, vcc
	v_mov_b32_e32 v1, s31
	v_subrev_co_u32_e32 v7, vcc, s30, v43
	v_mul_lo_u32 v8, v2, s28
	v_subb_co_u32_e32 v1, vcc, v44, v1, vcc
	v_add_co_u32_e32 v7, vcc, 0xfffffe00, v7
	v_addc_co_u32_e32 v1, vcc, -1, v1, vcc
	v_sub_co_u32_e32 v11, vcc, v7, v41
	v_lshl_add_u32 v7, v8, 2, v0
	v_ashrrev_i32_e32 v8, 31, v7
	v_lshlrev_b64 v[7:8], 4, v[7:8]
	v_subb_co_u32_e32 v1, vcc, v1, v42, vcc
	v_add_co_u32_e32 v7, vcc, v11, v7
	v_addc_co_u32_e32 v8, vcc, v1, v8, vcc
	v_sub_co_u32_e32 v11, vcc, v7, v146
	s_ashr_i32 s25, s24, 31
	v_subbrev_co_u32_e32 v12, vcc, 0, v8, vcc
	s_lshl_b64 s[8:9], s[24:25], 4
	v_mov_b32_e32 v13, s9
	v_add_co_u32_e32 v11, vcc, s8, v11
	v_addc_co_u32_e32 v12, vcc, v12, v13, vcc
	v_add_co_u32_e32 v11, vcc, -16, v11
	v_addc_co_u32_e32 v12, vcc, -1, v12, vcc
	v_lshrrev_b32_e32 v9, 4, v45
	v_cndmask_b32_e64 v12, v8, v12, s[4:5]
	v_cndmask_b32_e64 v11, v7, v11, s[4:5]
	v_mov_b32_e32 v7, 0x4300
	s_movk_i32 s8, 0x10c0
	v_and_b32_e32 v8, 48, v0
	v_and_b32_e32 v10, 15, v0
	v_lshl_add_u32 v150, v2, 6, v7
	v_mad_u32_u24 v152, v2, s8, v146
	v_lshlrev_b32_e32 v7, 6, v9
	s_movk_i32 s8, 0x430
	v_lshlrev_b32_e32 v8, 4, v8
	s_ashr_i32 s29, s28, 31
	v_mad_u32_u24 v153, v10, s8, v7
	v_mul_i32_i24_e32 v7, 0xffffffd0, v9
	v_mad_u32_u24 v154, v10, s8, v8
	v_or_b32_e32 v8, 0xf0, v146
	s_lshl_b64 s[10:11], s[28:29], 4
	s_mul_hi_i32 s18, s28, 0xd0
	v_mov_b32_e32 v1, 0
	s_lshl_b32 s7, s7, 6
	v_add_u32_e32 v149, 0x4300, v146
	v_add_u32_e32 v151, 0x4700, v146
	v_cmp_gt_u32_e32 vcc, 64, v45
	v_mad_u32_u24 v155, v10, s8, v8
	s_mul_i32 s19, s28, 0xd0
	s_mov_b32 s12, 0
	v_mov_b32_e32 v156, s11
	v_mov_b32_e32 v157, s18
	v_add_u32_e32 v158, v153, v7
	s_branch .LBB58_144
.LBB58_143:                             ;   in Loop: Header=BB58_144 Depth=1
	s_or_b64 exec, exec, s[14:15]
	v_mul_f64 v[87:88], v[9:10], v[37:38]
	v_mul_f64 v[37:38], v[7:8], v[37:38]
	;; [unrolled: 1-line block ×4, first 2 shown]
	s_add_i32 s6, s6, -1
	s_add_i32 s12, s12, s7
	v_add_u32_e32 v0, 64, v0
	s_cmp_eq_u32 s6, 0
	v_fma_f64 v[7:8], v[7:8], v[35:36], -v[87:88]
	v_fma_f64 v[9:10], v[9:10], v[35:36], v[37:38]
	v_mul_f64 v[35:36], v[17:18], v[29:30]
	v_mul_f64 v[29:30], v[15:16], v[29:30]
	v_fma_f64 v[19:20], v[19:20], v[31:32], -v[89:90]
	v_fma_f64 v[21:22], v[21:22], v[31:32], v[33:34]
	s_waitcnt vmcnt(0)
	s_barrier
	v_add_f64 v[3:4], v[3:4], v[7:8]
	v_add_f64 v[5:6], v[5:6], v[9:10]
	v_mul_f64 v[7:8], v[13:14], v[25:26]
	v_mul_f64 v[9:10], v[11:12], v[25:26]
	v_fma_f64 v[15:16], v[15:16], v[27:28], -v[35:36]
	v_fma_f64 v[17:18], v[17:18], v[27:28], v[29:30]
	v_add_f64 v[3:4], v[3:4], v[19:20]
	v_add_f64 v[5:6], v[5:6], v[21:22]
	v_mul_f64 v[19:20], v[49:50], v[85:86]
	v_mul_f64 v[21:22], v[47:48], v[85:86]
	v_fma_f64 v[7:8], v[11:12], v[23:24], -v[7:8]
	v_fma_f64 v[9:10], v[13:14], v[23:24], v[9:10]
	v_mul_f64 v[11:12], v[53:54], v[81:82]
	v_mul_f64 v[13:14], v[51:52], v[81:82]
	v_add_f64 v[3:4], v[3:4], v[15:16]
	v_add_f64 v[5:6], v[5:6], v[17:18]
	v_fma_f64 v[15:16], v[47:48], v[83:84], -v[19:20]
	v_fma_f64 v[17:18], v[49:50], v[83:84], v[21:22]
	v_fma_f64 v[11:12], v[51:52], v[79:80], -v[11:12]
	v_fma_f64 v[13:14], v[53:54], v[79:80], v[13:14]
	v_add_f64 v[3:4], v[3:4], v[7:8]
	v_add_f64 v[5:6], v[5:6], v[9:10]
	v_mul_f64 v[7:8], v[45:46], v[77:78]
	v_mul_f64 v[9:10], v[43:44], v[77:78]
	v_add_f64 v[3:4], v[3:4], v[15:16]
	v_add_f64 v[5:6], v[5:6], v[17:18]
	v_mul_f64 v[15:16], v[41:42], v[73:74]
	v_mul_f64 v[17:18], v[39:40], v[73:74]
	v_fma_f64 v[7:8], v[43:44], v[75:76], -v[7:8]
	v_fma_f64 v[9:10], v[45:46], v[75:76], v[9:10]
	v_add_f64 v[3:4], v[3:4], v[11:12]
	v_add_f64 v[5:6], v[5:6], v[13:14]
	v_mul_f64 v[11:12], v[65:66], v[125:126]
	v_mul_f64 v[13:14], v[63:64], v[125:126]
	v_fma_f64 v[15:16], v[39:40], v[71:72], -v[15:16]
	v_fma_f64 v[17:18], v[41:42], v[71:72], v[17:18]
	;; [unrolled: 6-line block ×9, first 2 shown]
	v_add_f64 v[3:4], v[3:4], v[15:16]
	v_add_f64 v[5:6], v[5:6], v[17:18]
	v_fma_f64 v[7:8], v[107:108], v[127:128], -v[7:8]
	v_fma_f64 v[9:10], v[109:110], v[127:128], v[9:10]
	v_add_f64 v[3:4], v[3:4], v[11:12]
	v_add_f64 v[5:6], v[5:6], v[13:14]
	v_add_co_u32_e64 v11, s[8:9], s19, v144
	v_add_f64 v[3:4], v[3:4], v[7:8]
	v_add_f64 v[5:6], v[5:6], v[9:10]
	v_mov_b32_e32 v7, s18
	v_addc_co_u32_e64 v12, s[8:9], v145, v7, s[8:9]
	s_cbranch_scc1 .LBB58_148
.LBB58_144:                             ; =>This Inner Loop Header: Depth=1
	s_and_saveexec_b64 s[14:15], s[2:3]
	s_cbranch_execz .LBB58_146
; %bb.145:                              ;   in Loop: Header=BB58_144 Depth=1
	s_ashr_i32 s13, s12, 31
	s_lshl_b64 s[8:9], s[12:13], 4
	v_mov_b32_e32 v8, s9
	v_add_co_u32_e64 v7, s[8:9], s8, v147
	v_addc_co_u32_e64 v8, s[8:9], v148, v8, s[8:9]
	flat_load_dwordx4 v[7:10], v[7:8]
	s_waitcnt vmcnt(0) lgkmcnt(0)
	ds_write2_b64 v149, v[7:8], v[9:10] offset1:1
.LBB58_146:                             ;   in Loop: Header=BB58_144 Depth=1
	s_or_b64 exec, exec, s[14:15]
	s_waitcnt lgkmcnt(0)
	s_barrier
	flat_load_dwordx4 v[7:10], v[11:12]
	v_add_co_u32_e64 v11, s[8:9], s10, v11
	v_addc_co_u32_e64 v12, s[8:9], v12, v156, s[8:9]
	v_add_co_u32_e64 v13, s[8:9], s10, v11
	v_addc_co_u32_e64 v14, s[8:9], v12, v156, s[8:9]
	v_add_co_u32_e64 v43, s[8:9], s10, v13
	flat_load_dwordx4 v[19:22], v[11:12]
	flat_load_dwordx4 v[15:18], v[13:14]
	v_addc_co_u32_e64 v44, s[8:9], v14, v156, s[8:9]
	flat_load_dwordx4 v[11:14], v[43:44]
	ds_read_b128 v[39:42], v151
	ds_read_b128 v[35:38], v150
	ds_read_b128 v[31:34], v150 offset:16
	ds_read_b128 v[27:30], v150 offset:32
	;; [unrolled: 1-line block ×3, first 2 shown]
	v_add_co_u32_e64 v55, s[8:9], s19, v43
	v_addc_co_u32_e64 v56, s[8:9], v44, v157, s[8:9]
	v_add_co_u32_e64 v57, s[8:9], s10, v55
	v_addc_co_u32_e64 v58, s[8:9], v56, v156, s[8:9]
	s_waitcnt vmcnt(0) lgkmcnt(0)
	v_mul_f64 v[43:44], v[9:10], v[41:42]
	v_mul_f64 v[45:46], v[9:10], v[39:40]
	v_fma_f64 v[43:44], v[7:8], v[39:40], v[43:44]
	v_fma_f64 v[45:46], v[7:8], v[41:42], -v[45:46]
	v_mul_f64 v[47:48], v[21:22], v[41:42]
	v_mul_f64 v[49:50], v[21:22], v[39:40]
	;; [unrolled: 1-line block ×6, first 2 shown]
	v_fma_f64 v[47:48], v[19:20], v[39:40], v[47:48]
	v_fma_f64 v[49:50], v[19:20], v[41:42], -v[49:50]
	v_fma_f64 v[51:52], v[15:16], v[39:40], v[51:52]
	v_fma_f64 v[53:54], v[15:16], v[41:42], -v[53:54]
	;; [unrolled: 2-line block ×3, first 2 shown]
	v_add_co_u32_e64 v59, s[8:9], s10, v57
	v_addc_co_u32_e64 v60, s[8:9], v58, v156, s[8:9]
	ds_write_b128 v152, v[43:46]
	ds_write_b128 v152, v[47:50] offset:1072
	ds_write_b128 v152, v[51:54] offset:2144
	;; [unrolled: 1-line block ×3, first 2 shown]
	s_waitcnt lgkmcnt(0)
	s_barrier
	ds_read_b128 v[127:130], v153
	ds_read_b128 v[131:134], v153 offset:16
	ds_read_b128 v[91:94], v153 offset:32
	;; [unrolled: 1-line block ×3, first 2 shown]
	s_waitcnt lgkmcnt(0)
	s_barrier
	flat_load_dwordx4 v[47:50], v[55:56]
	flat_load_dwordx4 v[51:54], v[57:58]
	flat_load_dwordx4 v[43:46], v[59:60]
	v_add_co_u32_e64 v55, s[8:9], s10, v59
	v_addc_co_u32_e64 v56, s[8:9], v60, v156, s[8:9]
	flat_load_dwordx4 v[39:42], v[55:56]
	v_add_co_u32_e64 v95, s[8:9], s19, v55
	v_addc_co_u32_e64 v96, s[8:9], v56, v157, s[8:9]
	ds_read_b128 v[55:58], v151
	v_add_co_u32_e64 v97, s[8:9], s10, v95
	v_addc_co_u32_e64 v98, s[8:9], v96, v156, s[8:9]
	v_add_co_u32_e64 v99, s[8:9], s10, v97
	v_addc_co_u32_e64 v100, s[8:9], v98, v156, s[8:9]
	s_waitcnt vmcnt(0) lgkmcnt(0)
	v_mul_f64 v[59:60], v[49:50], v[57:58]
	v_mul_f64 v[61:62], v[49:50], v[55:56]
	;; [unrolled: 1-line block ×8, first 2 shown]
	v_fma_f64 v[59:60], v[47:48], v[55:56], v[59:60]
	v_fma_f64 v[61:62], v[47:48], v[57:58], -v[61:62]
	v_fma_f64 v[63:64], v[51:52], v[55:56], v[63:64]
	v_fma_f64 v[65:66], v[51:52], v[57:58], -v[65:66]
	;; [unrolled: 2-line block ×4, first 2 shown]
	ds_read_b128 v[83:86], v150 offset:256
	ds_read_b128 v[79:82], v150 offset:272
	;; [unrolled: 1-line block ×4, first 2 shown]
	ds_write_b128 v152, v[59:62]
	ds_write_b128 v152, v[63:66] offset:1072
	ds_write_b128 v152, v[67:70] offset:2144
	;; [unrolled: 1-line block ×3, first 2 shown]
	s_waitcnt lgkmcnt(0)
	s_barrier
	ds_read_b128 v[159:162], v153
	ds_read_b128 v[163:166], v153 offset:16
	ds_read_b128 v[167:170], v153 offset:32
	;; [unrolled: 1-line block ×3, first 2 shown]
	s_waitcnt lgkmcnt(0)
	s_barrier
	flat_load_dwordx4 v[63:66], v[95:96]
	flat_load_dwordx4 v[59:62], v[97:98]
	;; [unrolled: 1-line block ×3, first 2 shown]
	v_add_co_u32_e64 v95, s[8:9], s10, v99
	v_addc_co_u32_e64 v96, s[8:9], v100, v156, s[8:9]
	flat_load_dwordx4 v[67:70], v[95:96]
	v_add_co_u32_e64 v135, s[8:9], s19, v95
	v_addc_co_u32_e64 v136, s[8:9], v96, v157, s[8:9]
	ds_read_b128 v[95:98], v151
	v_add_co_u32_e64 v137, s[8:9], s10, v135
	v_addc_co_u32_e64 v138, s[8:9], v136, v156, s[8:9]
	v_add_co_u32_e64 v139, s[8:9], s10, v137
	v_addc_co_u32_e64 v140, s[8:9], v138, v156, s[8:9]
	;; [unrolled: 2-line block ×3, first 2 shown]
	v_add_f64 v[211:212], v[159:160], 0
	v_add_f64 v[163:164], v[211:212], v[163:164]
	;; [unrolled: 1-line block ×3, first 2 shown]
	s_waitcnt vmcnt(0) lgkmcnt(0)
	v_mul_f64 v[99:100], v[65:66], v[97:98]
	v_mul_f64 v[101:102], v[65:66], v[95:96]
	;; [unrolled: 1-line block ×8, first 2 shown]
	v_fma_f64 v[99:100], v[63:64], v[95:96], v[99:100]
	v_fma_f64 v[101:102], v[63:64], v[97:98], -v[101:102]
	v_fma_f64 v[103:104], v[59:60], v[95:96], v[103:104]
	v_fma_f64 v[105:106], v[59:60], v[97:98], -v[105:106]
	;; [unrolled: 2-line block ×4, first 2 shown]
	ds_read_b128 v[123:126], v150 offset:512
	ds_read_b128 v[119:122], v150 offset:528
	;; [unrolled: 1-line block ×4, first 2 shown]
	ds_write_b128 v152, v[99:102]
	ds_write_b128 v152, v[103:106] offset:1072
	ds_write_b128 v152, v[107:110] offset:2144
	;; [unrolled: 1-line block ×3, first 2 shown]
	s_waitcnt lgkmcnt(0)
	s_barrier
	ds_read_b128 v[175:178], v153
	ds_read_b128 v[179:182], v153 offset:16
	ds_read_b128 v[183:186], v153 offset:32
	;; [unrolled: 1-line block ×3, first 2 shown]
	s_waitcnt lgkmcnt(0)
	s_barrier
	flat_load_dwordx4 v[99:102], v[135:136]
	flat_load_dwordx4 v[95:98], v[137:138]
	flat_load_dwordx4 v[103:106], v[139:140]
	flat_load_dwordx4 v[107:110], v[144:145]
	v_add_f64 v[135:136], v[127:128], 0
	v_add_f64 v[137:138], v[129:130], 0
	ds_read_b128 v[127:130], v151
	v_add_f64 v[175:176], v[175:176], 0
	v_add_f64 v[177:178], v[177:178], 0
	;; [unrolled: 1-line block ×9, first 2 shown]
	s_waitcnt vmcnt(0) lgkmcnt(0)
	v_mul_f64 v[131:132], v[101:102], v[129:130]
	v_mul_f64 v[133:134], v[101:102], v[127:128]
	;; [unrolled: 1-line block ×8, first 2 shown]
	v_fma_f64 v[191:192], v[99:100], v[127:128], v[131:132]
	v_fma_f64 v[193:194], v[99:100], v[129:130], -v[133:134]
	v_fma_f64 v[195:196], v[95:96], v[127:128], v[135:136]
	v_fma_f64 v[197:198], v[95:96], v[129:130], -v[137:138]
	;; [unrolled: 2-line block ×4, first 2 shown]
	ds_read_b128 v[139:142], v150 offset:768
	ds_read_b128 v[135:138], v150 offset:784
	;; [unrolled: 1-line block ×4, first 2 shown]
	ds_write_b128 v152, v[191:194]
	ds_write_b128 v152, v[195:198] offset:1072
	ds_write_b128 v152, v[199:202] offset:2144
	;; [unrolled: 1-line block ×3, first 2 shown]
	s_waitcnt lgkmcnt(0)
	s_barrier
	ds_read_b128 v[191:194], v153
	v_add_f64 v[195:196], v[161:162], 0
	ds_read_b128 v[159:162], v153 offset:16
	v_add_f64 v[197:198], v[207:208], v[91:92]
	ds_read_b128 v[91:94], v153 offset:32
	s_waitcnt lgkmcnt(2)
	v_add_f64 v[191:192], v[191:192], 0
	v_add_f64 v[193:194], v[193:194], 0
	;; [unrolled: 1-line block ×4, first 2 shown]
	s_waitcnt lgkmcnt(1)
	v_add_f64 v[181:182], v[191:192], v[159:160]
	v_add_f64 v[191:192], v[193:194], v[161:162]
	ds_read_b128 v[159:162], v153 offset:48
	s_waitcnt lgkmcnt(0)
	v_add_f64 v[165:166], v[165:166], v[169:170]
	v_add_f64 v[169:170], v[177:178], v[185:186]
	s_barrier
	v_add_f64 v[175:176], v[181:182], v[91:92]
	v_add_f64 v[177:178], v[191:192], v[93:94]
	;; [unrolled: 1-line block ×8, first 2 shown]
	ds_write_b128 v158, v[87:90]
	ds_write_b128 v158, v[91:94] offset:256
	ds_write_b128 v158, v[163:166] offset:512
	;; [unrolled: 1-line block ×3, first 2 shown]
	s_waitcnt lgkmcnt(0)
	s_barrier
	s_and_saveexec_b64 s[14:15], vcc
	s_cbranch_execz .LBB58_143
; %bb.147:                              ;   in Loop: Header=BB58_144 Depth=1
	ds_read_b128 v[87:90], v154
	ds_read_b128 v[91:94], v154 offset:16
	s_waitcnt lgkmcnt(0)
	v_add_f64 v[159:160], v[91:92], v[87:88]
	v_add_f64 v[161:162], v[93:94], v[89:90]
	ds_read_b128 v[87:90], v154 offset:32
	ds_read_b128 v[91:94], v154 offset:48
	s_waitcnt lgkmcnt(1)
	v_add_f64 v[87:88], v[159:160], v[87:88]
	v_add_f64 v[89:90], v[161:162], v[89:90]
	s_waitcnt lgkmcnt(0)
	v_add_f64 v[159:160], v[87:88], v[91:92]
	v_add_f64 v[161:162], v[89:90], v[93:94]
	ds_read_b128 v[87:90], v154 offset:64
	ds_read_b128 v[91:94], v154 offset:80
	s_waitcnt lgkmcnt(1)
	v_add_f64 v[87:88], v[159:160], v[87:88]
	v_add_f64 v[89:90], v[161:162], v[89:90]
	;; [unrolled: 8-line block ×6, first 2 shown]
	s_waitcnt lgkmcnt(0)
	v_add_f64 v[159:160], v[87:88], v[91:92]
	v_add_f64 v[161:162], v[89:90], v[93:94]
	ds_read_b128 v[87:90], v154 offset:224
	ds_read_b128 v[91:94], v155
	s_waitcnt lgkmcnt(1)
	v_add_f64 v[87:88], v[159:160], v[87:88]
	v_add_f64 v[89:90], v[161:162], v[89:90]
	s_waitcnt lgkmcnt(0)
	v_add_f64 v[87:88], v[87:88], v[91:92]
	v_add_f64 v[89:90], v[89:90], v[93:94]
	v_lshlrev_b64 v[91:92], 4, v[0:1]
	v_mov_b32_e32 v93, s17
	v_add_co_u32_e64 v91, s[8:9], s16, v91
	v_addc_co_u32_e64 v92, s[8:9], v93, v92, s[8:9]
	global_store_dwordx4 v[91:92], v[87:90], off
	s_branch .LBB58_143
.LBB58_148:
	s_movk_i32 s2, 0x430
	v_mad_u32_u24 v0, v2, s2, v146
	s_nor_b64 s[0:1], s[0:1], s[4:5]
	ds_write_b128 v0, v[3:6]
	s_waitcnt lgkmcnt(0)
	s_barrier
	s_and_saveexec_b64 s[2:3], s[0:1]
	s_cbranch_execz .LBB58_150
; %bb.149:
	ds_read_b128 v[0:3], v146 offset:1072
	ds_read_b128 v[4:7], v146
	v_ashrrev_i32_e32 v144, 31, v143
	s_waitcnt lgkmcnt(0)
	v_add_f64 v[8:9], v[0:1], v[4:5]
	v_add_f64 v[10:11], v[2:3], v[6:7]
	ds_read_b128 v[0:3], v146 offset:2144
	ds_read_b128 v[4:7], v146 offset:3216
	s_waitcnt lgkmcnt(1)
	v_add_f64 v[0:1], v[8:9], v[0:1]
	v_add_f64 v[2:3], v[10:11], v[2:3]
	s_waitcnt lgkmcnt(0)
	v_add_f64 v[0:1], v[0:1], v[4:5]
	v_add_f64 v[2:3], v[2:3], v[6:7]
	v_lshlrev_b64 v[4:5], 4, v[143:144]
	v_mov_b32_e32 v6, s17
	v_add_co_u32_e32 v4, vcc, s16, v4
	v_addc_co_u32_e32 v5, vcc, v6, v5, vcc
	global_store_dwordx4 v[4:5], v[0:3], off
.LBB58_150:
	s_endpgm
	.section	.rodata,"a",@progbits
	.p2align	6, 0x0
	.amdhsa_kernel _ZL26rocblas_hemvn_kernel_lowerILb1ELi64ELi4ELi33ELi32ELi16EiPK19rocblas_complex_numIdEPKS3_PS1_EviT6_lT7_lT5_lS8_lS9_lS7_lT8_i
		.amdhsa_group_segment_fixed_size 19200
		.amdhsa_private_segment_fixed_size 0
		.amdhsa_kernarg_size 376
		.amdhsa_user_sgpr_count 6
		.amdhsa_user_sgpr_private_segment_buffer 1
		.amdhsa_user_sgpr_dispatch_ptr 0
		.amdhsa_user_sgpr_queue_ptr 0
		.amdhsa_user_sgpr_kernarg_segment_ptr 1
		.amdhsa_user_sgpr_dispatch_id 0
		.amdhsa_user_sgpr_flat_scratch_init 0
		.amdhsa_user_sgpr_private_segment_size 0
		.amdhsa_uses_dynamic_stack 0
		.amdhsa_system_sgpr_private_segment_wavefront_offset 0
		.amdhsa_system_sgpr_workgroup_id_x 1
		.amdhsa_system_sgpr_workgroup_id_y 0
		.amdhsa_system_sgpr_workgroup_id_z 1
		.amdhsa_system_sgpr_workgroup_info 0
		.amdhsa_system_vgpr_workitem_id 1
		.amdhsa_next_free_vgpr 213
		.amdhsa_next_free_sgpr 98
		.amdhsa_reserve_vcc 1
		.amdhsa_reserve_flat_scratch 0
		.amdhsa_float_round_mode_32 0
		.amdhsa_float_round_mode_16_64 0
		.amdhsa_float_denorm_mode_32 3
		.amdhsa_float_denorm_mode_16_64 3
		.amdhsa_dx10_clamp 1
		.amdhsa_ieee_mode 1
		.amdhsa_fp16_overflow 0
		.amdhsa_exception_fp_ieee_invalid_op 0
		.amdhsa_exception_fp_denorm_src 0
		.amdhsa_exception_fp_ieee_div_zero 0
		.amdhsa_exception_fp_ieee_overflow 0
		.amdhsa_exception_fp_ieee_underflow 0
		.amdhsa_exception_fp_ieee_inexact 0
		.amdhsa_exception_int_div_zero 0
	.end_amdhsa_kernel
	.section	.text._ZL26rocblas_hemvn_kernel_lowerILb1ELi64ELi4ELi33ELi32ELi16EiPK19rocblas_complex_numIdEPKS3_PS1_EviT6_lT7_lT5_lS8_lS9_lS7_lT8_i,"axG",@progbits,_ZL26rocblas_hemvn_kernel_lowerILb1ELi64ELi4ELi33ELi32ELi16EiPK19rocblas_complex_numIdEPKS3_PS1_EviT6_lT7_lT5_lS8_lS9_lS7_lT8_i,comdat
.Lfunc_end58:
	.size	_ZL26rocblas_hemvn_kernel_lowerILb1ELi64ELi4ELi33ELi32ELi16EiPK19rocblas_complex_numIdEPKS3_PS1_EviT6_lT7_lT5_lS8_lS9_lS7_lT8_i, .Lfunc_end58-_ZL26rocblas_hemvn_kernel_lowerILb1ELi64ELi4ELi33ELi32ELi16EiPK19rocblas_complex_numIdEPKS3_PS1_EviT6_lT7_lT5_lS8_lS9_lS7_lT8_i
                                        ; -- End function
	.set _ZL26rocblas_hemvn_kernel_lowerILb1ELi64ELi4ELi33ELi32ELi16EiPK19rocblas_complex_numIdEPKS3_PS1_EviT6_lT7_lT5_lS8_lS9_lS7_lT8_i.num_vgpr, 213
	.set _ZL26rocblas_hemvn_kernel_lowerILb1ELi64ELi4ELi33ELi32ELi16EiPK19rocblas_complex_numIdEPKS3_PS1_EviT6_lT7_lT5_lS8_lS9_lS7_lT8_i.num_agpr, 0
	.set _ZL26rocblas_hemvn_kernel_lowerILb1ELi64ELi4ELi33ELi32ELi16EiPK19rocblas_complex_numIdEPKS3_PS1_EviT6_lT7_lT5_lS8_lS9_lS7_lT8_i.numbered_sgpr, 46
	.set _ZL26rocblas_hemvn_kernel_lowerILb1ELi64ELi4ELi33ELi32ELi16EiPK19rocblas_complex_numIdEPKS3_PS1_EviT6_lT7_lT5_lS8_lS9_lS7_lT8_i.num_named_barrier, 0
	.set _ZL26rocblas_hemvn_kernel_lowerILb1ELi64ELi4ELi33ELi32ELi16EiPK19rocblas_complex_numIdEPKS3_PS1_EviT6_lT7_lT5_lS8_lS9_lS7_lT8_i.private_seg_size, 0
	.set _ZL26rocblas_hemvn_kernel_lowerILb1ELi64ELi4ELi33ELi32ELi16EiPK19rocblas_complex_numIdEPKS3_PS1_EviT6_lT7_lT5_lS8_lS9_lS7_lT8_i.uses_vcc, 1
	.set _ZL26rocblas_hemvn_kernel_lowerILb1ELi64ELi4ELi33ELi32ELi16EiPK19rocblas_complex_numIdEPKS3_PS1_EviT6_lT7_lT5_lS8_lS9_lS7_lT8_i.uses_flat_scratch, 0
	.set _ZL26rocblas_hemvn_kernel_lowerILb1ELi64ELi4ELi33ELi32ELi16EiPK19rocblas_complex_numIdEPKS3_PS1_EviT6_lT7_lT5_lS8_lS9_lS7_lT8_i.has_dyn_sized_stack, 0
	.set _ZL26rocblas_hemvn_kernel_lowerILb1ELi64ELi4ELi33ELi32ELi16EiPK19rocblas_complex_numIdEPKS3_PS1_EviT6_lT7_lT5_lS8_lS9_lS7_lT8_i.has_recursion, 0
	.set _ZL26rocblas_hemvn_kernel_lowerILb1ELi64ELi4ELi33ELi32ELi16EiPK19rocblas_complex_numIdEPKS3_PS1_EviT6_lT7_lT5_lS8_lS9_lS7_lT8_i.has_indirect_call, 0
	.section	.AMDGPU.csdata,"",@progbits
; Kernel info:
; codeLenInByte = 10048
; TotalNumSgprs: 50
; NumVgprs: 213
; ScratchSize: 0
; MemoryBound: 0
; FloatMode: 240
; IeeeMode: 1
; LDSByteSize: 19200 bytes/workgroup (compile time only)
; SGPRBlocks: 12
; VGPRBlocks: 53
; NumSGPRsForWavesPerEU: 102
; NumVGPRsForWavesPerEU: 213
; Occupancy: 1
; WaveLimiterHint : 1
; COMPUTE_PGM_RSRC2:SCRATCH_EN: 0
; COMPUTE_PGM_RSRC2:USER_SGPR: 6
; COMPUTE_PGM_RSRC2:TRAP_HANDLER: 0
; COMPUTE_PGM_RSRC2:TGID_X_EN: 1
; COMPUTE_PGM_RSRC2:TGID_Y_EN: 0
; COMPUTE_PGM_RSRC2:TGID_Z_EN: 1
; COMPUTE_PGM_RSRC2:TIDIG_COMP_CNT: 1
	.section	.text._ZL36rocblas_hemvn_kernel_lower_block_sumILi64EiPK19rocblas_complex_numIdEPKPS1_S1_EviT1_lS7_lT2_lT0_lPT3_i,"axG",@progbits,_ZL36rocblas_hemvn_kernel_lower_block_sumILi64EiPK19rocblas_complex_numIdEPKPS1_S1_EviT1_lS7_lT2_lT0_lPT3_i,comdat
	.globl	_ZL36rocblas_hemvn_kernel_lower_block_sumILi64EiPK19rocblas_complex_numIdEPKPS1_S1_EviT1_lS7_lT2_lT0_lPT3_i ; -- Begin function _ZL36rocblas_hemvn_kernel_lower_block_sumILi64EiPK19rocblas_complex_numIdEPKPS1_S1_EviT1_lS7_lT2_lT0_lPT3_i
	.p2align	8
	.type	_ZL36rocblas_hemvn_kernel_lower_block_sumILi64EiPK19rocblas_complex_numIdEPKPS1_S1_EviT1_lS7_lT2_lT0_lPT3_i,@function
_ZL36rocblas_hemvn_kernel_lower_block_sumILi64EiPK19rocblas_complex_numIdEPKPS1_S1_EviT1_lS7_lT2_lT0_lPT3_i: ; @_ZL36rocblas_hemvn_kernel_lower_block_sumILi64EiPK19rocblas_complex_numIdEPKPS1_S1_EviT1_lS7_lT2_lT0_lPT3_i
; %bb.0:
	s_load_dwordx8 s[20:27], s[4:5], 0x8
	s_mov_b32 s16, s7
	s_waitcnt lgkmcnt(0)
	s_mul_i32 s0, s23, s7
	s_mul_hi_u32 s1, s22, s7
	s_add_i32 s1, s1, s0
	s_mul_i32 s0, s22, s7
	s_lshl_b64 s[0:1], s[0:1], 4
	s_add_u32 s0, s20, s0
	s_addc_u32 s1, s21, s1
	s_load_dwordx4 s[12:15], s[0:1], 0x0
	s_mul_i32 s7, s27, s7
	s_mul_hi_u32 s9, s26, s16
	s_mul_i32 s8, s26, s16
	s_add_i32 s9, s9, s7
	s_waitcnt lgkmcnt(0)
	v_cmp_neq_f64_e64 s[0:1], s[12:13], 0
	v_cmp_neq_f64_e64 s[2:3], s[14:15], 0
	s_lshl_b64 s[8:9], s[8:9], 4
	s_add_u32 s18, s24, s8
	s_addc_u32 s19, s25, s9
	s_load_dwordx4 s[8:11], s[18:19], 0x0
	s_or_b64 s[0:1], s[0:1], s[2:3]
	s_mov_b64 s[2:3], -1
	s_and_b64 vcc, exec, s[0:1]
	s_cbranch_vccnz .LBB59_2
; %bb.1:
	s_waitcnt lgkmcnt(0)
	v_cmp_neq_f64_e64 s[2:3], s[8:9], 1.0
	v_cmp_neq_f64_e64 s[18:19], s[10:11], 0
	s_or_b64 s[2:3], s[2:3], s[18:19]
.LBB59_2:
	s_andn2_b64 vcc, exec, s[2:3]
	s_cbranch_vccnz .LBB59_22
; %bb.3:
	s_load_dwordx4 s[20:23], s[4:5], 0x28
	s_mov_b32 s17, 0
	s_xor_b64 s[0:1], s[0:1], -1
	s_lshl_b64 s[2:3], s[16:17], 3
	s_load_dword s24, s[4:5], 0x38
	s_load_dword s18, s[4:5], 0x0
	s_waitcnt lgkmcnt(0)
	s_add_u32 s2, s20, s2
	s_addc_u32 s3, s21, s3
	s_load_dwordx2 s[2:3], s[2:3], 0x0
	s_lshl_b64 s[20:21], s[22:23], 4
	v_lshl_or_b32 v6, s6, 6, v0
	s_waitcnt lgkmcnt(0)
	s_add_u32 s7, s2, s20
	s_addc_u32 s17, s3, s21
	s_andn2_b64 vcc, exec, s[0:1]
	v_cmp_gt_i32_e64 s[0:1], s18, v6
	s_cbranch_vccnz .LBB59_8
; %bb.4:
	s_mov_b64 s[20:21], 0
	s_mov_b64 s[2:3], 0
                                        ; implicit-def: $vgpr2_vgpr3
                                        ; implicit-def: $vgpr4_vgpr5
	s_and_saveexec_b64 s[22:23], s[0:1]
	s_cbranch_execz .LBB59_9
; %bb.5:
	v_cmp_neq_f64_e64 s[0:1], s[8:9], 0
	v_cmp_neq_f64_e64 s[2:3], s[10:11], 0
	v_mul_lo_u32 v4, s24, v6
	v_mov_b32_e32 v2, 0
	v_mov_b32_e32 v0, 0
	;; [unrolled: 1-line block ×4, first 2 shown]
	v_ashrrev_i32_e32 v5, 31, v4
	s_or_b64 s[0:1], s[0:1], s[2:3]
	s_andn2_b64 vcc, exec, s[0:1]
	s_cbranch_vccnz .LBB59_7
; %bb.6:
	v_lshlrev_b64 v[0:1], 4, v[4:5]
	v_mov_b32_e32 v2, s17
	v_add_co_u32_e32 v0, vcc, s7, v0
	v_addc_co_u32_e32 v1, vcc, v2, v1, vcc
	flat_load_dwordx4 v[7:10], v[0:1]
	s_waitcnt vmcnt(0) lgkmcnt(0)
	v_mul_f64 v[0:1], s[10:11], v[9:10]
	v_mul_f64 v[2:3], s[8:9], v[9:10]
	v_fma_f64 v[0:1], s[8:9], v[7:8], -v[0:1]
	v_fma_f64 v[2:3], s[10:11], v[7:8], v[2:3]
.LBB59_7:
	s_mov_b64 s[2:3], exec
	s_or_b64 exec, exec, s[22:23]
	s_and_b64 vcc, exec, s[20:21]
	s_cbranch_vccnz .LBB59_10
	s_branch .LBB59_20
.LBB59_8:
	s_mov_b64 s[2:3], 0
                                        ; implicit-def: $vgpr2_vgpr3
                                        ; implicit-def: $vgpr4_vgpr5
	s_cbranch_execnz .LBB59_10
	s_branch .LBB59_20
.LBB59_9:
	s_or_b64 exec, exec, s[22:23]
	s_and_b64 vcc, exec, s[20:21]
	s_cbranch_vccz .LBB59_20
.LBB59_10:
	v_cmp_gt_i32_e32 vcc, s18, v6
                                        ; implicit-def: $vgpr2_vgpr3
                                        ; implicit-def: $vgpr4_vgpr5
	s_and_saveexec_b64 s[0:1], vcc
	s_cbranch_execz .LBB59_19
; %bb.11:
	s_load_dword s20, s[4:5], 0x58
	v_mov_b32_e32 v0, 0
	v_mov_b32_e32 v2, 0
	;; [unrolled: 1-line block ×4, first 2 shown]
	s_waitcnt lgkmcnt(0)
	s_cmp_ge_i32 s6, s20
	s_cbranch_scc1 .LBB59_14
; %bb.12:
	s_ashr_i32 s19, s18, 31
	s_mul_i32 s21, s18, s6
	s_load_dwordx2 s[4:5], s[4:5], 0x48
	v_add_u32_e32 v0, s21, v6
	s_mul_hi_u32 s21, s18, s16
	s_mul_i32 s22, s19, s16
	s_add_i32 s21, s21, s22
	s_mul_i32 s16, s18, s16
	s_mul_i32 s21, s21, s20
	s_mul_hi_u32 s22, s16, s20
	s_add_i32 s23, s22, s21
	s_mul_i32 s22, s16, s20
	v_ashrrev_i32_e32 v1, 31, v0
	s_lshl_b64 s[22:23], s[22:23], 4
	v_lshlrev_b64 v[0:1], 4, v[0:1]
	s_waitcnt lgkmcnt(0)
	s_add_u32 s4, s4, s22
	s_addc_u32 s5, s5, s23
	v_mov_b32_e32 v2, s5
	v_add_co_u32_e32 v0, vcc, s4, v0
	v_addc_co_u32_e32 v1, vcc, v2, v1, vcc
	v_add_co_u32_e32 v4, vcc, 8, v0
	v_addc_co_u32_e32 v5, vcc, 0, v1, vcc
	s_lshl_b64 s[4:5], s[18:19], 4
	v_mov_b32_e32 v0, 0
	v_mov_b32_e32 v2, 0
	;; [unrolled: 1-line block ×5, first 2 shown]
.LBB59_13:                              ; =>This Inner Loop Header: Depth=1
	global_load_dwordx4 v[8:11], v[4:5], off offset:-8
	s_add_i32 s6, s6, 1
	v_add_co_u32_e32 v4, vcc, s4, v4
	s_cmp_ge_i32 s6, s20
	v_addc_co_u32_e32 v5, vcc, v5, v7, vcc
	s_waitcnt vmcnt(0)
	v_add_f64 v[2:3], v[2:3], v[8:9]
	v_add_f64 v[0:1], v[0:1], v[10:11]
	s_cbranch_scc0 .LBB59_13
.LBB59_14:
	v_mul_f64 v[4:5], s[14:15], v[0:1]
	v_mul_f64 v[7:8], s[12:13], v[0:1]
	v_cmp_neq_f64_e64 s[18:19], s[8:9], 0
	v_cmp_neq_f64_e64 s[20:21], s[10:11], 0
	s_mov_b64 s[4:5], 0
	v_fma_f64 v[0:1], s[12:13], v[2:3], -v[4:5]
	v_fma_f64 v[2:3], s[14:15], v[2:3], v[7:8]
	v_mul_lo_u32 v4, s24, v6
	s_or_b64 s[12:13], s[18:19], s[20:21]
	s_andn2_b64 vcc, exec, s[12:13]
	v_ashrrev_i32_e32 v5, 31, v4
	s_cbranch_vccnz .LBB59_16
; %bb.15:
	s_mov_b64 s[4:5], -1
.LBB59_16:
	s_andn2_b64 vcc, exec, s[4:5]
	s_cbranch_vccnz .LBB59_18
; %bb.17:
	v_lshlrev_b64 v[6:7], 4, v[4:5]
	v_mov_b32_e32 v8, s17
	v_add_co_u32_e32 v6, vcc, s7, v6
	v_addc_co_u32_e32 v7, vcc, v8, v7, vcc
	flat_load_dwordx4 v[6:9], v[6:7]
	s_waitcnt vmcnt(0) lgkmcnt(0)
	v_mul_f64 v[10:11], s[10:11], v[8:9]
	v_mul_f64 v[8:9], s[8:9], v[8:9]
	v_fma_f64 v[10:11], s[8:9], v[6:7], -v[10:11]
	v_fma_f64 v[6:7], s[10:11], v[6:7], v[8:9]
	v_add_f64 v[0:1], v[0:1], v[10:11]
	v_add_f64 v[2:3], v[2:3], v[6:7]
.LBB59_18:
	s_or_b64 s[2:3], s[2:3], exec
.LBB59_19:
	s_or_b64 exec, exec, s[0:1]
.LBB59_20:
	s_and_saveexec_b64 s[0:1], s[2:3]
	s_cbranch_execz .LBB59_22
; %bb.21:
	v_lshlrev_b64 v[4:5], 4, v[4:5]
	v_mov_b32_e32 v6, s17
	v_add_co_u32_e32 v4, vcc, s7, v4
	v_addc_co_u32_e32 v5, vcc, v6, v5, vcc
	flat_store_dwordx4 v[4:5], v[0:3]
.LBB59_22:
	s_endpgm
	.section	.rodata,"a",@progbits
	.p2align	6, 0x0
	.amdhsa_kernel _ZL36rocblas_hemvn_kernel_lower_block_sumILi64EiPK19rocblas_complex_numIdEPKPS1_S1_EviT1_lS7_lT2_lT0_lPT3_i
		.amdhsa_group_segment_fixed_size 0
		.amdhsa_private_segment_fixed_size 0
		.amdhsa_kernarg_size 344
		.amdhsa_user_sgpr_count 6
		.amdhsa_user_sgpr_private_segment_buffer 1
		.amdhsa_user_sgpr_dispatch_ptr 0
		.amdhsa_user_sgpr_queue_ptr 0
		.amdhsa_user_sgpr_kernarg_segment_ptr 1
		.amdhsa_user_sgpr_dispatch_id 0
		.amdhsa_user_sgpr_flat_scratch_init 0
		.amdhsa_user_sgpr_private_segment_size 0
		.amdhsa_uses_dynamic_stack 0
		.amdhsa_system_sgpr_private_segment_wavefront_offset 0
		.amdhsa_system_sgpr_workgroup_id_x 1
		.amdhsa_system_sgpr_workgroup_id_y 0
		.amdhsa_system_sgpr_workgroup_id_z 1
		.amdhsa_system_sgpr_workgroup_info 0
		.amdhsa_system_vgpr_workitem_id 0
		.amdhsa_next_free_vgpr 12
		.amdhsa_next_free_sgpr 28
		.amdhsa_reserve_vcc 1
		.amdhsa_reserve_flat_scratch 0
		.amdhsa_float_round_mode_32 0
		.amdhsa_float_round_mode_16_64 0
		.amdhsa_float_denorm_mode_32 3
		.amdhsa_float_denorm_mode_16_64 3
		.amdhsa_dx10_clamp 1
		.amdhsa_ieee_mode 1
		.amdhsa_fp16_overflow 0
		.amdhsa_exception_fp_ieee_invalid_op 0
		.amdhsa_exception_fp_denorm_src 0
		.amdhsa_exception_fp_ieee_div_zero 0
		.amdhsa_exception_fp_ieee_overflow 0
		.amdhsa_exception_fp_ieee_underflow 0
		.amdhsa_exception_fp_ieee_inexact 0
		.amdhsa_exception_int_div_zero 0
	.end_amdhsa_kernel
	.section	.text._ZL36rocblas_hemvn_kernel_lower_block_sumILi64EiPK19rocblas_complex_numIdEPKPS1_S1_EviT1_lS7_lT2_lT0_lPT3_i,"axG",@progbits,_ZL36rocblas_hemvn_kernel_lower_block_sumILi64EiPK19rocblas_complex_numIdEPKPS1_S1_EviT1_lS7_lT2_lT0_lPT3_i,comdat
.Lfunc_end59:
	.size	_ZL36rocblas_hemvn_kernel_lower_block_sumILi64EiPK19rocblas_complex_numIdEPKPS1_S1_EviT1_lS7_lT2_lT0_lPT3_i, .Lfunc_end59-_ZL36rocblas_hemvn_kernel_lower_block_sumILi64EiPK19rocblas_complex_numIdEPKPS1_S1_EviT1_lS7_lT2_lT0_lPT3_i
                                        ; -- End function
	.set _ZL36rocblas_hemvn_kernel_lower_block_sumILi64EiPK19rocblas_complex_numIdEPKPS1_S1_EviT1_lS7_lT2_lT0_lPT3_i.num_vgpr, 12
	.set _ZL36rocblas_hemvn_kernel_lower_block_sumILi64EiPK19rocblas_complex_numIdEPKPS1_S1_EviT1_lS7_lT2_lT0_lPT3_i.num_agpr, 0
	.set _ZL36rocblas_hemvn_kernel_lower_block_sumILi64EiPK19rocblas_complex_numIdEPKPS1_S1_EviT1_lS7_lT2_lT0_lPT3_i.numbered_sgpr, 28
	.set _ZL36rocblas_hemvn_kernel_lower_block_sumILi64EiPK19rocblas_complex_numIdEPKPS1_S1_EviT1_lS7_lT2_lT0_lPT3_i.num_named_barrier, 0
	.set _ZL36rocblas_hemvn_kernel_lower_block_sumILi64EiPK19rocblas_complex_numIdEPKPS1_S1_EviT1_lS7_lT2_lT0_lPT3_i.private_seg_size, 0
	.set _ZL36rocblas_hemvn_kernel_lower_block_sumILi64EiPK19rocblas_complex_numIdEPKPS1_S1_EviT1_lS7_lT2_lT0_lPT3_i.uses_vcc, 1
	.set _ZL36rocblas_hemvn_kernel_lower_block_sumILi64EiPK19rocblas_complex_numIdEPKPS1_S1_EviT1_lS7_lT2_lT0_lPT3_i.uses_flat_scratch, 0
	.set _ZL36rocblas_hemvn_kernel_lower_block_sumILi64EiPK19rocblas_complex_numIdEPKPS1_S1_EviT1_lS7_lT2_lT0_lPT3_i.has_dyn_sized_stack, 0
	.set _ZL36rocblas_hemvn_kernel_lower_block_sumILi64EiPK19rocblas_complex_numIdEPKPS1_S1_EviT1_lS7_lT2_lT0_lPT3_i.has_recursion, 0
	.set _ZL36rocblas_hemvn_kernel_lower_block_sumILi64EiPK19rocblas_complex_numIdEPKPS1_S1_EviT1_lS7_lT2_lT0_lPT3_i.has_indirect_call, 0
	.section	.AMDGPU.csdata,"",@progbits
; Kernel info:
; codeLenInByte = 868
; TotalNumSgprs: 32
; NumVgprs: 12
; ScratchSize: 0
; MemoryBound: 0
; FloatMode: 240
; IeeeMode: 1
; LDSByteSize: 0 bytes/workgroup (compile time only)
; SGPRBlocks: 3
; VGPRBlocks: 2
; NumSGPRsForWavesPerEU: 32
; NumVGPRsForWavesPerEU: 12
; Occupancy: 10
; WaveLimiterHint : 1
; COMPUTE_PGM_RSRC2:SCRATCH_EN: 0
; COMPUTE_PGM_RSRC2:USER_SGPR: 6
; COMPUTE_PGM_RSRC2:TRAP_HANDLER: 0
; COMPUTE_PGM_RSRC2:TGID_X_EN: 1
; COMPUTE_PGM_RSRC2:TGID_Y_EN: 0
; COMPUTE_PGM_RSRC2:TGID_Z_EN: 1
; COMPUTE_PGM_RSRC2:TIDIG_COMP_CNT: 0
	.section	.text._ZL26rocblas_hemvn_kernel_lowerILb1ELi64ELi4ELi33ELi32ELi16El19rocblas_complex_numIdEPKPKS1_PS1_EviT6_lT7_lT5_lS8_lS9_lS7_lT8_i,"axG",@progbits,_ZL26rocblas_hemvn_kernel_lowerILb1ELi64ELi4ELi33ELi32ELi16El19rocblas_complex_numIdEPKPKS1_PS1_EviT6_lT7_lT5_lS8_lS9_lS7_lT8_i,comdat
	.globl	_ZL26rocblas_hemvn_kernel_lowerILb1ELi64ELi4ELi33ELi32ELi16El19rocblas_complex_numIdEPKPKS1_PS1_EviT6_lT7_lT5_lS8_lS9_lS7_lT8_i ; -- Begin function _ZL26rocblas_hemvn_kernel_lowerILb1ELi64ELi4ELi33ELi32ELi16El19rocblas_complex_numIdEPKPKS1_PS1_EviT6_lT7_lT5_lS8_lS9_lS7_lT8_i
	.p2align	8
	.type	_ZL26rocblas_hemvn_kernel_lowerILb1ELi64ELi4ELi33ELi32ELi16El19rocblas_complex_numIdEPKPKS1_PS1_EviT6_lT7_lT5_lS8_lS9_lS7_lT8_i,@function
_ZL26rocblas_hemvn_kernel_lowerILb1ELi64ELi4ELi33ELi32ELi16El19rocblas_complex_numIdEPKPKS1_PS1_EviT6_lT7_lT5_lS8_lS9_lS7_lT8_i: ; @_ZL26rocblas_hemvn_kernel_lowerILb1ELi64ELi4ELi33ELi32ELi16El19rocblas_complex_numIdEPKPKS1_PS1_EviT6_lT7_lT5_lS8_lS9_lS7_lT8_i
; %bb.0:
	s_load_dwordx2 s[2:3], s[4:5], 0x94
	s_add_u32 s0, s4, 0x88
	s_mov_b32 s26, s7
	s_addc_u32 s1, s5, 0
	s_waitcnt lgkmcnt(0)
	s_lshr_b32 s7, s2, 16
	s_and_b32 s2, s2, 0xffff
	s_and_b32 s3, s3, 0xffff
	s_mul_i32 s2, s7, s2
	s_mul_i32 s2, s2, s3
	s_cmpk_lg_i32 s2, 0x100
	s_cbranch_scc1 .LBB60_150
; %bb.1:
	s_load_dwordx4 s[8:11], s[4:5], 0x8
	s_waitcnt lgkmcnt(0)
	v_cmp_neq_f64_e64 s[2:3], s[8:9], 0
	v_cmp_neq_f64_e64 s[8:9], s[10:11], 0
	s_or_b64 s[8:9], s[2:3], s[8:9]
	s_mov_b64 s[2:3], -1
	s_and_b64 vcc, exec, s[8:9]
	s_cbranch_vccnz .LBB60_3
; %bb.2:
	s_load_dwordx4 s[8:11], s[4:5], 0x60
	s_waitcnt lgkmcnt(0)
	v_cmp_eq_f64_e64 s[2:3], s[8:9], 1.0
	v_cmp_eq_f64_e64 s[8:9], s[10:11], 0
	s_and_b64 s[2:3], s[2:3], s[8:9]
	s_andn2_b64 vcc, exec, s[2:3]
	s_mov_b64 s[2:3], 0
.LBB60_3:
	s_andn2_b64 vcc, exec, s[2:3]
	s_cbranch_vccnz .LBB60_150
; %bb.4:
	s_load_dword s7, s[4:5], 0x0
	s_load_dwordx4 s[8:11], s[4:5], 0x20
	s_load_dwordx2 s[24:25], s[4:5], 0x30
	s_load_dwordx4 s[12:15], s[4:5], 0x40
	s_mov_b32 s27, 0
	s_lshl_b64 s[2:3], s[26:27], 3
	s_waitcnt lgkmcnt(0)
	s_add_u32 s16, s8, s2
	s_addc_u32 s17, s9, s3
	s_add_u32 s2, s12, s2
	s_addc_u32 s3, s13, s3
	s_load_dwordx2 s[12:13], s[2:3], 0x0
	s_load_dword s27, s[0:1], 0x0
	s_load_dwordx2 s[22:23], s[4:5], 0x50
	s_load_dwordx2 s[8:9], s[16:17], 0x0
	s_lshl_b64 s[0:1], s[14:15], 4
	s_waitcnt lgkmcnt(0)
	s_add_u32 s2, s12, s0
	s_addc_u32 s3, s13, s1
	s_lshl_b32 s30, s6, 6
	s_ashr_i32 s33, s7, 31
	s_lshr_b32 s0, s33, 26
	v_add_u32_e32 v142, s30, v0
	s_add_i32 s0, s7, s0
	v_ashrrev_i32_e32 v143, 31, v142
	s_and_b32 s13, s0, 0xffffffc0
	v_mul_lo_u32 v4, s22, v143
	v_mul_lo_u32 v5, s23, v142
	v_mad_u64_u32 v[2:3], s[0:1], s22, v142, 0
	s_add_i32 s12, s27, -1
	s_sub_i32 s0, s7, s13
	v_add3_u32 v3, v3, v4, v5
	v_lshlrev_b64 v[2:3], 4, v[2:3]
	s_cmp_eq_u32 s6, s12
	v_mov_b32_e32 v4, s3
	v_add_co_u32_e32 v38, vcc, s2, v2
	s_cselect_b32 s28, s0, 0
	v_addc_co_u32_e32 v39, vcc, v4, v3, vcc
	v_cmp_ne_u32_e64 s[0:1], 0, v1
	v_cmp_eq_u32_e64 s[2:3], 0, v1
	s_and_saveexec_b64 s[12:13], s[2:3]
	s_cbranch_execz .LBB60_9
; %bb.5:
	s_cmp_lg_u32 s28, 0
	s_cselect_b64 s[14:15], -1, 0
	v_cmp_le_i32_e32 vcc, s28, v0
	v_mov_b32_e32 v2, 0x4700
	s_and_b64 s[14:15], s[14:15], vcc
	v_lshl_add_u32 v2, v0, 4, v2
	s_and_saveexec_b64 s[16:17], s[14:15]
	s_xor_b64 s[14:15], exec, s[16:17]
; %bb.6:
	v_mov_b32_e32 v3, 0
	v_mov_b32_e32 v4, v3
	;; [unrolled: 1-line block ×4, first 2 shown]
	ds_write_b128 v2, v[3:6]
                                        ; implicit-def: $vgpr2
; %bb.7:
	s_andn2_saveexec_b64 s[14:15], s[14:15]
	s_cbranch_execz .LBB60_9
; %bb.8:
	flat_load_dwordx4 v[3:6], v[38:39]
	s_waitcnt vmcnt(0) lgkmcnt(0)
	ds_write2_b64 v2, v[3:4], v[5:6] offset1:1
.LBB60_9:
	s_or_b64 exec, exec, s[12:13]
	v_lshl_add_u32 v44, v1, 6, v0
	v_and_b32_e32 v10, 31, v0
	v_lshrrev_b32_e32 v13, 5, v44
	v_mov_b32_e32 v11, 0
	v_mad_u64_u32 v[2:3], s[12:13], s24, v13, v[10:11]
	s_lshl_b64 s[10:11], s[10:11], 4
	s_add_u32 s10, s8, s10
	s_addc_u32 s11, s9, s11
	v_mad_u64_u32 v[3:4], s[8:9], s25, v13, v[3:4]
	s_ashr_i32 s31, s30, 31
	s_lshl_b64 s[8:9], s[30:31], 4
	s_add_u32 s8, s10, s8
	v_lshlrev_b64 v[40:41], 4, v[2:3]
	s_addc_u32 s9, s11, s9
	v_mov_b32_e32 v2, s9
	v_add_co_u32_e32 v3, vcc, s8, v40
	s_mul_hi_u32 s8, s24, s30
	s_mul_i32 s9, s24, s31
	s_add_i32 s8, s8, s9
	s_mul_i32 s9, s25, s30
	s_add_i32 s9, s8, s9
	s_mul_i32 s8, s24, s30
	v_addc_co_u32_e32 v2, vcc, v2, v41, vcc
	s_lshl_b64 s[34:35], s[8:9], 4
	v_mov_b32_e32 v4, s35
	v_add_co_u32_e32 v6, vcc, s34, v3
	s_cmp_lg_u32 s28, 0
	v_addc_co_u32_e32 v7, vcc, v2, v4, vcc
	s_cselect_b64 s[36:37], -1, 0
	s_cmp_eq_u32 s28, 0
	s_cselect_b64 s[18:19], -1, 0
	s_mov_b64 s[8:9], -1
	s_and_b64 vcc, exec, s[36:37]
	s_cbranch_vccnz .LBB60_11
; %bb.10:
	flat_load_dwordx4 v[2:5], v[6:7]
	v_mul_u32_u24_e32 v8, 0x210, v13
	s_lshl_b64 s[8:9], s[24:25], 7
	v_lshl_add_u32 v11, v10, 4, v8
	v_mov_b32_e32 v12, s9
	v_add_co_u32_e32 v8, vcc, s8, v6
	v_addc_co_u32_e32 v9, vcc, v7, v12, vcc
	v_add_u32_e32 v14, 0x1080, v11
	s_waitcnt vmcnt(0) lgkmcnt(0)
	ds_write2_b64 v11, v[2:3], v[4:5] offset1:1
	flat_load_dwordx4 v[2:5], v[8:9]
	v_add_co_u32_e32 v8, vcc, s8, v8
	v_addc_co_u32_e32 v9, vcc, v9, v12, vcc
	s_waitcnt vmcnt(0) lgkmcnt(0)
	ds_write2_b64 v14, v[2:3], v[4:5] offset1:1
	flat_load_dwordx4 v[2:5], v[8:9]
	v_add_u32_e32 v14, 0x2100, v11
	v_add_co_u32_e32 v8, vcc, s8, v8
	v_addc_co_u32_e32 v9, vcc, v9, v12, vcc
	s_mov_b64 s[8:9], 0
	s_waitcnt vmcnt(0) lgkmcnt(0)
	ds_write2_b64 v14, v[2:3], v[4:5] offset1:1
	flat_load_dwordx4 v[2:5], v[8:9]
	v_add_u32_e32 v8, 0x3180, v11
	s_waitcnt vmcnt(0) lgkmcnt(0)
	ds_write2_b64 v8, v[2:3], v[4:5] offset1:1
.LBB60_11:
	s_andn2_b64 vcc, exec, s[8:9]
	v_lshlrev_b32_e32 v14, 4, v10
	s_cbranch_vccnz .LBB60_29
; %bb.12:
	v_lshlrev_b32_e32 v4, 4, v10
	v_sub_co_u32_e32 v2, vcc, v6, v4
	s_ashr_i32 s29, s28, 31
	v_subbrev_co_u32_e32 v3, vcc, 0, v7, vcc
	s_lshl_b64 s[10:11], s[28:29], 4
	v_mov_b32_e32 v5, s11
	v_add_co_u32_e32 v2, vcc, s10, v2
	v_addc_co_u32_e32 v3, vcc, v3, v5, vcc
	v_add_co_u32_e32 v2, vcc, -16, v2
	v_addc_co_u32_e32 v3, vcc, -1, v3, vcc
	v_cmp_gt_i32_e32 vcc, s28, v10
	s_movk_i32 s12, 0x210
	v_cndmask_b32_e32 v3, v3, v7, vcc
	v_cndmask_b32_e32 v2, v2, v6, vcc
	v_cmp_le_i32_e64 s[8:9], s28, v13
	v_mad_u32_u24 v5, v13, s12, v14
	s_and_saveexec_b64 s[12:13], s[8:9]
	s_xor_b64 s[8:9], exec, s[12:13]
; %bb.13:
	v_mov_b32_e32 v15, 0
	v_mov_b32_e32 v16, v15
	;; [unrolled: 1-line block ×4, first 2 shown]
	ds_write_b128 v5, v[15:18]
                                        ; implicit-def: $vgpr5
; %bb.14:
	s_andn2_saveexec_b64 s[8:9], s[8:9]
	s_cbranch_execz .LBB60_16
; %bb.15:
	flat_load_dwordx4 v[15:18], v[2:3]
	s_waitcnt vmcnt(0) lgkmcnt(0)
	ds_write2_b64 v5, v[15:16], v[17:18] offset1:1
.LBB60_16:
	s_or_b64 exec, exec, s[8:9]
	v_add_u32_e32 v8, 8, v13
	v_mul_u32_u24_e32 v5, 0x210, v13
	v_cmp_le_i32_e64 s[8:9], s28, v8
	s_and_saveexec_b64 s[12:13], s[8:9]
	s_xor_b64 s[8:9], exec, s[12:13]
	s_cbranch_execz .LBB60_18
; %bb.17:
	v_mov_b32_e32 v15, 0
	v_add_u32_e32 v8, v5, v14
	v_mov_b32_e32 v16, v15
	v_mov_b32_e32 v17, v15
	;; [unrolled: 1-line block ×3, first 2 shown]
	ds_write_b128 v8, v[15:18] offset:4224
.LBB60_18:
	s_andn2_saveexec_b64 s[12:13], s[8:9]
	s_cbranch_execz .LBB60_20
; %bb.19:
	s_lshl_b64 s[8:9], s[24:25], 7
	v_mov_b32_e32 v9, s9
	v_add_co_u32_e64 v8, s[8:9], s8, v2
	v_addc_co_u32_e64 v9, s[8:9], v3, v9, s[8:9]
	flat_load_dwordx4 v[15:18], v[8:9]
	s_movk_i32 s8, 0x1080
	v_add3_u32 v8, v5, v14, s8
	s_waitcnt vmcnt(0) lgkmcnt(0)
	ds_write2_b64 v8, v[15:16], v[17:18] offset1:1
.LBB60_20:
	s_or_b64 exec, exec, s[12:13]
	v_add_u32_e32 v8, 16, v13
	v_cmp_le_i32_e64 s[8:9], s28, v8
	s_and_saveexec_b64 s[12:13], s[8:9]
	s_xor_b64 s[8:9], exec, s[12:13]
	s_cbranch_execz .LBB60_22
; %bb.21:
	v_mov_b32_e32 v15, 0
	v_add_u32_e32 v8, v5, v14
	v_mov_b32_e32 v16, v15
	v_mov_b32_e32 v17, v15
	v_mov_b32_e32 v18, v15
	ds_write_b128 v8, v[15:18] offset:8448
.LBB60_22:
	s_andn2_saveexec_b64 s[12:13], s[8:9]
	s_cbranch_execz .LBB60_24
; %bb.23:
	s_lshl_b64 s[8:9], s[24:25], 8
	v_mov_b32_e32 v9, s9
	v_add_co_u32_e64 v8, s[8:9], s8, v2
	v_addc_co_u32_e64 v9, s[8:9], v3, v9, s[8:9]
	flat_load_dwordx4 v[15:18], v[8:9]
	s_movk_i32 s8, 0x2100
	v_add3_u32 v8, v5, v14, s8
	s_waitcnt vmcnt(0) lgkmcnt(0)
	ds_write2_b64 v8, v[15:16], v[17:18] offset1:1
.LBB60_24:
	s_or_b64 exec, exec, s[12:13]
	v_add_u32_e32 v8, 24, v13
	v_cmp_le_i32_e64 s[8:9], s28, v8
	s_and_saveexec_b64 s[12:13], s[8:9]
	s_xor_b64 s[8:9], exec, s[12:13]
	s_cbranch_execz .LBB60_26
; %bb.25:
	v_mov_b32_e32 v15, 0
	v_add_u32_e32 v5, v5, v14
	v_mov_b32_e32 v16, v15
	v_mov_b32_e32 v17, v15
	;; [unrolled: 1-line block ×3, first 2 shown]
	ds_write_b128 v5, v[15:18] offset:12672
                                        ; implicit-def: $vgpr5
.LBB60_26:
	s_andn2_saveexec_b64 s[8:9], s[8:9]
	s_cbranch_execz .LBB60_28
; %bb.27:
	v_mov_b32_e32 v8, 0x180
	v_mad_u64_u32 v[8:9], s[12:13], s24, v8, v[2:3]
	s_mul_i32 s12, s25, 0x180
	v_add_u32_e32 v9, s12, v9
	flat_load_dwordx4 v[15:18], v[8:9]
	s_movk_i32 s12, 0x3180
	v_add3_u32 v5, v5, v14, s12
	s_waitcnt vmcnt(0) lgkmcnt(0)
	ds_write2_b64 v5, v[15:16], v[17:18] offset1:1
.LBB60_28:
	s_or_b64 exec, exec, s[8:9]
	v_add_co_u32_e64 v2, s[8:9], v2, v4
	v_addc_co_u32_e64 v3, s[8:9], 0, v3, s[8:9]
	v_mov_b32_e32 v4, s11
	v_subrev_co_u32_e64 v2, s[8:9], s10, v2
	v_subb_co_u32_e64 v3, s[8:9], v3, v4, s[8:9]
	v_add_co_u32_e64 v2, s[8:9], 16, v2
	v_addc_co_u32_e64 v3, s[8:9], 0, v3, s[8:9]
	v_cndmask_b32_e32 v7, v3, v7, vcc
	v_cndmask_b32_e32 v6, v2, v6, vcc
.LBB60_29:
	v_lshlrev_b32_e32 v15, 2, v13
	v_mul_u32_u24_e32 v17, 0x210, v10
	v_cmp_ge_u32_e64 s[8:9], v15, v10
	s_mov_b64 s[10:11], 0
	s_waitcnt lgkmcnt(0)
	s_barrier
                                        ; implicit-def: $vgpr9
	s_and_saveexec_b64 s[12:13], s[8:9]
	s_xor_b64 s[12:13], exec, s[12:13]
	s_cbranch_execz .LBB60_33
; %bb.30:
	v_cmp_eq_u32_e32 vcc, v15, v10
                                        ; implicit-def: $vgpr9
	s_and_saveexec_b64 s[14:15], vcc
	s_xor_b64 s[14:15], exec, s[14:15]
; %bb.31:
	s_mov_b64 s[10:11], exec
	v_add_u32_e32 v9, v14, v17
; %bb.32:
	s_or_b64 exec, exec, s[14:15]
	s_and_b64 s[10:11], s[10:11], exec
.LBB60_33:
	s_or_saveexec_b64 s[12:13], s[12:13]
	v_mov_b32_e32 v4, 0
	v_mov_b32_e32 v5, 0
	v_lshl_or_b32 v8, v10, 9, v14
	s_xor_b64 exec, exec, s[12:13]
	s_cbranch_execz .LBB60_35
; %bb.34:
	s_movk_i32 s14, 0x840
	v_mad_u32_u24 v2, v13, s14, v14
	ds_read_b128 v[2:5], v2
	v_lshl_add_u32 v9, v15, 4, v8
	s_or_b64 s[10:11], s[10:11], exec
	s_waitcnt lgkmcnt(0)
	v_xor_b32_e32 v5, 0x80000000, v5
	ds_write_b64 v9, v[2:3]
.LBB60_35:
	s_or_b64 exec, exec, s[12:13]
	s_and_saveexec_b64 s[12:13], s[10:11]
; %bb.36:
	ds_write_b64 v9, v[4:5] offset:8
; %bb.37:
	s_or_b64 exec, exec, s[12:13]
	v_or_b32_e32 v19, 1, v15
	v_cmp_ge_u32_e64 s[10:11], v19, v10
	s_mov_b64 s[12:13], 0
                                        ; implicit-def: $vgpr9
	s_and_saveexec_b64 s[14:15], s[10:11]
	s_xor_b64 s[14:15], exec, s[14:15]
	s_cbranch_execz .LBB60_41
; %bb.38:
	v_cmp_eq_u32_e32 vcc, v19, v10
                                        ; implicit-def: $vgpr9
	s_and_saveexec_b64 s[16:17], vcc
; %bb.39:
	s_mov_b64 s[12:13], exec
	v_add_u32_e32 v9, v14, v17
; %bb.40:
	s_or_b64 exec, exec, s[16:17]
	s_and_b64 s[12:13], s[12:13], exec
.LBB60_41:
	s_or_saveexec_b64 s[14:15], s[14:15]
	v_mov_b32_e32 v4, 0
	v_mov_b32_e32 v5, 0
	s_xor_b64 exec, exec, s[14:15]
	s_cbranch_execz .LBB60_43
; %bb.42:
	s_movk_i32 s16, 0x210
	v_mad_u32_u24 v2, v19, s16, v14
	ds_read_b128 v[2:5], v2
	v_lshl_add_u32 v11, v15, 4, v8
	v_add_u32_e32 v9, 16, v11
	s_or_b64 s[12:13], s[12:13], exec
	s_waitcnt lgkmcnt(0)
	v_xor_b32_e32 v5, 0x80000000, v5
	ds_write_b64 v11, v[2:3] offset:16
.LBB60_43:
	s_or_b64 exec, exec, s[14:15]
	s_and_saveexec_b64 s[14:15], s[12:13]
; %bb.44:
	ds_write_b64 v9, v[4:5] offset:8
; %bb.45:
	s_or_b64 exec, exec, s[14:15]
	v_or_b32_e32 v20, 2, v15
	v_cmp_ge_u32_e64 s[12:13], v20, v10
	s_mov_b64 s[14:15], 0
                                        ; implicit-def: $vgpr9
	s_and_saveexec_b64 s[16:17], s[12:13]
	s_xor_b64 s[16:17], exec, s[16:17]
	s_cbranch_execz .LBB60_49
; %bb.46:
	v_cmp_eq_u32_e32 vcc, v20, v10
                                        ; implicit-def: $vgpr9
	s_and_saveexec_b64 s[20:21], vcc
; %bb.47:
	s_mov_b64 s[14:15], exec
	v_add_u32_e32 v9, v14, v17
; %bb.48:
	s_or_b64 exec, exec, s[20:21]
	s_and_b64 s[14:15], s[14:15], exec
.LBB60_49:
	s_or_saveexec_b64 s[16:17], s[16:17]
	v_mov_b32_e32 v4, 0
	v_mov_b32_e32 v5, 0
	s_xor_b64 exec, exec, s[16:17]
	s_cbranch_execz .LBB60_51
; %bb.50:
	s_movk_i32 s20, 0x210
	v_mad_u32_u24 v2, v20, s20, v14
	ds_read_b128 v[2:5], v2
	v_lshl_add_u32 v11, v15, 4, v8
	v_add_u32_e32 v9, 32, v11
	s_or_b64 s[14:15], s[14:15], exec
	s_waitcnt lgkmcnt(0)
	v_xor_b32_e32 v5, 0x80000000, v5
	ds_write_b64 v11, v[2:3] offset:32
.LBB60_51:
	s_or_b64 exec, exec, s[16:17]
	s_and_saveexec_b64 s[16:17], s[14:15]
; %bb.52:
	ds_write_b64 v9, v[4:5] offset:8
; %bb.53:
	s_or_b64 exec, exec, s[16:17]
	v_or_b32_e32 v21, 3, v15
	v_cmp_ge_u32_e64 s[14:15], v21, v10
	s_mov_b64 s[16:17], 0
                                        ; implicit-def: $vgpr9
	s_and_saveexec_b64 s[20:21], s[14:15]
	s_xor_b64 s[20:21], exec, s[20:21]
	s_cbranch_execz .LBB60_57
; %bb.54:
	v_cmp_eq_u32_e32 vcc, v21, v10
                                        ; implicit-def: $vgpr9
	s_and_saveexec_b64 s[38:39], vcc
; %bb.55:
	s_mov_b64 s[16:17], exec
	v_add_u32_e32 v9, v14, v17
; %bb.56:
	s_or_b64 exec, exec, s[38:39]
	s_and_b64 s[16:17], s[16:17], exec
                                        ; implicit-def: $vgpr8
.LBB60_57:
	s_or_saveexec_b64 s[20:21], s[20:21]
	v_mov_b32_e32 v4, 0
	v_mov_b32_e32 v5, 0
	s_xor_b64 exec, exec, s[20:21]
	s_cbranch_execz .LBB60_59
; %bb.58:
	s_movk_i32 s29, 0x210
	v_mad_u32_u24 v2, v21, s29, v14
	ds_read_b128 v[2:5], v2
	v_lshl_add_u32 v8, v15, 4, v8
	v_add_u32_e32 v9, 48, v8
	s_or_b64 s[16:17], s[16:17], exec
	s_waitcnt lgkmcnt(0)
	v_xor_b32_e32 v5, 0x80000000, v5
	ds_write_b64 v8, v[2:3] offset:48
.LBB60_59:
	s_or_b64 exec, exec, s[20:21]
	s_and_saveexec_b64 s[20:21], s[16:17]
; %bb.60:
	ds_write_b64 v9, v[4:5] offset:8
; %bb.61:
	s_or_b64 exec, exec, s[20:21]
	s_movk_i32 s16, 0x840
	v_lshlrev_b32_e32 v8, 4, v15
	s_waitcnt lgkmcnt(0)
	s_barrier
	v_mad_u32_u24 v9, v13, s16, v14
	ds_read_b128 v[2:5], v8 offset:18176
	ds_read_b128 v[22:25], v9
	ds_read_b128 v[26:29], v8 offset:18192
	s_movk_i32 s29, 0x210
	v_mad_u32_u24 v9, v19, s29, v14
	ds_read_b128 v[30:33], v9
	ds_read_b128 v[34:37], v8 offset:18208
	s_waitcnt lgkmcnt(3)
	v_mul_f64 v[11:12], v[4:5], v[24:25]
	v_mul_f64 v[24:25], v[2:3], v[24:25]
	ds_read_b128 v[45:48], v9 offset:528
	s_waitcnt lgkmcnt(2)
	v_mul_f64 v[42:43], v[28:29], v[32:33]
	v_mul_f64 v[32:33], v[26:27], v[32:33]
	v_cmp_gt_u32_e64 s[20:21], 32, v44
	v_fma_f64 v[11:12], v[2:3], v[22:23], -v[11:12]
	v_fma_f64 v[49:50], v[4:5], v[22:23], v[24:25]
	ds_read_b128 v[2:5], v8 offset:18224
	ds_read_b128 v[22:25], v9 offset:1056
	v_fma_f64 v[26:27], v[26:27], v[30:31], -v[42:43]
	s_waitcnt lgkmcnt(2)
	v_mul_f64 v[42:43], v[36:37], v[47:48]
	v_fma_f64 v[28:29], v[28:29], v[30:31], v[32:33]
	v_mul_f64 v[30:31], v[34:35], v[47:48]
	s_waitcnt lgkmcnt(0)
	v_mul_f64 v[47:48], v[4:5], v[24:25]
	v_add_f64 v[11:12], v[11:12], 0
	v_add_f64 v[32:33], v[49:50], 0
	v_mul_f64 v[24:25], v[2:3], v[24:25]
	v_mul_u32_u24_e32 v9, 33, v10
	v_fma_f64 v[34:35], v[34:35], v[45:46], -v[42:43]
	s_barrier
	v_add_f64 v[11:12], v[11:12], v[26:27]
	v_fma_f64 v[26:27], v[36:37], v[45:46], v[30:31]
	v_add_f64 v[28:29], v[32:33], v[28:29]
	v_fma_f64 v[30:31], v[2:3], v[22:23], -v[47:48]
	v_fma_f64 v[4:5], v[4:5], v[22:23], v[24:25]
	v_mov_b32_e32 v2, 0
	v_lshlrev_b32_e32 v45, 4, v9
	v_mov_b32_e32 v3, 0
	v_add_f64 v[11:12], v[11:12], v[34:35]
	v_lshl_add_u32 v46, v13, 4, v45
	v_add_f64 v[24:25], v[28:29], v[26:27]
	v_add_f64 v[22:23], v[11:12], v[30:31]
	;; [unrolled: 1-line block ×3, first 2 shown]
	v_mov_b32_e32 v4, 0
	v_mov_b32_e32 v5, 0
	ds_write_b128 v46, v[22:25]
	s_waitcnt lgkmcnt(0)
	s_barrier
	s_and_saveexec_b64 s[16:17], s[20:21]
	s_cbranch_execz .LBB60_63
; %bb.62:
	ds_read_b128 v[2:5], v45
	ds_read_b128 v[22:25], v45 offset:16
	s_waitcnt lgkmcnt(0)
	v_add_f64 v[11:12], v[22:23], v[2:3]
	v_add_f64 v[26:27], v[24:25], v[4:5]
	ds_read_b128 v[2:5], v45 offset:32
	ds_read_b128 v[22:25], v45 offset:48
	s_waitcnt lgkmcnt(1)
	v_add_f64 v[2:3], v[11:12], v[2:3]
	v_add_f64 v[4:5], v[26:27], v[4:5]
	s_waitcnt lgkmcnt(0)
	v_add_f64 v[11:12], v[2:3], v[22:23]
	v_add_f64 v[26:27], v[4:5], v[24:25]
	ds_read_b128 v[2:5], v45 offset:64
	ds_read_b128 v[22:25], v45 offset:80
	s_waitcnt lgkmcnt(1)
	v_add_f64 v[2:3], v[11:12], v[2:3]
	v_add_f64 v[4:5], v[26:27], v[4:5]
	s_waitcnt lgkmcnt(0)
	v_add_f64 v[11:12], v[2:3], v[22:23]
	v_add_f64 v[26:27], v[4:5], v[24:25]
	ds_read_b128 v[2:5], v45 offset:96
	ds_read_b128 v[22:25], v45 offset:112
	s_waitcnt lgkmcnt(1)
	v_add_f64 v[2:3], v[11:12], v[2:3]
	v_add_f64 v[4:5], v[26:27], v[4:5]
	s_waitcnt lgkmcnt(0)
	v_add_f64 v[2:3], v[2:3], v[22:23]
	v_add_f64 v[4:5], v[4:5], v[24:25]
.LBB60_63:
	s_or_b64 exec, exec, s[16:17]
	s_lshl_b64 s[16:17], s[24:25], 9
	v_mov_b32_e32 v9, s17
	v_add_co_u32_e32 v6, vcc, s16, v6
	v_addc_co_u32_e32 v7, vcc, v7, v9, vcc
	v_add_co_u32_e32 v11, vcc, 0x200, v6
	v_addc_co_u32_e32 v12, vcc, 0, v7, vcc
	v_cndmask_b32_e64 v9, 0, 1, s[18:19]
	v_mad_u32_u24 v16, v13, s29, v14
	v_cmp_ne_u32_e64 s[16:17], 1, v9
	s_andn2_b64 vcc, exec, s[18:19]
	s_mov_b64 s[18:19], -1
	s_barrier
	s_cbranch_vccnz .LBB60_65
; %bb.64:
	flat_load_dwordx4 v[22:25], v[11:12]
	s_lshl_b64 s[18:19], s[24:25], 7
	v_mov_b32_e32 v9, s19
	v_add_co_u32_e32 v26, vcc, s18, v6
	v_addc_co_u32_e32 v27, vcc, v7, v9, vcc
	v_add_u32_e32 v18, 0x1080, v16
	s_waitcnt vmcnt(0) lgkmcnt(0)
	ds_write2_b64 v16, v[22:23], v[24:25] offset1:1
	flat_load_dwordx4 v[22:25], v[26:27] offset:512
	v_add_co_u32_e32 v26, vcc, s18, v26
	v_addc_co_u32_e32 v27, vcc, v27, v9, vcc
	s_waitcnt vmcnt(0) lgkmcnt(0)
	ds_write2_b64 v18, v[22:23], v[24:25] offset1:1
	flat_load_dwordx4 v[22:25], v[26:27] offset:512
	v_add_u32_e32 v18, 0x2100, v16
	v_add_co_u32_e32 v26, vcc, s18, v26
	v_addc_co_u32_e32 v27, vcc, v27, v9, vcc
	v_add_u32_e32 v9, 0x3180, v16
	s_mov_b64 s[18:19], 0
	s_waitcnt vmcnt(0) lgkmcnt(0)
	ds_write2_b64 v18, v[22:23], v[24:25] offset1:1
	flat_load_dwordx4 v[22:25], v[26:27] offset:512
	s_waitcnt vmcnt(0) lgkmcnt(0)
	ds_write2_b64 v9, v[22:23], v[24:25] offset1:1
.LBB60_65:
	s_andn2_b64 vcc, exec, s[18:19]
	s_cbranch_vccnz .LBB60_83
; %bb.66:
	v_lshlrev_b32_e32 v9, 4, v10
	v_sub_co_u32_e32 v6, vcc, v6, v9
	s_ashr_i32 s29, s28, 31
	v_subbrev_co_u32_e32 v7, vcc, 0, v7, vcc
	s_lshl_b64 s[38:39], s[28:29], 4
	v_mov_b32_e32 v22, s39
	v_add_co_u32_e32 v6, vcc, s38, v6
	v_addc_co_u32_e32 v7, vcc, v7, v22, vcc
	v_or_b32_e32 v18, 32, v10
	v_add_co_u32_e32 v6, vcc, -16, v6
	v_addc_co_u32_e32 v7, vcc, -1, v7, vcc
	v_cmp_gt_i32_e64 s[18:19], s28, v18
	s_sub_i32 s29, s28, 32
	v_cndmask_b32_e64 v7, v7, v12, s[18:19]
	v_cndmask_b32_e64 v6, v6, v11, s[18:19]
	v_cmp_le_i32_e32 vcc, s29, v13
	s_and_saveexec_b64 s[40:41], vcc
	s_xor_b64 s[40:41], exec, s[40:41]
; %bb.67:
	v_mov_b32_e32 v22, 0
	v_mov_b32_e32 v23, v22
	v_mov_b32_e32 v24, v22
	v_mov_b32_e32 v25, v22
	ds_write_b128 v16, v[22:25]
; %bb.68:
	s_andn2_saveexec_b64 s[40:41], s[40:41]
	s_cbranch_execz .LBB60_70
; %bb.69:
	flat_load_dwordx4 v[22:25], v[6:7]
	s_waitcnt vmcnt(0) lgkmcnt(0)
	ds_write2_b64 v16, v[22:23], v[24:25] offset1:1
.LBB60_70:
	s_or_b64 exec, exec, s[40:41]
	v_add_u32_e32 v22, 8, v13
	v_mul_u32_u24_e32 v18, 0x210, v13
	v_cmp_le_i32_e32 vcc, s29, v22
	s_and_saveexec_b64 s[40:41], vcc
	s_xor_b64 s[40:41], exec, s[40:41]
	s_cbranch_execz .LBB60_72
; %bb.71:
	v_mov_b32_e32 v22, 0
	v_add_u32_e32 v26, v18, v14
	v_mov_b32_e32 v23, v22
	v_mov_b32_e32 v24, v22
	v_mov_b32_e32 v25, v22
	ds_write_b128 v26, v[22:25] offset:4224
.LBB60_72:
	s_andn2_saveexec_b64 s[40:41], s[40:41]
	s_cbranch_execz .LBB60_74
; %bb.73:
	s_lshl_b64 s[42:43], s[24:25], 7
	v_mov_b32_e32 v23, s43
	v_add_co_u32_e32 v22, vcc, s42, v6
	v_addc_co_u32_e32 v23, vcc, v7, v23, vcc
	flat_load_dwordx4 v[22:25], v[22:23]
	s_movk_i32 s42, 0x1080
	v_add3_u32 v26, v18, v14, s42
	s_waitcnt vmcnt(0) lgkmcnt(0)
	ds_write2_b64 v26, v[22:23], v[24:25] offset1:1
.LBB60_74:
	s_or_b64 exec, exec, s[40:41]
	v_add_u32_e32 v22, 16, v13
	v_cmp_le_i32_e32 vcc, s29, v22
	s_and_saveexec_b64 s[40:41], vcc
	s_xor_b64 s[40:41], exec, s[40:41]
	s_cbranch_execz .LBB60_76
; %bb.75:
	v_mov_b32_e32 v22, 0
	v_add_u32_e32 v26, v18, v14
	v_mov_b32_e32 v23, v22
	v_mov_b32_e32 v24, v22
	;; [unrolled: 1-line block ×3, first 2 shown]
	ds_write_b128 v26, v[22:25] offset:8448
.LBB60_76:
	s_andn2_saveexec_b64 s[40:41], s[40:41]
	s_cbranch_execz .LBB60_78
; %bb.77:
	s_lshl_b64 s[42:43], s[24:25], 8
	v_mov_b32_e32 v23, s43
	v_add_co_u32_e32 v22, vcc, s42, v6
	v_addc_co_u32_e32 v23, vcc, v7, v23, vcc
	flat_load_dwordx4 v[22:25], v[22:23]
	s_movk_i32 s42, 0x2100
	v_add3_u32 v26, v18, v14, s42
	s_waitcnt vmcnt(0) lgkmcnt(0)
	ds_write2_b64 v26, v[22:23], v[24:25] offset1:1
.LBB60_78:
	s_or_b64 exec, exec, s[40:41]
	v_add_u32_e32 v22, 24, v13
	v_cmp_le_i32_e32 vcc, s29, v22
	s_and_saveexec_b64 s[40:41], vcc
	s_xor_b64 s[40:41], exec, s[40:41]
	s_cbranch_execz .LBB60_80
; %bb.79:
	v_mov_b32_e32 v22, 0
	v_add_u32_e32 v18, v18, v14
	v_mov_b32_e32 v23, v22
	v_mov_b32_e32 v24, v22
	;; [unrolled: 1-line block ×3, first 2 shown]
	ds_write_b128 v18, v[22:25] offset:12672
                                        ; implicit-def: $vgpr18
.LBB60_80:
	s_andn2_saveexec_b64 s[40:41], s[40:41]
	s_cbranch_execz .LBB60_82
; %bb.81:
	v_mov_b32_e32 v22, 0x180
	v_mad_u64_u32 v[22:23], s[42:43], s24, v22, v[6:7]
	s_mul_i32 s29, s25, 0x180
	v_add_u32_e32 v23, s29, v23
	flat_load_dwordx4 v[22:25], v[22:23]
	s_movk_i32 s29, 0x3180
	v_add3_u32 v18, v18, v14, s29
	s_waitcnt vmcnt(0) lgkmcnt(0)
	ds_write2_b64 v18, v[22:23], v[24:25] offset1:1
.LBB60_82:
	s_or_b64 exec, exec, s[40:41]
	v_add_co_u32_e32 v6, vcc, v6, v9
	v_addc_co_u32_e32 v7, vcc, 0, v7, vcc
	v_mov_b32_e32 v9, s39
	v_subrev_co_u32_e32 v6, vcc, s38, v6
	v_subb_co_u32_e32 v7, vcc, v7, v9, vcc
	v_add_co_u32_e32 v6, vcc, 0x210, v6
	v_addc_co_u32_e32 v7, vcc, 0, v7, vcc
	v_cndmask_b32_e64 v12, v7, v12, s[18:19]
	v_cndmask_b32_e64 v11, v6, v11, s[18:19]
.LBB60_83:
	v_mul_u32_u24_e32 v6, 0x840, v13
	v_add_u32_e32 v18, 0x4700, v8
	v_mul_u32_u24_e32 v23, 0x210, v19
	s_lshl_b64 s[18:19], s[24:25], 5
	s_mov_b64 s[38:39], 0
	s_waitcnt lgkmcnt(0)
	s_barrier
                                        ; implicit-def: $vgpr24
	s_and_saveexec_b64 s[40:41], s[8:9]
	s_xor_b64 s[8:9], exec, s[40:41]
	s_cbranch_execz .LBB60_87
; %bb.84:
	v_cmp_eq_u32_e32 vcc, v15, v10
                                        ; implicit-def: $vgpr24
	s_and_saveexec_b64 s[40:41], vcc
	s_xor_b64 s[40:41], exec, s[40:41]
; %bb.85:
	s_mov_b64 s[38:39], exec
	v_add_u32_e32 v24, v14, v17
; %bb.86:
	s_or_b64 exec, exec, s[40:41]
	s_and_b64 s[38:39], s[38:39], exec
.LBB60_87:
	s_or_saveexec_b64 s[8:9], s[8:9]
	v_mov_b32_e32 v8, 0
	v_mov_b32_e32 v9, 0
	v_add_u32_e32 v22, v14, v6
	s_xor_b64 exec, exec, s[8:9]
	s_cbranch_execz .LBB60_89
; %bb.88:
	ds_read_b128 v[6:9], v22
	v_lshl_add_u32 v24, v15, 4, v45
	s_or_b64 s[38:39], s[38:39], exec
	s_waitcnt lgkmcnt(0)
	v_xor_b32_e32 v9, 0x80000000, v9
	ds_write_b64 v24, v[6:7]
.LBB60_89:
	s_or_b64 exec, exec, s[8:9]
	s_and_saveexec_b64 s[8:9], s[38:39]
; %bb.90:
	ds_write_b64 v24, v[8:9] offset:8
; %bb.91:
	s_or_b64 exec, exec, s[8:9]
	s_mov_b64 s[8:9], 0
                                        ; implicit-def: $vgpr24
	s_and_saveexec_b64 s[38:39], s[10:11]
	s_xor_b64 s[10:11], exec, s[38:39]
	s_cbranch_execz .LBB60_95
; %bb.92:
	v_cmp_eq_u32_e32 vcc, v19, v10
                                        ; implicit-def: $vgpr24
	s_and_saveexec_b64 s[38:39], vcc
; %bb.93:
	s_mov_b64 s[8:9], exec
	v_add_u32_e32 v24, v14, v17
; %bb.94:
	s_or_b64 exec, exec, s[38:39]
	s_and_b64 s[8:9], s[8:9], exec
.LBB60_95:
	s_or_saveexec_b64 s[10:11], s[10:11]
	v_mov_b32_e32 v8, 0
	v_mov_b32_e32 v9, 0
	v_add_u32_e32 v19, v14, v23
	s_xor_b64 exec, exec, s[10:11]
	s_cbranch_execz .LBB60_97
; %bb.96:
	ds_read_b128 v[6:9], v19
	v_lshl_add_u32 v23, v15, 4, v45
	v_add_u32_e32 v24, 16, v23
	s_or_b64 s[8:9], s[8:9], exec
	s_waitcnt lgkmcnt(0)
	v_xor_b32_e32 v9, 0x80000000, v9
	ds_write_b64 v23, v[6:7] offset:16
.LBB60_97:
	s_or_b64 exec, exec, s[10:11]
	s_and_saveexec_b64 s[10:11], s[8:9]
; %bb.98:
	ds_write_b64 v24, v[8:9] offset:8
; %bb.99:
	s_or_b64 exec, exec, s[10:11]
	s_mov_b64 s[8:9], 0
                                        ; implicit-def: $vgpr23
	s_and_saveexec_b64 s[10:11], s[12:13]
	s_xor_b64 s[10:11], exec, s[10:11]
	s_cbranch_execz .LBB60_103
; %bb.100:
	v_cmp_eq_u32_e32 vcc, v20, v10
                                        ; implicit-def: $vgpr23
	s_and_saveexec_b64 s[12:13], vcc
; %bb.101:
	s_mov_b64 s[8:9], exec
	v_add_u32_e32 v23, v14, v17
; %bb.102:
	s_or_b64 exec, exec, s[12:13]
	s_and_b64 s[8:9], s[8:9], exec
.LBB60_103:
	s_or_saveexec_b64 s[10:11], s[10:11]
	v_mov_b32_e32 v8, 0
	v_mov_b32_e32 v9, 0
	s_xor_b64 exec, exec, s[10:11]
	s_cbranch_execz .LBB60_105
; %bb.104:
	ds_read_b128 v[6:9], v19 offset:528
	v_lshl_add_u32 v20, v15, 4, v45
	v_add_u32_e32 v23, 32, v20
	s_or_b64 s[8:9], s[8:9], exec
	s_waitcnt lgkmcnt(0)
	v_xor_b32_e32 v9, 0x80000000, v9
	ds_write_b64 v20, v[6:7] offset:32
.LBB60_105:
	s_or_b64 exec, exec, s[10:11]
	s_and_saveexec_b64 s[10:11], s[8:9]
; %bb.106:
	ds_write_b64 v23, v[8:9] offset:8
; %bb.107:
	s_or_b64 exec, exec, s[10:11]
	s_mov_b64 s[8:9], 0
                                        ; implicit-def: $vgpr20
	s_and_saveexec_b64 s[10:11], s[14:15]
	s_xor_b64 s[10:11], exec, s[10:11]
	s_cbranch_execz .LBB60_111
; %bb.108:
	v_cmp_eq_u32_e32 vcc, v21, v10
                                        ; implicit-def: $vgpr20
	s_and_saveexec_b64 s[12:13], vcc
; %bb.109:
	s_mov_b64 s[8:9], exec
	v_add_u32_e32 v20, v14, v17
; %bb.110:
	s_or_b64 exec, exec, s[12:13]
	s_and_b64 s[8:9], s[8:9], exec
.LBB60_111:
	s_or_saveexec_b64 s[10:11], s[10:11]
	v_mov_b32_e32 v8, 0
	v_mov_b32_e32 v9, 0
	s_xor_b64 exec, exec, s[10:11]
	s_cbranch_execz .LBB60_113
; %bb.112:
	ds_read_b128 v[6:9], v19 offset:1056
	v_lshl_add_u32 v17, v15, 4, v45
	v_add_u32_e32 v20, 48, v17
	s_or_b64 s[8:9], s[8:9], exec
	s_waitcnt lgkmcnt(0)
	v_xor_b32_e32 v9, 0x80000000, v9
	ds_write_b64 v17, v[6:7] offset:48
.LBB60_113:
	s_or_b64 exec, exec, s[10:11]
	s_and_saveexec_b64 s[10:11], s[8:9]
; %bb.114:
	ds_write_b64 v20, v[8:9] offset:8
; %bb.115:
	s_or_b64 exec, exec, s[10:11]
	s_waitcnt lgkmcnt(0)
	s_barrier
	ds_read_b128 v[6:9], v22
	ds_read_b128 v[20:23], v18 offset:512
	ds_read_b128 v[24:27], v18 offset:528
	;; [unrolled: 1-line block ×3, first 2 shown]
	ds_read_b128 v[32:35], v19
	ds_read_b128 v[47:50], v18 offset:544
	ds_read_b128 v[51:54], v19 offset:528
	v_cmp_eq_u32_e64 s[8:9], 1, v13
	s_waitcnt lgkmcnt(5)
	v_mul_f64 v[36:37], v[22:23], v[8:9]
	v_mul_f64 v[8:9], v[20:21], v[8:9]
	s_waitcnt lgkmcnt(2)
	v_mul_f64 v[42:43], v[26:27], v[34:35]
	v_mul_f64 v[34:35], v[24:25], v[34:35]
	v_fma_f64 v[19:20], v[20:21], v[6:7], -v[36:37]
	v_fma_f64 v[21:22], v[22:23], v[6:7], v[8:9]
	s_waitcnt lgkmcnt(0)
	v_mul_f64 v[36:37], v[49:50], v[53:54]
	v_mul_f64 v[53:54], v[47:48], v[53:54]
	v_fma_f64 v[23:24], v[24:25], v[32:33], -v[42:43]
	v_fma_f64 v[25:26], v[26:27], v[32:33], v[34:35]
	ds_read_b128 v[6:9], v18 offset:560
	s_waitcnt lgkmcnt(0)
	v_add_f64 v[19:20], v[19:20], 0
	v_add_f64 v[21:22], v[21:22], 0
	v_fma_f64 v[34:35], v[47:48], v[51:52], -v[36:37]
	v_mul_f64 v[32:33], v[8:9], v[30:31]
	v_mul_f64 v[30:31], v[6:7], v[30:31]
	v_fma_f64 v[36:37], v[49:50], v[51:52], v[53:54]
	s_barrier
	v_add_f64 v[19:20], v[19:20], v[23:24]
	v_add_f64 v[21:22], v[21:22], v[25:26]
	v_fma_f64 v[6:7], v[6:7], v[28:29], -v[32:33]
	v_fma_f64 v[8:9], v[8:9], v[28:29], v[30:31]
	v_add_f64 v[19:20], v[19:20], v[34:35]
	v_add_f64 v[21:22], v[21:22], v[36:37]
	;; [unrolled: 1-line block ×4, first 2 shown]
	ds_write_b128 v46, v[6:9]
	s_waitcnt lgkmcnt(0)
	s_barrier
	s_and_saveexec_b64 s[10:11], s[8:9]
	s_cbranch_execz .LBB60_117
; %bb.116:
	ds_read_b128 v[2:5], v45
	ds_read_b128 v[6:9], v45 offset:16
	s_waitcnt lgkmcnt(0)
	v_add_f64 v[19:20], v[6:7], v[2:3]
	v_add_f64 v[21:22], v[8:9], v[4:5]
	ds_read_b128 v[2:5], v45 offset:32
	ds_read_b128 v[6:9], v45 offset:48
	s_waitcnt lgkmcnt(1)
	v_add_f64 v[2:3], v[19:20], v[2:3]
	v_add_f64 v[4:5], v[21:22], v[4:5]
	s_waitcnt lgkmcnt(0)
	v_add_f64 v[19:20], v[2:3], v[6:7]
	v_add_f64 v[21:22], v[4:5], v[8:9]
	ds_read_b128 v[2:5], v45 offset:64
	ds_read_b128 v[6:9], v45 offset:80
	s_waitcnt lgkmcnt(1)
	v_add_f64 v[2:3], v[19:20], v[2:3]
	v_add_f64 v[4:5], v[21:22], v[4:5]
	;; [unrolled: 8-line block ×3, first 2 shown]
	s_waitcnt lgkmcnt(0)
	v_add_f64 v[2:3], v[2:3], v[6:7]
	v_add_f64 v[4:5], v[4:5], v[8:9]
.LBB60_117:
	s_or_b64 exec, exec, s[10:11]
	s_lshl_b64 s[10:11], s[18:19], 4
	v_mov_b32_e32 v6, s11
	v_subrev_co_u32_e64 v42, s[10:11], s10, v11
	s_and_b64 vcc, exec, s[16:17]
	v_subb_co_u32_e64 v43, s[10:11], v12, v6, s[10:11]
	s_barrier
	s_cbranch_vccnz .LBB60_119
; %bb.118:
	flat_load_dwordx4 v[6:9], v[42:43]
	s_lshl_b64 s[10:11], s[24:25], 7
	v_mov_b32_e32 v17, s11
	v_add_co_u32_e32 v11, vcc, s10, v42
	v_addc_co_u32_e32 v12, vcc, v43, v17, vcc
	s_movk_i32 s11, 0x210
	s_waitcnt vmcnt(0) lgkmcnt(0)
	ds_write2_b64 v16, v[6:7], v[8:9] offset1:1
	flat_load_dwordx4 v[19:22], v[11:12]
	v_add_u32_e32 v8, 8, v13
	v_mad_u32_u24 v6, v8, s11, v14
	v_add_co_u32_e32 v11, vcc, s10, v11
	v_addc_co_u32_e32 v12, vcc, v12, v17, vcc
	v_add_u32_e32 v9, 24, v13
	s_waitcnt vmcnt(0) lgkmcnt(0)
	ds_write2_b64 v6, v[19:20], v[21:22] offset1:1
	flat_load_dwordx4 v[19:22], v[11:12]
	v_mov_b32_e32 v6, 0x1080
	v_mad_u32_u24 v6, v8, s11, v6
	v_add_u32_e32 v7, v14, v6
	v_add_co_u32_e32 v11, vcc, s10, v11
	v_addc_co_u32_e32 v12, vcc, v12, v17, vcc
	s_waitcnt vmcnt(0) lgkmcnt(0)
	ds_write2_b64 v7, v[19:20], v[21:22] offset1:1
	flat_load_dwordx4 v[19:22], v[11:12]
	v_mov_b32_e32 v12, 0x2100
	v_mad_u32_u24 v12, v8, s11, v12
	v_add_u32_e32 v11, 16, v13
	v_mul_u32_u24_e32 v7, 0x210, v8
	v_add_u32_e32 v17, v14, v12
	s_waitcnt vmcnt(0) lgkmcnt(0)
	ds_write2_b64 v17, v[19:20], v[21:22] offset1:1
	s_cbranch_execz .LBB60_120
	s_branch .LBB60_137
.LBB60_119:
                                        ; implicit-def: $vgpr8
                                        ; implicit-def: $vgpr7
                                        ; implicit-def: $vgpr11
                                        ; implicit-def: $vgpr6
                                        ; implicit-def: $vgpr9
                                        ; implicit-def: $vgpr12
.LBB60_120:
	v_or_b32_e32 v6, 32, v10
	v_lshlrev_b32_e32 v7, 4, v6
	v_sub_co_u32_e32 v7, vcc, v42, v7
	s_ashr_i32 s29, s28, 31
	v_subbrev_co_u32_e32 v8, vcc, 0, v43, vcc
	s_lshl_b64 s[12:13], s[28:29], 4
	v_mov_b32_e32 v9, s13
	v_add_co_u32_e32 v7, vcc, s12, v7
	v_addc_co_u32_e32 v8, vcc, v8, v9, vcc
	v_add_co_u32_e32 v9, vcc, -16, v7
	v_addc_co_u32_e32 v7, vcc, -1, v8, vcc
	v_cmp_gt_i32_e64 s[10:11], s28, v6
	v_cndmask_b32_e64 v7, v7, v43, s[10:11]
	v_cndmask_b32_e64 v6, v9, v42, s[10:11]
	v_cmp_le_i32_e32 vcc, s28, v13
	s_and_saveexec_b64 s[14:15], vcc
	s_xor_b64 s[14:15], exec, s[14:15]
; %bb.121:
	v_mov_b32_e32 v19, 0
	v_mov_b32_e32 v20, v19
	;; [unrolled: 1-line block ×4, first 2 shown]
	ds_write_b128 v16, v[19:22]
; %bb.122:
	s_andn2_saveexec_b64 s[14:15], s[14:15]
	s_cbranch_execz .LBB60_124
; %bb.123:
	flat_load_dwordx4 v[19:22], v[6:7]
	s_waitcnt vmcnt(0) lgkmcnt(0)
	ds_write2_b64 v16, v[19:20], v[21:22] offset1:1
.LBB60_124:
	s_or_b64 exec, exec, s[14:15]
	v_add_u32_e32 v8, 8, v13
	v_cmp_le_i32_e32 vcc, s28, v8
	s_and_saveexec_b64 s[14:15], vcc
	s_xor_b64 s[14:15], exec, s[14:15]
	s_cbranch_execz .LBB60_126
; %bb.125:
	s_movk_i32 s16, 0x210
	v_mov_b32_e32 v19, 0
	v_mad_u32_u24 v9, v8, s16, v14
	v_mov_b32_e32 v20, v19
	v_mov_b32_e32 v21, v19
	;; [unrolled: 1-line block ×3, first 2 shown]
	ds_write_b128 v9, v[19:22]
.LBB60_126:
	s_andn2_saveexec_b64 s[14:15], s[14:15]
	s_cbranch_execz .LBB60_128
; %bb.127:
	s_lshl_b64 s[16:17], s[24:25], 7
	v_mov_b32_e32 v9, s17
	v_add_co_u32_e32 v11, vcc, s16, v6
	v_addc_co_u32_e32 v12, vcc, v7, v9, vcc
	flat_load_dwordx4 v[19:22], v[11:12]
	s_movk_i32 s16, 0x210
	v_mad_u32_u24 v9, v8, s16, v14
	s_waitcnt vmcnt(0) lgkmcnt(0)
	ds_write2_b64 v9, v[19:20], v[21:22] offset1:1
.LBB60_128:
	s_or_b64 exec, exec, s[14:15]
	v_add_u32_e32 v11, 16, v13
	v_cmp_le_i32_e32 vcc, s28, v11
	s_and_saveexec_b64 s[14:15], vcc
	s_xor_b64 s[14:15], exec, s[14:15]
	s_cbranch_execz .LBB60_130
; %bb.129:
	s_movk_i32 s16, 0x210
	v_mov_b32_e32 v19, 0
	v_mad_u32_u24 v9, v11, s16, v14
	v_mov_b32_e32 v20, v19
	v_mov_b32_e32 v21, v19
	;; [unrolled: 1-line block ×3, first 2 shown]
	ds_write_b128 v9, v[19:22]
.LBB60_130:
	s_andn2_saveexec_b64 s[14:15], s[14:15]
	s_cbranch_execz .LBB60_132
; %bb.131:
	s_lshl_b64 s[16:17], s[24:25], 8
	v_mov_b32_e32 v9, s17
	v_add_co_u32_e32 v19, vcc, s16, v6
	v_addc_co_u32_e32 v20, vcc, v7, v9, vcc
	flat_load_dwordx4 v[19:22], v[19:20]
	s_movk_i32 s16, 0x210
	v_mad_u32_u24 v9, v11, s16, v14
	s_waitcnt vmcnt(0) lgkmcnt(0)
	ds_write2_b64 v9, v[19:20], v[21:22] offset1:1
.LBB60_132:
	s_or_b64 exec, exec, s[14:15]
	v_add_u32_e32 v9, 24, v13
	v_cmp_le_i32_e32 vcc, s28, v9
                                        ; implicit-def: $vgpr12
	s_and_saveexec_b64 s[14:15], vcc
	s_xor_b64 s[14:15], exec, s[14:15]
	s_cbranch_execz .LBB60_134
; %bb.133:
	s_movk_i32 s16, 0x210
	v_mov_b32_e32 v19, 0
	v_mul_u32_u24_e32 v12, 0x210, v9
	v_mad_u32_u24 v17, v9, s16, v14
	v_mov_b32_e32 v20, v19
	v_mov_b32_e32 v21, v19
	;; [unrolled: 1-line block ×3, first 2 shown]
	ds_write_b128 v17, v[19:22]
.LBB60_134:
	s_andn2_saveexec_b64 s[14:15], s[14:15]
	s_cbranch_execz .LBB60_136
; %bb.135:
	v_mov_b32_e32 v12, 0x180
	v_mad_u64_u32 v[19:20], s[16:17], s24, v12, v[6:7]
	s_mul_i32 s16, s25, 0x180
	v_mul_u32_u24_e32 v12, 0x210, v9
	v_add_u32_e32 v20, s16, v20
	flat_load_dwordx4 v[19:22], v[19:20]
	s_movk_i32 s16, 0x210
	v_mad_u32_u24 v17, v9, s16, v14
	s_waitcnt vmcnt(0) lgkmcnt(0)
	ds_write2_b64 v17, v[19:20], v[21:22] offset1:1
.LBB60_136:
	s_or_b64 exec, exec, s[14:15]
	v_lshlrev_b32_e32 v10, 4, v10
	v_add_co_u32_e32 v6, vcc, v6, v10
	v_addc_co_u32_e32 v7, vcc, 0, v7, vcc
	v_mov_b32_e32 v10, s13
	v_subrev_co_u32_e32 v6, vcc, s12, v6
	v_subb_co_u32_e32 v7, vcc, v7, v10, vcc
	v_add_co_u32_e32 v6, vcc, 0x210, v6
	s_movk_i32 s12, 0x210
	v_addc_co_u32_e32 v7, vcc, 0, v7, vcc
	v_cndmask_b32_e64 v42, v6, v42, s[10:11]
	v_mov_b32_e32 v6, 0x1080
	v_cndmask_b32_e64 v43, v7, v43, s[10:11]
	v_mul_u32_u24_e32 v7, 0x210, v8
	v_mad_u32_u24 v6, v8, s12, v6
.LBB60_137:
	v_lshlrev_b32_e32 v10, 4, v13
	s_waitcnt lgkmcnt(0)
	s_barrier
	ds_read_b128 v[19:22], v10 offset:18176
	ds_read_b128 v[23:26], v16
	v_add_u32_e32 v7, v14, v7
	v_lshlrev_b32_e32 v8, 4, v8
	v_lshlrev_b32_e32 v10, 4, v11
	ds_read_b128 v[27:30], v8 offset:18176
	ds_read_b128 v[31:34], v7
	s_waitcnt lgkmcnt(2)
	v_mul_f64 v[7:8], v[21:22], v[25:26]
	v_add_u32_e32 v6, v14, v6
	ds_read_b128 v[47:50], v10 offset:18176
	ds_read_b128 v[51:54], v6
	v_mul_f64 v[10:11], v[19:20], v[25:26]
	s_waitcnt lgkmcnt(2)
	v_mul_f64 v[16:17], v[29:30], v[33:34]
	v_mul_f64 v[25:26], v[27:28], v[33:34]
	v_fma_f64 v[6:7], v[19:20], v[23:24], -v[7:8]
	s_waitcnt lgkmcnt(0)
	v_mul_f64 v[19:20], v[49:50], v[53:54]
	v_fma_f64 v[21:22], v[21:22], v[23:24], v[10:11]
	v_fma_f64 v[16:17], v[27:28], v[31:32], -v[16:17]
	v_fma_f64 v[25:26], v[29:30], v[31:32], v[25:26]
	v_mul_f64 v[27:28], v[47:48], v[53:54]
	v_add_u32_e32 v10, v14, v12
	v_add_f64 v[23:24], v[6:7], 0
	v_lshlrev_b32_e32 v6, 4, v9
	ds_read_b128 v[6:9], v6 offset:18176
	ds_read2_b64 v[10:13], v10 offset1:1
	v_add_f64 v[21:22], v[21:22], 0
	v_fma_f64 v[19:20], v[47:48], v[51:52], -v[19:20]
	v_lshl_add_u32 v14, v15, 4, v45
	v_fma_f64 v[27:28], v[49:50], v[51:52], v[27:28]
	v_add_f64 v[16:17], v[23:24], v[16:17]
	s_waitcnt lgkmcnt(0)
	v_mul_f64 v[23:24], v[8:9], v[12:13]
	v_mul_f64 v[12:13], v[6:7], v[12:13]
	v_add_f64 v[21:22], v[21:22], v[25:26]
	v_add_f64 v[16:17], v[16:17], v[19:20]
	v_fma_f64 v[34:35], v[6:7], v[10:11], -v[23:24]
	v_fma_f64 v[36:37], v[8:9], v[10:11], v[12:13]
	v_add_f64 v[19:20], v[21:22], v[27:28]
	ds_read_b128 v[30:33], v18 offset:512
	ds_read_b128 v[22:25], v18 offset:528
	;; [unrolled: 1-line block ×4, first 2 shown]
	v_add_f64 v[47:48], v[16:17], v[34:35]
	v_add_f64 v[49:50], v[19:20], v[36:37]
	ds_read_b128 v[34:37], v14
	ds_read_b128 v[26:29], v14 offset:16
	ds_read_b128 v[18:21], v14 offset:32
	;; [unrolled: 1-line block ×3, first 2 shown]
	s_waitcnt lgkmcnt(0)
	s_barrier
	ds_write_b128 v46, v[47:50]
	s_waitcnt lgkmcnt(0)
	s_barrier
	s_and_saveexec_b64 s[10:11], s[8:9]
	s_cbranch_execz .LBB60_139
; %bb.138:
	ds_read_b128 v[47:50], v45
	ds_read_b128 v[51:54], v45 offset:16
	s_waitcnt lgkmcnt(1)
	v_add_f64 v[2:3], v[2:3], v[47:48]
	v_add_f64 v[4:5], v[4:5], v[49:50]
	s_waitcnt lgkmcnt(0)
	v_add_f64 v[51:52], v[2:3], v[51:52]
	v_add_f64 v[53:54], v[4:5], v[53:54]
	ds_read_b128 v[2:5], v45 offset:32
	ds_read_b128 v[47:50], v45 offset:48
	s_waitcnt lgkmcnt(1)
	v_add_f64 v[2:3], v[51:52], v[2:3]
	v_add_f64 v[4:5], v[53:54], v[4:5]
	s_waitcnt lgkmcnt(0)
	v_add_f64 v[51:52], v[2:3], v[47:48]
	v_add_f64 v[53:54], v[4:5], v[49:50]
	ds_read_b128 v[2:5], v45 offset:64
	;; [unrolled: 8-line block ×3, first 2 shown]
	ds_read_b128 v[47:50], v45 offset:112
	s_waitcnt lgkmcnt(1)
	v_add_f64 v[2:3], v[51:52], v[2:3]
	v_add_f64 v[4:5], v[53:54], v[4:5]
	s_waitcnt lgkmcnt(0)
	v_add_f64 v[2:3], v[2:3], v[47:48]
	v_add_f64 v[4:5], v[4:5], v[49:50]
.LBB60_139:
	s_or_b64 exec, exec, s[10:11]
	v_mul_f64 v[47:48], v[36:37], v[32:33]
	v_mul_f64 v[36:37], v[36:37], v[30:31]
	;; [unrolled: 1-line block ×4, first 2 shown]
	s_barrier
	v_fma_f64 v[30:31], v[34:35], v[30:31], v[47:48]
	v_fma_f64 v[32:33], v[34:35], v[32:33], -v[36:37]
	v_mul_f64 v[34:35], v[20:21], v[12:13]
	v_mul_f64 v[20:21], v[20:21], v[10:11]
	v_fma_f64 v[22:23], v[26:27], v[22:23], v[49:50]
	v_fma_f64 v[24:25], v[26:27], v[24:25], -v[28:29]
	v_add_f64 v[26:27], v[30:31], 0
	v_add_f64 v[28:29], v[32:33], 0
	v_mul_f64 v[30:31], v[16:17], v[8:9]
	v_mul_f64 v[16:17], v[16:17], v[6:7]
	v_fma_f64 v[10:11], v[18:19], v[10:11], v[34:35]
	v_fma_f64 v[12:13], v[18:19], v[12:13], -v[20:21]
	v_add_f64 v[18:19], v[26:27], v[22:23]
	v_add_f64 v[20:21], v[28:29], v[24:25]
	v_fma_f64 v[6:7], v[14:15], v[6:7], v[30:31]
	v_fma_f64 v[8:9], v[14:15], v[8:9], -v[16:17]
	v_add_f64 v[10:11], v[18:19], v[10:11]
	v_add_f64 v[12:13], v[20:21], v[12:13]
	;; [unrolled: 1-line block ×4, first 2 shown]
	ds_write_b128 v46, v[6:9]
	s_waitcnt lgkmcnt(0)
	s_barrier
	s_and_saveexec_b64 s[8:9], s[20:21]
	s_cbranch_execz .LBB60_141
; %bb.140:
	ds_read_b128 v[6:9], v45
	ds_read_b128 v[10:13], v45 offset:16
	s_waitcnt lgkmcnt(1)
	v_add_f64 v[2:3], v[2:3], v[6:7]
	v_add_f64 v[4:5], v[4:5], v[8:9]
	s_waitcnt lgkmcnt(0)
	v_add_f64 v[10:11], v[2:3], v[10:11]
	v_add_f64 v[12:13], v[4:5], v[12:13]
	ds_read_b128 v[2:5], v45 offset:32
	ds_read_b128 v[6:9], v45 offset:48
	s_waitcnt lgkmcnt(1)
	v_add_f64 v[2:3], v[10:11], v[2:3]
	v_add_f64 v[4:5], v[12:13], v[4:5]
	s_waitcnt lgkmcnt(0)
	v_add_f64 v[10:11], v[2:3], v[6:7]
	v_add_f64 v[12:13], v[4:5], v[8:9]
	ds_read_b128 v[2:5], v45 offset:64
	;; [unrolled: 8-line block ×3, first 2 shown]
	ds_read_b128 v[6:9], v45 offset:112
	s_waitcnt lgkmcnt(1)
	v_add_f64 v[2:3], v[10:11], v[2:3]
	v_add_f64 v[4:5], v[12:13], v[4:5]
	s_waitcnt lgkmcnt(0)
	v_add_f64 v[2:3], v[2:3], v[6:7]
	v_add_f64 v[4:5], v[4:5], v[8:9]
.LBB60_141:
	s_or_b64 exec, exec, s[8:9]
	s_load_dwordx2 s[4:5], s[4:5], 0x78
	s_mul_hi_u32 s8, s7, s26
	s_mul_i32 s33, s33, s26
	s_add_i32 s8, s8, s33
	s_mul_i32 s10, s7, s26
	s_mul_i32 s8, s8, s27
	s_mul_hi_u32 s9, s10, s27
	s_add_i32 s9, s9, s8
	s_mul_i32 s8, s10, s27
	s_lshl_b64 s[8:9], s[8:9], 4
	s_waitcnt lgkmcnt(0)
	s_add_u32 s8, s4, s8
	s_mul_i32 s4, s7, s6
	s_addc_u32 s9, s5, s9
	s_ashr_i32 s5, s4, 31
	s_lshl_b64 s[4:5], s[4:5], 4
	s_add_u32 s7, s8, s4
	v_cmp_le_i32_e32 vcc, s28, v0
	s_addc_u32 s14, s9, s5
	s_and_b64 vcc, s[36:37], vcc
	s_cmp_lt_i32 s6, 1
	v_lshlrev_b32_e32 v148, 4, v0
	s_barrier
	s_cbranch_scc1 .LBB60_148
; %bb.142:
	s_mul_i32 s4, s22, s31
	s_mul_hi_u32 s5, s22, s30
	s_add_i32 s4, s5, s4
	s_mul_i32 s5, s23, s30
	s_add_i32 s5, s4, s5
	s_mul_i32 s4, s22, s30
	s_lshl_b64 s[4:5], s[4:5], 4
	v_mov_b32_e32 v6, s5
	v_subrev_co_u32_e64 v149, s[4:5], s4, v38
	v_subb_co_u32_e64 v150, s[4:5], v39, v6, s[4:5]
	v_mov_b32_e32 v6, s35
	v_subrev_co_u32_e64 v8, s[4:5], s34, v42
	v_lshlrev_b32_e32 v11, 2, v1
	v_subb_co_u32_e64 v10, s[4:5], v43, v6, s[4:5]
	v_mad_u64_u32 v[6:7], s[4:5], s24, v11, 0
	s_movk_i32 s8, 0xfe00
	v_add_co_u32_e64 v13, s[4:5], s8, v8
	v_addc_co_u32_e64 v10, s[4:5], -1, v10, s[4:5]
	v_mad_u64_u32 v[7:8], s[4:5], s25, v11, v[7:8]
	v_sub_co_u32_e64 v8, s[4:5], v13, v40
	v_lshlrev_b64 v[6:7], 4, v[6:7]
	v_subb_co_u32_e64 v10, s[4:5], v10, v41, s[4:5]
	v_add_co_u32_e64 v6, s[4:5], v8, v6
	v_addc_co_u32_e64 v7, s[4:5], v10, v7, s[4:5]
	s_ashr_i32 s29, s28, 31
	s_lshl_b64 s[4:5], s[28:29], 4
	v_mov_b32_e32 v8, s5
	v_add_co_u32_e64 v10, s[4:5], s4, v6
	v_addc_co_u32_e64 v8, s[4:5], v7, v8, s[4:5]
	v_add_co_u32_e64 v10, s[4:5], -16, v10
	v_addc_co_u32_e64 v8, s[4:5], -1, v8, s[4:5]
	v_add_co_u32_e64 v6, s[4:5], v6, v148
	v_addc_co_u32_e64 v7, s[4:5], 0, v7, s[4:5]
	v_cndmask_b32_e32 v11, v7, v8, vcc
	v_and_b32_e32 v7, 48, v0
	v_lshrrev_b32_e32 v9, 4, v44
	v_and_b32_e32 v12, 15, v0
	v_cndmask_b32_e32 v10, v6, v10, vcc
	v_mov_b32_e32 v6, 0x4300
	s_movk_i32 s8, 0x430
	v_lshlrev_b32_e32 v7, 4, v7
	v_lshl_add_u32 v152, v1, 6, v6
	v_lshlrev_b32_e32 v6, 6, v9
	v_mad_u32_u24 v156, v12, s8, v7
	v_or_b32_e32 v7, 0xf0, v148
	v_mad_u32_u24 v155, v12, s8, v6
	v_mad_u32_u24 v157, v12, s8, v7
	s_mul_i32 s8, s25, 0xd0
	s_mul_hi_u32 s9, s24, 0xd0
	s_movk_i32 s4, 0x10c0
	v_mul_i32_i24_e32 v6, 0xffffffd0, v9
	s_lshl_b64 s[10:11], s[24:25], 4
	s_add_i32 s15, s9, s8
	v_mov_b32_e32 v145, 0
	v_add_u32_e32 v151, 0x4300, v148
	v_add_u32_e32 v153, 0x4700, v148
	v_mad_u32_u24 v154, v1, s4, v148
	v_cmp_gt_u32_e64 s[4:5], 64, v44
	s_mul_i32 s16, s24, 0xd0
	s_mov_b32 s17, 0
	v_mov_b32_e32 v158, s11
	v_mov_b32_e32 v159, s15
	v_add_u32_e32 v160, v155, v6
	s_branch .LBB60_144
.LBB60_143:                             ;   in Loop: Header=BB60_144 Depth=1
	s_or_b64 exec, exec, s[12:13]
	v_mul_f64 v[86:87], v[8:9], v[36:37]
	v_mul_f64 v[36:37], v[6:7], v[36:37]
	;; [unrolled: 1-line block ×4, first 2 shown]
	s_add_i32 s17, s17, 64
	s_add_i32 s6, s6, -1
	s_cmp_eq_u32 s6, 0
	v_fma_f64 v[6:7], v[6:7], v[34:35], -v[86:87]
	v_fma_f64 v[8:9], v[8:9], v[34:35], v[36:37]
	v_mul_f64 v[34:35], v[16:17], v[28:29]
	v_mul_f64 v[28:29], v[14:15], v[28:29]
	v_fma_f64 v[18:19], v[18:19], v[30:31], -v[88:89]
	v_fma_f64 v[20:21], v[20:21], v[30:31], v[32:33]
	s_waitcnt vmcnt(0)
	s_barrier
	v_add_f64 v[2:3], v[2:3], v[6:7]
	v_add_f64 v[4:5], v[4:5], v[8:9]
	v_mul_f64 v[6:7], v[12:13], v[24:25]
	v_mul_f64 v[8:9], v[10:11], v[24:25]
	v_fma_f64 v[14:15], v[14:15], v[26:27], -v[34:35]
	v_fma_f64 v[16:17], v[16:17], v[26:27], v[28:29]
	v_add_f64 v[2:3], v[2:3], v[18:19]
	v_add_f64 v[4:5], v[4:5], v[20:21]
	v_mul_f64 v[18:19], v[48:49], v[84:85]
	v_mul_f64 v[20:21], v[46:47], v[84:85]
	v_fma_f64 v[6:7], v[10:11], v[22:23], -v[6:7]
	v_fma_f64 v[8:9], v[12:13], v[22:23], v[8:9]
	v_mul_f64 v[10:11], v[52:53], v[80:81]
	v_mul_f64 v[12:13], v[50:51], v[80:81]
	v_add_f64 v[2:3], v[2:3], v[14:15]
	v_add_f64 v[4:5], v[4:5], v[16:17]
	v_fma_f64 v[14:15], v[46:47], v[82:83], -v[18:19]
	v_fma_f64 v[16:17], v[48:49], v[82:83], v[20:21]
	v_fma_f64 v[10:11], v[50:51], v[78:79], -v[10:11]
	v_fma_f64 v[12:13], v[52:53], v[78:79], v[12:13]
	v_add_f64 v[2:3], v[2:3], v[6:7]
	v_add_f64 v[4:5], v[4:5], v[8:9]
	v_mul_f64 v[6:7], v[44:45], v[76:77]
	v_mul_f64 v[8:9], v[42:43], v[76:77]
	v_add_f64 v[2:3], v[2:3], v[14:15]
	v_add_f64 v[4:5], v[4:5], v[16:17]
	v_mul_f64 v[14:15], v[40:41], v[72:73]
	v_mul_f64 v[16:17], v[38:39], v[72:73]
	v_fma_f64 v[6:7], v[42:43], v[74:75], -v[6:7]
	v_fma_f64 v[8:9], v[44:45], v[74:75], v[8:9]
	v_add_f64 v[2:3], v[2:3], v[10:11]
	v_add_f64 v[4:5], v[4:5], v[12:13]
	v_mul_f64 v[10:11], v[64:65], v[124:125]
	v_mul_f64 v[12:13], v[62:63], v[124:125]
	v_fma_f64 v[14:15], v[38:39], v[70:71], -v[14:15]
	v_fma_f64 v[16:17], v[40:41], v[70:71], v[16:17]
	;; [unrolled: 6-line block ×9, first 2 shown]
	v_add_f64 v[2:3], v[2:3], v[14:15]
	v_add_f64 v[4:5], v[4:5], v[16:17]
	v_fma_f64 v[6:7], v[106:107], v[126:127], -v[6:7]
	v_fma_f64 v[8:9], v[108:109], v[126:127], v[8:9]
	v_add_f64 v[2:3], v[2:3], v[10:11]
	v_add_f64 v[4:5], v[4:5], v[12:13]
	v_add_co_u32_e64 v10, s[8:9], s16, v146
	v_add_f64 v[2:3], v[2:3], v[6:7]
	v_add_f64 v[4:5], v[4:5], v[8:9]
	v_mov_b32_e32 v6, s15
	v_addc_co_u32_e64 v11, s[8:9], v147, v6, s[8:9]
	s_cbranch_scc1 .LBB60_148
.LBB60_144:                             ; =>This Inner Loop Header: Depth=1
	s_and_saveexec_b64 s[12:13], s[2:3]
	s_cbranch_execz .LBB60_146
; %bb.145:                              ;   in Loop: Header=BB60_144 Depth=1
	s_mul_i32 s8, s23, s17
	s_mul_hi_u32 s9, s22, s17
	s_add_i32 s9, s9, s8
	s_mul_i32 s8, s22, s17
	s_lshl_b64 s[8:9], s[8:9], 4
	v_mov_b32_e32 v7, s9
	v_add_co_u32_e64 v6, s[8:9], s8, v149
	v_addc_co_u32_e64 v7, s[8:9], v150, v7, s[8:9]
	flat_load_dwordx4 v[6:9], v[6:7]
	s_waitcnt vmcnt(0) lgkmcnt(0)
	ds_write2_b64 v151, v[6:7], v[8:9] offset1:1
.LBB60_146:                             ;   in Loop: Header=BB60_144 Depth=1
	s_or_b64 exec, exec, s[12:13]
	s_waitcnt lgkmcnt(0)
	s_barrier
	flat_load_dwordx4 v[6:9], v[10:11]
	v_add_co_u32_e64 v10, s[8:9], s10, v10
	v_addc_co_u32_e64 v11, s[8:9], v11, v158, s[8:9]
	v_add_co_u32_e64 v12, s[8:9], s10, v10
	v_addc_co_u32_e64 v13, s[8:9], v11, v158, s[8:9]
	v_add_co_u32_e64 v42, s[8:9], s10, v12
	flat_load_dwordx4 v[18:21], v[10:11]
	flat_load_dwordx4 v[14:17], v[12:13]
	v_addc_co_u32_e64 v43, s[8:9], v13, v158, s[8:9]
	flat_load_dwordx4 v[10:13], v[42:43]
	ds_read_b128 v[38:41], v153
	ds_read_b128 v[34:37], v152
	ds_read_b128 v[30:33], v152 offset:16
	ds_read_b128 v[26:29], v152 offset:32
	;; [unrolled: 1-line block ×3, first 2 shown]
	v_add_co_u32_e64 v54, s[8:9], s16, v42
	v_addc_co_u32_e64 v55, s[8:9], v43, v159, s[8:9]
	v_add_co_u32_e64 v56, s[8:9], s10, v54
	v_addc_co_u32_e64 v57, s[8:9], v55, v158, s[8:9]
	s_waitcnt vmcnt(0) lgkmcnt(0)
	v_mul_f64 v[42:43], v[8:9], v[40:41]
	v_mul_f64 v[44:45], v[8:9], v[38:39]
	v_fma_f64 v[42:43], v[6:7], v[38:39], v[42:43]
	v_fma_f64 v[44:45], v[6:7], v[40:41], -v[44:45]
	v_mul_f64 v[46:47], v[20:21], v[40:41]
	v_mul_f64 v[48:49], v[20:21], v[38:39]
	;; [unrolled: 1-line block ×6, first 2 shown]
	v_fma_f64 v[46:47], v[18:19], v[38:39], v[46:47]
	v_fma_f64 v[48:49], v[18:19], v[40:41], -v[48:49]
	v_fma_f64 v[50:51], v[14:15], v[38:39], v[50:51]
	v_fma_f64 v[52:53], v[14:15], v[40:41], -v[52:53]
	v_fma_f64 v[38:39], v[10:11], v[38:39], v[58:59]
	v_fma_f64 v[40:41], v[10:11], v[40:41], -v[60:61]
	v_add_co_u32_e64 v58, s[8:9], s10, v56
	v_addc_co_u32_e64 v59, s[8:9], v57, v158, s[8:9]
	ds_write_b128 v154, v[42:45]
	ds_write_b128 v154, v[46:49] offset:1072
	ds_write_b128 v154, v[50:53] offset:2144
	ds_write_b128 v154, v[38:41] offset:3216
	s_waitcnt lgkmcnt(0)
	s_barrier
	ds_read_b128 v[126:129], v155
	ds_read_b128 v[130:133], v155 offset:16
	ds_read_b128 v[90:93], v155 offset:32
	;; [unrolled: 1-line block ×3, first 2 shown]
	s_waitcnt lgkmcnt(0)
	s_barrier
	flat_load_dwordx4 v[46:49], v[54:55]
	flat_load_dwordx4 v[50:53], v[56:57]
	flat_load_dwordx4 v[42:45], v[58:59]
	v_add_co_u32_e64 v54, s[8:9], s10, v58
	v_addc_co_u32_e64 v55, s[8:9], v59, v158, s[8:9]
	flat_load_dwordx4 v[38:41], v[54:55]
	v_add_co_u32_e64 v94, s[8:9], s16, v54
	v_addc_co_u32_e64 v95, s[8:9], v55, v159, s[8:9]
	ds_read_b128 v[54:57], v153
	v_add_co_u32_e64 v96, s[8:9], s10, v94
	v_addc_co_u32_e64 v97, s[8:9], v95, v158, s[8:9]
	v_add_co_u32_e64 v98, s[8:9], s10, v96
	v_addc_co_u32_e64 v99, s[8:9], v97, v158, s[8:9]
	s_waitcnt vmcnt(0) lgkmcnt(0)
	v_mul_f64 v[58:59], v[48:49], v[56:57]
	v_mul_f64 v[60:61], v[48:49], v[54:55]
	;; [unrolled: 1-line block ×8, first 2 shown]
	v_fma_f64 v[58:59], v[46:47], v[54:55], v[58:59]
	v_fma_f64 v[60:61], v[46:47], v[56:57], -v[60:61]
	v_fma_f64 v[62:63], v[50:51], v[54:55], v[62:63]
	v_fma_f64 v[64:65], v[50:51], v[56:57], -v[64:65]
	v_fma_f64 v[66:67], v[42:43], v[54:55], v[66:67]
	v_fma_f64 v[68:69], v[42:43], v[56:57], -v[68:69]
	v_fma_f64 v[54:55], v[38:39], v[54:55], v[70:71]
	v_fma_f64 v[56:57], v[38:39], v[56:57], -v[72:73]
	ds_read_b128 v[82:85], v152 offset:256
	ds_read_b128 v[78:81], v152 offset:272
	;; [unrolled: 1-line block ×4, first 2 shown]
	ds_write_b128 v154, v[58:61]
	ds_write_b128 v154, v[62:65] offset:1072
	ds_write_b128 v154, v[66:69] offset:2144
	ds_write_b128 v154, v[54:57] offset:3216
	s_waitcnt lgkmcnt(0)
	s_barrier
	ds_read_b128 v[161:164], v155
	ds_read_b128 v[165:168], v155 offset:16
	ds_read_b128 v[169:172], v155 offset:32
	;; [unrolled: 1-line block ×3, first 2 shown]
	s_waitcnt lgkmcnt(0)
	s_barrier
	flat_load_dwordx4 v[62:65], v[94:95]
	flat_load_dwordx4 v[58:61], v[96:97]
	;; [unrolled: 1-line block ×3, first 2 shown]
	v_add_co_u32_e64 v94, s[8:9], s10, v98
	v_addc_co_u32_e64 v95, s[8:9], v99, v158, s[8:9]
	flat_load_dwordx4 v[66:69], v[94:95]
	v_add_co_u32_e64 v134, s[8:9], s16, v94
	v_addc_co_u32_e64 v135, s[8:9], v95, v159, s[8:9]
	ds_read_b128 v[94:97], v153
	v_add_co_u32_e64 v136, s[8:9], s10, v134
	v_addc_co_u32_e64 v137, s[8:9], v135, v158, s[8:9]
	v_add_co_u32_e64 v138, s[8:9], s10, v136
	v_addc_co_u32_e64 v139, s[8:9], v137, v158, s[8:9]
	;; [unrolled: 2-line block ×3, first 2 shown]
	v_add_f64 v[213:214], v[161:162], 0
	v_add_f64 v[165:166], v[213:214], v[165:166]
	;; [unrolled: 1-line block ×3, first 2 shown]
	s_waitcnt vmcnt(0) lgkmcnt(0)
	v_mul_f64 v[98:99], v[64:65], v[96:97]
	v_mul_f64 v[100:101], v[64:65], v[94:95]
	;; [unrolled: 1-line block ×8, first 2 shown]
	v_fma_f64 v[98:99], v[62:63], v[94:95], v[98:99]
	v_fma_f64 v[100:101], v[62:63], v[96:97], -v[100:101]
	v_fma_f64 v[102:103], v[58:59], v[94:95], v[102:103]
	v_fma_f64 v[104:105], v[58:59], v[96:97], -v[104:105]
	;; [unrolled: 2-line block ×4, first 2 shown]
	ds_read_b128 v[122:125], v152 offset:512
	ds_read_b128 v[118:121], v152 offset:528
	;; [unrolled: 1-line block ×4, first 2 shown]
	ds_write_b128 v154, v[98:101]
	ds_write_b128 v154, v[102:105] offset:1072
	ds_write_b128 v154, v[106:109] offset:2144
	;; [unrolled: 1-line block ×3, first 2 shown]
	s_waitcnt lgkmcnt(0)
	s_barrier
	ds_read_b128 v[177:180], v155
	ds_read_b128 v[181:184], v155 offset:16
	ds_read_b128 v[185:188], v155 offset:32
	;; [unrolled: 1-line block ×3, first 2 shown]
	s_waitcnt lgkmcnt(0)
	s_barrier
	flat_load_dwordx4 v[98:101], v[134:135]
	flat_load_dwordx4 v[94:97], v[136:137]
	;; [unrolled: 1-line block ×4, first 2 shown]
	v_add_f64 v[134:135], v[126:127], 0
	v_add_f64 v[136:137], v[128:129], 0
	ds_read_b128 v[126:129], v153
	v_add_f64 v[177:178], v[177:178], 0
	v_add_f64 v[179:180], v[179:180], 0
	;; [unrolled: 1-line block ×9, first 2 shown]
	s_waitcnt vmcnt(0) lgkmcnt(0)
	v_mul_f64 v[130:131], v[100:101], v[128:129]
	v_mul_f64 v[132:133], v[100:101], v[126:127]
	;; [unrolled: 1-line block ×8, first 2 shown]
	v_fma_f64 v[193:194], v[98:99], v[126:127], v[130:131]
	v_fma_f64 v[195:196], v[98:99], v[128:129], -v[132:133]
	v_fma_f64 v[197:198], v[94:95], v[126:127], v[134:135]
	v_fma_f64 v[199:200], v[94:95], v[128:129], -v[136:137]
	v_fma_f64 v[201:202], v[102:103], v[126:127], v[138:139]
	v_fma_f64 v[203:204], v[102:103], v[128:129], -v[140:141]
	v_fma_f64 v[205:206], v[106:107], v[126:127], v[161:162]
	v_fma_f64 v[207:208], v[106:107], v[128:129], -v[207:208]
	ds_read_b128 v[138:141], v152 offset:768
	ds_read_b128 v[134:137], v152 offset:784
	;; [unrolled: 1-line block ×4, first 2 shown]
	ds_write_b128 v154, v[193:196]
	ds_write_b128 v154, v[197:200] offset:1072
	ds_write_b128 v154, v[201:204] offset:2144
	;; [unrolled: 1-line block ×3, first 2 shown]
	s_waitcnt lgkmcnt(0)
	s_barrier
	ds_read_b128 v[193:196], v155
	v_add_f64 v[197:198], v[163:164], 0
	ds_read_b128 v[161:164], v155 offset:16
	v_add_f64 v[199:200], v[209:210], v[90:91]
	ds_read_b128 v[90:93], v155 offset:32
	s_waitcnt lgkmcnt(2)
	v_add_f64 v[193:194], v[193:194], 0
	v_add_f64 v[195:196], v[195:196], 0
	;; [unrolled: 1-line block ×4, first 2 shown]
	s_waitcnt lgkmcnt(1)
	v_add_f64 v[183:184], v[193:194], v[161:162]
	v_add_f64 v[193:194], v[195:196], v[163:164]
	ds_read_b128 v[161:164], v155 offset:48
	s_waitcnt lgkmcnt(0)
	v_add_f64 v[167:168], v[167:168], v[171:172]
	v_add_f64 v[171:172], v[179:180], v[187:188]
	s_barrier
	v_add_f64 v[177:178], v[183:184], v[90:91]
	v_add_f64 v[179:180], v[193:194], v[92:93]
	;; [unrolled: 1-line block ×8, first 2 shown]
	ds_write_b128 v160, v[86:89]
	ds_write_b128 v160, v[90:93] offset:256
	ds_write_b128 v160, v[165:168] offset:512
	;; [unrolled: 1-line block ×3, first 2 shown]
	s_waitcnt lgkmcnt(0)
	s_barrier
	s_and_saveexec_b64 s[12:13], s[4:5]
	s_cbranch_execz .LBB60_143
; %bb.147:                              ;   in Loop: Header=BB60_144 Depth=1
	ds_read_b128 v[86:89], v156
	ds_read_b128 v[90:93], v156 offset:16
	v_add_u32_e32 v144, s17, v0
	s_waitcnt lgkmcnt(0)
	v_add_f64 v[161:162], v[90:91], v[86:87]
	v_add_f64 v[163:164], v[92:93], v[88:89]
	ds_read_b128 v[86:89], v156 offset:32
	ds_read_b128 v[90:93], v156 offset:48
	s_waitcnt lgkmcnt(1)
	v_add_f64 v[86:87], v[161:162], v[86:87]
	v_add_f64 v[88:89], v[163:164], v[88:89]
	s_waitcnt lgkmcnt(0)
	v_add_f64 v[161:162], v[86:87], v[90:91]
	v_add_f64 v[163:164], v[88:89], v[92:93]
	ds_read_b128 v[86:89], v156 offset:64
	ds_read_b128 v[90:93], v156 offset:80
	s_waitcnt lgkmcnt(1)
	v_add_f64 v[86:87], v[161:162], v[86:87]
	v_add_f64 v[88:89], v[163:164], v[88:89]
	;; [unrolled: 8-line block ×6, first 2 shown]
	s_waitcnt lgkmcnt(0)
	v_add_f64 v[161:162], v[86:87], v[90:91]
	v_add_f64 v[163:164], v[88:89], v[92:93]
	ds_read_b128 v[86:89], v156 offset:224
	ds_read_b128 v[90:93], v157
	s_waitcnt lgkmcnt(1)
	v_add_f64 v[86:87], v[161:162], v[86:87]
	v_add_f64 v[88:89], v[163:164], v[88:89]
	s_waitcnt lgkmcnt(0)
	v_add_f64 v[86:87], v[86:87], v[90:91]
	v_add_f64 v[88:89], v[88:89], v[92:93]
	v_lshlrev_b64 v[90:91], 4, v[144:145]
	v_mov_b32_e32 v92, s14
	v_add_co_u32_e64 v90, s[8:9], s7, v90
	v_addc_co_u32_e64 v91, s[8:9], v92, v91, s[8:9]
	global_store_dwordx4 v[90:91], v[86:89], off
	s_branch .LBB60_143
.LBB60_148:
	s_movk_i32 s2, 0x430
	v_mad_u32_u24 v0, v1, s2, v148
	s_nor_b64 s[0:1], s[0:1], vcc
	ds_write_b128 v0, v[2:5]
	s_waitcnt lgkmcnt(0)
	s_barrier
	s_and_saveexec_b64 s[2:3], s[0:1]
	s_cbranch_execz .LBB60_150
; %bb.149:
	ds_read_b128 v[0:3], v148 offset:1072
	ds_read_b128 v[4:7], v148
	s_waitcnt lgkmcnt(0)
	v_add_f64 v[8:9], v[0:1], v[4:5]
	v_add_f64 v[10:11], v[2:3], v[6:7]
	ds_read_b128 v[0:3], v148 offset:2144
	ds_read_b128 v[4:7], v148 offset:3216
	s_waitcnt lgkmcnt(1)
	v_add_f64 v[0:1], v[8:9], v[0:1]
	v_add_f64 v[2:3], v[10:11], v[2:3]
	s_waitcnt lgkmcnt(0)
	v_add_f64 v[0:1], v[0:1], v[4:5]
	v_add_f64 v[2:3], v[2:3], v[6:7]
	v_lshlrev_b64 v[4:5], 4, v[142:143]
	v_mov_b32_e32 v6, s14
	v_add_co_u32_e32 v4, vcc, s7, v4
	v_addc_co_u32_e32 v5, vcc, v6, v5, vcc
	global_store_dwordx4 v[4:5], v[0:3], off
.LBB60_150:
	s_endpgm
	.section	.rodata,"a",@progbits
	.p2align	6, 0x0
	.amdhsa_kernel _ZL26rocblas_hemvn_kernel_lowerILb1ELi64ELi4ELi33ELi32ELi16El19rocblas_complex_numIdEPKPKS1_PS1_EviT6_lT7_lT5_lS8_lS9_lS7_lT8_i
		.amdhsa_group_segment_fixed_size 19200
		.amdhsa_private_segment_fixed_size 0
		.amdhsa_kernarg_size 392
		.amdhsa_user_sgpr_count 6
		.amdhsa_user_sgpr_private_segment_buffer 1
		.amdhsa_user_sgpr_dispatch_ptr 0
		.amdhsa_user_sgpr_queue_ptr 0
		.amdhsa_user_sgpr_kernarg_segment_ptr 1
		.amdhsa_user_sgpr_dispatch_id 0
		.amdhsa_user_sgpr_flat_scratch_init 0
		.amdhsa_user_sgpr_private_segment_size 0
		.amdhsa_uses_dynamic_stack 0
		.amdhsa_system_sgpr_private_segment_wavefront_offset 0
		.amdhsa_system_sgpr_workgroup_id_x 1
		.amdhsa_system_sgpr_workgroup_id_y 0
		.amdhsa_system_sgpr_workgroup_id_z 1
		.amdhsa_system_sgpr_workgroup_info 0
		.amdhsa_system_vgpr_workitem_id 1
		.amdhsa_next_free_vgpr 215
		.amdhsa_next_free_sgpr 98
		.amdhsa_reserve_vcc 1
		.amdhsa_reserve_flat_scratch 0
		.amdhsa_float_round_mode_32 0
		.amdhsa_float_round_mode_16_64 0
		.amdhsa_float_denorm_mode_32 3
		.amdhsa_float_denorm_mode_16_64 3
		.amdhsa_dx10_clamp 1
		.amdhsa_ieee_mode 1
		.amdhsa_fp16_overflow 0
		.amdhsa_exception_fp_ieee_invalid_op 0
		.amdhsa_exception_fp_denorm_src 0
		.amdhsa_exception_fp_ieee_div_zero 0
		.amdhsa_exception_fp_ieee_overflow 0
		.amdhsa_exception_fp_ieee_underflow 0
		.amdhsa_exception_fp_ieee_inexact 0
		.amdhsa_exception_int_div_zero 0
	.end_amdhsa_kernel
	.section	.text._ZL26rocblas_hemvn_kernel_lowerILb1ELi64ELi4ELi33ELi32ELi16El19rocblas_complex_numIdEPKPKS1_PS1_EviT6_lT7_lT5_lS8_lS9_lS7_lT8_i,"axG",@progbits,_ZL26rocblas_hemvn_kernel_lowerILb1ELi64ELi4ELi33ELi32ELi16El19rocblas_complex_numIdEPKPKS1_PS1_EviT6_lT7_lT5_lS8_lS9_lS7_lT8_i,comdat
.Lfunc_end60:
	.size	_ZL26rocblas_hemvn_kernel_lowerILb1ELi64ELi4ELi33ELi32ELi16El19rocblas_complex_numIdEPKPKS1_PS1_EviT6_lT7_lT5_lS8_lS9_lS7_lT8_i, .Lfunc_end60-_ZL26rocblas_hemvn_kernel_lowerILb1ELi64ELi4ELi33ELi32ELi16El19rocblas_complex_numIdEPKPKS1_PS1_EviT6_lT7_lT5_lS8_lS9_lS7_lT8_i
                                        ; -- End function
	.set _ZL26rocblas_hemvn_kernel_lowerILb1ELi64ELi4ELi33ELi32ELi16El19rocblas_complex_numIdEPKPKS1_PS1_EviT6_lT7_lT5_lS8_lS9_lS7_lT8_i.num_vgpr, 215
	.set _ZL26rocblas_hemvn_kernel_lowerILb1ELi64ELi4ELi33ELi32ELi16El19rocblas_complex_numIdEPKPKS1_PS1_EviT6_lT7_lT5_lS8_lS9_lS7_lT8_i.num_agpr, 0
	.set _ZL26rocblas_hemvn_kernel_lowerILb1ELi64ELi4ELi33ELi32ELi16El19rocblas_complex_numIdEPKPKS1_PS1_EviT6_lT7_lT5_lS8_lS9_lS7_lT8_i.numbered_sgpr, 44
	.set _ZL26rocblas_hemvn_kernel_lowerILb1ELi64ELi4ELi33ELi32ELi16El19rocblas_complex_numIdEPKPKS1_PS1_EviT6_lT7_lT5_lS8_lS9_lS7_lT8_i.num_named_barrier, 0
	.set _ZL26rocblas_hemvn_kernel_lowerILb1ELi64ELi4ELi33ELi32ELi16El19rocblas_complex_numIdEPKPKS1_PS1_EviT6_lT7_lT5_lS8_lS9_lS7_lT8_i.private_seg_size, 0
	.set _ZL26rocblas_hemvn_kernel_lowerILb1ELi64ELi4ELi33ELi32ELi16El19rocblas_complex_numIdEPKPKS1_PS1_EviT6_lT7_lT5_lS8_lS9_lS7_lT8_i.uses_vcc, 1
	.set _ZL26rocblas_hemvn_kernel_lowerILb1ELi64ELi4ELi33ELi32ELi16El19rocblas_complex_numIdEPKPKS1_PS1_EviT6_lT7_lT5_lS8_lS9_lS7_lT8_i.uses_flat_scratch, 0
	.set _ZL26rocblas_hemvn_kernel_lowerILb1ELi64ELi4ELi33ELi32ELi16El19rocblas_complex_numIdEPKPKS1_PS1_EviT6_lT7_lT5_lS8_lS9_lS7_lT8_i.has_dyn_sized_stack, 0
	.set _ZL26rocblas_hemvn_kernel_lowerILb1ELi64ELi4ELi33ELi32ELi16El19rocblas_complex_numIdEPKPKS1_PS1_EviT6_lT7_lT5_lS8_lS9_lS7_lT8_i.has_recursion, 0
	.set _ZL26rocblas_hemvn_kernel_lowerILb1ELi64ELi4ELi33ELi32ELi16El19rocblas_complex_numIdEPKPKS1_PS1_EviT6_lT7_lT5_lS8_lS9_lS7_lT8_i.has_indirect_call, 0
	.section	.AMDGPU.csdata,"",@progbits
; Kernel info:
; codeLenInByte = 10000
; TotalNumSgprs: 48
; NumVgprs: 215
; ScratchSize: 0
; MemoryBound: 0
; FloatMode: 240
; IeeeMode: 1
; LDSByteSize: 19200 bytes/workgroup (compile time only)
; SGPRBlocks: 12
; VGPRBlocks: 53
; NumSGPRsForWavesPerEU: 102
; NumVGPRsForWavesPerEU: 215
; Occupancy: 1
; WaveLimiterHint : 0
; COMPUTE_PGM_RSRC2:SCRATCH_EN: 0
; COMPUTE_PGM_RSRC2:USER_SGPR: 6
; COMPUTE_PGM_RSRC2:TRAP_HANDLER: 0
; COMPUTE_PGM_RSRC2:TGID_X_EN: 1
; COMPUTE_PGM_RSRC2:TGID_Y_EN: 0
; COMPUTE_PGM_RSRC2:TGID_Z_EN: 1
; COMPUTE_PGM_RSRC2:TIDIG_COMP_CNT: 1
	.section	.text._ZL36rocblas_hemvn_kernel_lower_block_sumILi64El19rocblas_complex_numIdEPKPS1_S1_EviT1_lS5_lT2_lT0_lPT3_i,"axG",@progbits,_ZL36rocblas_hemvn_kernel_lower_block_sumILi64El19rocblas_complex_numIdEPKPS1_S1_EviT1_lS5_lT2_lT0_lPT3_i,comdat
	.globl	_ZL36rocblas_hemvn_kernel_lower_block_sumILi64El19rocblas_complex_numIdEPKPS1_S1_EviT1_lS5_lT2_lT0_lPT3_i ; -- Begin function _ZL36rocblas_hemvn_kernel_lower_block_sumILi64El19rocblas_complex_numIdEPKPS1_S1_EviT1_lS5_lT2_lT0_lPT3_i
	.p2align	8
	.type	_ZL36rocblas_hemvn_kernel_lower_block_sumILi64El19rocblas_complex_numIdEPKPS1_S1_EviT1_lS5_lT2_lT0_lPT3_i,@function
_ZL36rocblas_hemvn_kernel_lower_block_sumILi64El19rocblas_complex_numIdEPKPS1_S1_EviT1_lS5_lT2_lT0_lPT3_i: ; @_ZL36rocblas_hemvn_kernel_lower_block_sumILi64El19rocblas_complex_numIdEPKPS1_S1_EviT1_lS5_lT2_lT0_lPT3_i
; %bb.0:
	s_load_dwordx4 s[12:15], s[4:5], 0x8
	s_load_dwordx4 s[8:11], s[4:5], 0x20
	s_mov_b32 s18, s7
	s_waitcnt lgkmcnt(0)
	v_cmp_neq_f64_e64 s[0:1], s[12:13], 0
	v_cmp_neq_f64_e64 s[2:3], s[14:15], 0
	s_or_b64 s[0:1], s[0:1], s[2:3]
	s_mov_b64 s[2:3], -1
	s_and_b64 vcc, exec, s[0:1]
	s_cbranch_vccnz .LBB61_2
; %bb.1:
	v_cmp_neq_f64_e64 s[2:3], s[8:9], 1.0
	v_cmp_neq_f64_e64 s[16:17], s[10:11], 0
	s_or_b64 s[2:3], s[2:3], s[16:17]
.LBB61_2:
	s_andn2_b64 vcc, exec, s[2:3]
	s_cbranch_vccnz .LBB61_22
; %bb.3:
	s_xor_b64 s[16:17], s[0:1], -1
	s_load_dwordx2 s[22:23], s[4:5], 0x38
	s_load_dword s20, s[4:5], 0x0
	s_load_dwordx4 s[0:3], s[4:5], 0x40
	s_mov_b32 s19, 0
	s_lshl_b64 s[24:25], s[18:19], 3
	s_waitcnt lgkmcnt(0)
	s_add_u32 s22, s22, s24
	s_addc_u32 s23, s23, s25
	s_load_dwordx2 s[22:23], s[22:23], 0x0
	s_lshl_b64 s[0:1], s[0:1], 4
	v_lshl_or_b32 v6, s6, 6, v0
	s_waitcnt lgkmcnt(0)
	s_add_u32 s7, s22, s0
	s_addc_u32 s19, s23, s1
	s_andn2_b64 vcc, exec, s[16:17]
	v_cmp_gt_i32_e64 s[0:1], s20, v6
	s_cbranch_vccnz .LBB61_8
; %bb.4:
	s_mov_b64 s[22:23], 0
	s_mov_b64 s[16:17], 0
                                        ; implicit-def: $vgpr2_vgpr3
                                        ; implicit-def: $vgpr4_vgpr5
	s_and_saveexec_b64 s[24:25], s[0:1]
	s_cbranch_execz .LBB61_9
; %bb.5:
	v_cmp_neq_f64_e64 s[0:1], s[8:9], 0
	v_cmp_neq_f64_e64 s[16:17], s[10:11], 0
	v_ashrrev_i32_e32 v0, 31, v6
	v_mul_lo_u32 v7, s3, v6
	v_mad_u64_u32 v[4:5], s[26:27], s2, v6, 0
	v_mul_lo_u32 v8, s2, v0
	v_mov_b32_e32 v2, 0
	v_mov_b32_e32 v0, 0
	s_or_b64 s[0:1], s[0:1], s[16:17]
	v_mov_b32_e32 v3, 0
	s_andn2_b64 vcc, exec, s[0:1]
	v_mov_b32_e32 v1, 0
	v_add3_u32 v5, v5, v8, v7
	s_cbranch_vccnz .LBB61_7
; %bb.6:
	v_lshlrev_b64 v[0:1], 4, v[4:5]
	v_mov_b32_e32 v2, s19
	v_add_co_u32_e32 v0, vcc, s7, v0
	v_addc_co_u32_e32 v1, vcc, v2, v1, vcc
	flat_load_dwordx4 v[7:10], v[0:1]
	s_waitcnt vmcnt(0) lgkmcnt(0)
	v_mul_f64 v[0:1], s[10:11], v[9:10]
	v_mul_f64 v[2:3], s[8:9], v[9:10]
	v_fma_f64 v[0:1], s[8:9], v[7:8], -v[0:1]
	v_fma_f64 v[2:3], s[10:11], v[7:8], v[2:3]
.LBB61_7:
	s_mov_b64 s[16:17], exec
	s_or_b64 exec, exec, s[24:25]
	s_and_b64 vcc, exec, s[22:23]
	s_cbranch_vccnz .LBB61_10
	s_branch .LBB61_20
.LBB61_8:
	s_mov_b64 s[16:17], 0
                                        ; implicit-def: $vgpr2_vgpr3
                                        ; implicit-def: $vgpr4_vgpr5
	s_cbranch_execnz .LBB61_10
	s_branch .LBB61_20
.LBB61_9:
	s_or_b64 exec, exec, s[24:25]
	s_and_b64 vcc, exec, s[22:23]
	s_cbranch_vccz .LBB61_20
.LBB61_10:
	v_cmp_gt_i32_e32 vcc, s20, v6
                                        ; implicit-def: $vgpr2_vgpr3
                                        ; implicit-def: $vgpr4_vgpr5
	s_and_saveexec_b64 s[0:1], vcc
	s_cbranch_execz .LBB61_19
; %bb.11:
	s_load_dword s22, s[4:5], 0x68
	v_mov_b32_e32 v0, 0
	v_mov_b32_e32 v2, 0
	;; [unrolled: 1-line block ×4, first 2 shown]
	s_waitcnt lgkmcnt(0)
	s_cmp_ge_i32 s6, s22
	s_cbranch_scc1 .LBB61_14
; %bb.12:
	s_ashr_i32 s21, s20, 31
	s_mul_i32 s23, s20, s6
	s_load_dwordx2 s[4:5], s[4:5], 0x58
	v_add_u32_e32 v0, s23, v6
	s_mul_hi_u32 s23, s20, s18
	s_mul_i32 s24, s21, s18
	s_add_i32 s23, s23, s24
	s_mul_i32 s18, s20, s18
	s_mul_i32 s23, s23, s22
	s_mul_hi_u32 s24, s18, s22
	s_add_i32 s25, s24, s23
	s_mul_i32 s24, s18, s22
	v_ashrrev_i32_e32 v1, 31, v0
	s_lshl_b64 s[24:25], s[24:25], 4
	v_lshlrev_b64 v[0:1], 4, v[0:1]
	s_waitcnt lgkmcnt(0)
	s_add_u32 s4, s4, s24
	s_addc_u32 s5, s5, s25
	v_mov_b32_e32 v2, s5
	v_add_co_u32_e32 v0, vcc, s4, v0
	v_addc_co_u32_e32 v1, vcc, v2, v1, vcc
	v_add_co_u32_e32 v4, vcc, 8, v0
	v_addc_co_u32_e32 v5, vcc, 0, v1, vcc
	s_lshl_b64 s[4:5], s[20:21], 4
	v_mov_b32_e32 v0, 0
	v_mov_b32_e32 v2, 0
	;; [unrolled: 1-line block ×5, first 2 shown]
.LBB61_13:                              ; =>This Inner Loop Header: Depth=1
	global_load_dwordx4 v[8:11], v[4:5], off offset:-8
	s_add_i32 s6, s6, 1
	v_add_co_u32_e32 v4, vcc, s4, v4
	s_cmp_ge_i32 s6, s22
	v_addc_co_u32_e32 v5, vcc, v5, v7, vcc
	s_waitcnt vmcnt(0)
	v_add_f64 v[2:3], v[2:3], v[8:9]
	v_add_f64 v[0:1], v[0:1], v[10:11]
	s_cbranch_scc0 .LBB61_13
.LBB61_14:
	v_mul_f64 v[4:5], s[14:15], v[0:1]
	v_mul_f64 v[7:8], s[12:13], v[0:1]
	v_cmp_neq_f64_e64 s[4:5], s[8:9], 0
	v_cmp_neq_f64_e64 s[20:21], s[10:11], 0
	v_fma_f64 v[0:1], s[12:13], v[2:3], -v[4:5]
	v_fma_f64 v[2:3], s[14:15], v[2:3], v[7:8]
	v_ashrrev_i32_e32 v4, 31, v6
	v_mul_lo_u32 v7, s3, v6
	v_mul_lo_u32 v8, s2, v4
	s_or_b64 s[4:5], s[4:5], s[20:21]
	s_andn2_b64 vcc, exec, s[4:5]
	s_mov_b64 s[4:5], 0
	s_cbranch_vccz .LBB61_16
; %bb.15:
	v_mad_u64_u32 v[4:5], s[12:13], s2, v6, 0
	v_add3_u32 v5, v5, v8, v7
	s_andn2_b64 vcc, exec, s[4:5]
	s_cbranch_vccz .LBB61_17
	s_branch .LBB61_18
.LBB61_16:
                                        ; implicit-def: $vgpr4_vgpr5
.LBB61_17:
	v_mad_u64_u32 v[4:5], s[2:3], s2, v6, 0
	v_mov_b32_e32 v9, s19
	v_add3_u32 v5, v5, v8, v7
	v_lshlrev_b64 v[6:7], 4, v[4:5]
	v_add_co_u32_e32 v6, vcc, s7, v6
	v_addc_co_u32_e32 v7, vcc, v9, v7, vcc
	flat_load_dwordx4 v[6:9], v[6:7]
	s_waitcnt vmcnt(0) lgkmcnt(0)
	v_mul_f64 v[10:11], s[10:11], v[8:9]
	v_mul_f64 v[8:9], s[8:9], v[8:9]
	v_fma_f64 v[10:11], s[8:9], v[6:7], -v[10:11]
	v_fma_f64 v[6:7], s[10:11], v[6:7], v[8:9]
	v_add_f64 v[0:1], v[0:1], v[10:11]
	v_add_f64 v[2:3], v[2:3], v[6:7]
.LBB61_18:
	s_or_b64 s[16:17], s[16:17], exec
.LBB61_19:
	s_or_b64 exec, exec, s[0:1]
.LBB61_20:
	s_and_saveexec_b64 s[0:1], s[16:17]
	s_cbranch_execz .LBB61_22
; %bb.21:
	v_lshlrev_b64 v[4:5], 4, v[4:5]
	v_mov_b32_e32 v6, s19
	v_add_co_u32_e32 v4, vcc, s7, v4
	v_addc_co_u32_e32 v5, vcc, v6, v5, vcc
	flat_store_dwordx4 v[4:5], v[0:3]
.LBB61_22:
	s_endpgm
	.section	.rodata,"a",@progbits
	.p2align	6, 0x0
	.amdhsa_kernel _ZL36rocblas_hemvn_kernel_lower_block_sumILi64El19rocblas_complex_numIdEPKPS1_S1_EviT1_lS5_lT2_lT0_lPT3_i
		.amdhsa_group_segment_fixed_size 0
		.amdhsa_private_segment_fixed_size 0
		.amdhsa_kernarg_size 360
		.amdhsa_user_sgpr_count 6
		.amdhsa_user_sgpr_private_segment_buffer 1
		.amdhsa_user_sgpr_dispatch_ptr 0
		.amdhsa_user_sgpr_queue_ptr 0
		.amdhsa_user_sgpr_kernarg_segment_ptr 1
		.amdhsa_user_sgpr_dispatch_id 0
		.amdhsa_user_sgpr_flat_scratch_init 0
		.amdhsa_user_sgpr_private_segment_size 0
		.amdhsa_uses_dynamic_stack 0
		.amdhsa_system_sgpr_private_segment_wavefront_offset 0
		.amdhsa_system_sgpr_workgroup_id_x 1
		.amdhsa_system_sgpr_workgroup_id_y 0
		.amdhsa_system_sgpr_workgroup_id_z 1
		.amdhsa_system_sgpr_workgroup_info 0
		.amdhsa_system_vgpr_workitem_id 0
		.amdhsa_next_free_vgpr 12
		.amdhsa_next_free_sgpr 28
		.amdhsa_reserve_vcc 1
		.amdhsa_reserve_flat_scratch 0
		.amdhsa_float_round_mode_32 0
		.amdhsa_float_round_mode_16_64 0
		.amdhsa_float_denorm_mode_32 3
		.amdhsa_float_denorm_mode_16_64 3
		.amdhsa_dx10_clamp 1
		.amdhsa_ieee_mode 1
		.amdhsa_fp16_overflow 0
		.amdhsa_exception_fp_ieee_invalid_op 0
		.amdhsa_exception_fp_denorm_src 0
		.amdhsa_exception_fp_ieee_div_zero 0
		.amdhsa_exception_fp_ieee_overflow 0
		.amdhsa_exception_fp_ieee_underflow 0
		.amdhsa_exception_fp_ieee_inexact 0
		.amdhsa_exception_int_div_zero 0
	.end_amdhsa_kernel
	.section	.text._ZL36rocblas_hemvn_kernel_lower_block_sumILi64El19rocblas_complex_numIdEPKPS1_S1_EviT1_lS5_lT2_lT0_lPT3_i,"axG",@progbits,_ZL36rocblas_hemvn_kernel_lower_block_sumILi64El19rocblas_complex_numIdEPKPS1_S1_EviT1_lS5_lT2_lT0_lPT3_i,comdat
.Lfunc_end61:
	.size	_ZL36rocblas_hemvn_kernel_lower_block_sumILi64El19rocblas_complex_numIdEPKPS1_S1_EviT1_lS5_lT2_lT0_lPT3_i, .Lfunc_end61-_ZL36rocblas_hemvn_kernel_lower_block_sumILi64El19rocblas_complex_numIdEPKPS1_S1_EviT1_lS5_lT2_lT0_lPT3_i
                                        ; -- End function
	.set _ZL36rocblas_hemvn_kernel_lower_block_sumILi64El19rocblas_complex_numIdEPKPS1_S1_EviT1_lS5_lT2_lT0_lPT3_i.num_vgpr, 12
	.set _ZL36rocblas_hemvn_kernel_lower_block_sumILi64El19rocblas_complex_numIdEPKPS1_S1_EviT1_lS5_lT2_lT0_lPT3_i.num_agpr, 0
	.set _ZL36rocblas_hemvn_kernel_lower_block_sumILi64El19rocblas_complex_numIdEPKPS1_S1_EviT1_lS5_lT2_lT0_lPT3_i.numbered_sgpr, 28
	.set _ZL36rocblas_hemvn_kernel_lower_block_sumILi64El19rocblas_complex_numIdEPKPS1_S1_EviT1_lS5_lT2_lT0_lPT3_i.num_named_barrier, 0
	.set _ZL36rocblas_hemvn_kernel_lower_block_sumILi64El19rocblas_complex_numIdEPKPS1_S1_EviT1_lS5_lT2_lT0_lPT3_i.private_seg_size, 0
	.set _ZL36rocblas_hemvn_kernel_lower_block_sumILi64El19rocblas_complex_numIdEPKPS1_S1_EviT1_lS5_lT2_lT0_lPT3_i.uses_vcc, 1
	.set _ZL36rocblas_hemvn_kernel_lower_block_sumILi64El19rocblas_complex_numIdEPKPS1_S1_EviT1_lS5_lT2_lT0_lPT3_i.uses_flat_scratch, 0
	.set _ZL36rocblas_hemvn_kernel_lower_block_sumILi64El19rocblas_complex_numIdEPKPS1_S1_EviT1_lS5_lT2_lT0_lPT3_i.has_dyn_sized_stack, 0
	.set _ZL36rocblas_hemvn_kernel_lower_block_sumILi64El19rocblas_complex_numIdEPKPS1_S1_EviT1_lS5_lT2_lT0_lPT3_i.has_recursion, 0
	.set _ZL36rocblas_hemvn_kernel_lower_block_sumILi64El19rocblas_complex_numIdEPKPS1_S1_EviT1_lS5_lT2_lT0_lPT3_i.has_indirect_call, 0
	.section	.AMDGPU.csdata,"",@progbits
; Kernel info:
; codeLenInByte = 860
; TotalNumSgprs: 32
; NumVgprs: 12
; ScratchSize: 0
; MemoryBound: 0
; FloatMode: 240
; IeeeMode: 1
; LDSByteSize: 0 bytes/workgroup (compile time only)
; SGPRBlocks: 3
; VGPRBlocks: 2
; NumSGPRsForWavesPerEU: 32
; NumVGPRsForWavesPerEU: 12
; Occupancy: 10
; WaveLimiterHint : 1
; COMPUTE_PGM_RSRC2:SCRATCH_EN: 0
; COMPUTE_PGM_RSRC2:USER_SGPR: 6
; COMPUTE_PGM_RSRC2:TRAP_HANDLER: 0
; COMPUTE_PGM_RSRC2:TGID_X_EN: 1
; COMPUTE_PGM_RSRC2:TGID_Y_EN: 0
; COMPUTE_PGM_RSRC2:TGID_Z_EN: 1
; COMPUTE_PGM_RSRC2:TIDIG_COMP_CNT: 0
	.section	.text._ZL26rocblas_hemvn_kernel_lowerILb1ELi64ELi4ELi33ELi32ELi16Ei19rocblas_complex_numIdEPKPKS1_PS1_EviT6_lT7_lT5_lS8_lS9_lS7_lT8_i,"axG",@progbits,_ZL26rocblas_hemvn_kernel_lowerILb1ELi64ELi4ELi33ELi32ELi16Ei19rocblas_complex_numIdEPKPKS1_PS1_EviT6_lT7_lT5_lS8_lS9_lS7_lT8_i,comdat
	.globl	_ZL26rocblas_hemvn_kernel_lowerILb1ELi64ELi4ELi33ELi32ELi16Ei19rocblas_complex_numIdEPKPKS1_PS1_EviT6_lT7_lT5_lS8_lS9_lS7_lT8_i ; -- Begin function _ZL26rocblas_hemvn_kernel_lowerILb1ELi64ELi4ELi33ELi32ELi16Ei19rocblas_complex_numIdEPKPKS1_PS1_EviT6_lT7_lT5_lS8_lS9_lS7_lT8_i
	.p2align	8
	.type	_ZL26rocblas_hemvn_kernel_lowerILb1ELi64ELi4ELi33ELi32ELi16Ei19rocblas_complex_numIdEPKPKS1_PS1_EviT6_lT7_lT5_lS8_lS9_lS7_lT8_i,@function
_ZL26rocblas_hemvn_kernel_lowerILb1ELi64ELi4ELi33ELi32ELi16Ei19rocblas_complex_numIdEPKPKS1_PS1_EviT6_lT7_lT5_lS8_lS9_lS7_lT8_i: ; @_ZL26rocblas_hemvn_kernel_lowerILb1ELi64ELi4ELi33ELi32ELi16Ei19rocblas_complex_numIdEPKPKS1_PS1_EviT6_lT7_lT5_lS8_lS9_lS7_lT8_i
; %bb.0:
	s_load_dwordx2 s[2:3], s[4:5], 0x94
	s_add_u32 s0, s4, 0x88
	s_mov_b32 s22, s7
	s_addc_u32 s1, s5, 0
	s_waitcnt lgkmcnt(0)
	s_lshr_b32 s7, s2, 16
	s_and_b32 s2, s2, 0xffff
	s_and_b32 s3, s3, 0xffff
	s_mul_i32 s2, s7, s2
	s_mul_i32 s2, s2, s3
	s_cmpk_lg_i32 s2, 0x100
	s_cbranch_scc1 .LBB62_150
; %bb.1:
	s_load_dwordx4 s[8:11], s[4:5], 0x8
	v_mov_b32_e32 v2, v1
	s_waitcnt lgkmcnt(0)
	v_cmp_neq_f64_e64 s[2:3], s[8:9], 0
	v_cmp_neq_f64_e64 s[8:9], s[10:11], 0
	s_or_b64 s[8:9], s[2:3], s[8:9]
	s_mov_b64 s[2:3], -1
	s_and_b64 vcc, exec, s[8:9]
	s_cbranch_vccnz .LBB62_3
; %bb.2:
	s_load_dwordx4 s[8:11], s[4:5], 0x60
	s_waitcnt lgkmcnt(0)
	v_cmp_eq_f64_e64 s[2:3], s[8:9], 1.0
	v_cmp_eq_f64_e64 s[8:9], s[10:11], 0
	s_and_b64 s[2:3], s[2:3], s[8:9]
	s_andn2_b64 vcc, exec, s[2:3]
	s_mov_b64 s[2:3], 0
.LBB62_3:
	s_andn2_b64 vcc, exec, s[2:3]
	s_cbranch_vccnz .LBB62_150
; %bb.4:
	s_load_dwordx4 s[8:11], s[4:5], 0x20
	s_load_dwordx4 s[12:15], s[4:5], 0x40
	s_load_dword s7, s[4:5], 0x50
	s_mov_b32 s23, 0
	s_lshl_b64 s[2:3], s[22:23], 3
	s_waitcnt lgkmcnt(0)
	s_add_u32 s16, s8, s2
	s_addc_u32 s17, s9, s3
	s_add_u32 s2, s12, s2
	s_addc_u32 s3, s13, s3
	s_load_dwordx2 s[12:13], s[2:3], 0x0
	s_load_dword s23, s[4:5], 0x0
	s_load_dword s33, s[0:1], 0x0
	s_load_dwordx2 s[8:9], s[16:17], 0x0
	s_lshl_b64 s[0:1], s[14:15], 4
	s_waitcnt lgkmcnt(0)
	s_add_u32 s0, s12, s0
	s_addc_u32 s1, s13, s1
	s_lshl_b32 s26, s6, 6
	v_add_u32_e32 v143, s26, v0
	v_mul_lo_u32 v3, s7, v143
	s_ashr_i32 s42, s23, 31
	s_lshr_b32 s3, s42, 26
	s_add_i32 s3, s23, s3
	v_ashrrev_i32_e32 v4, 31, v3
	s_andn2_b32 s3, s3, 63
	v_lshlrev_b64 v[3:4], 4, v[3:4]
	s_add_i32 s2, s33, -1
	s_sub_i32 s3, s23, s3
	s_cmp_eq_u32 s6, s2
	v_mov_b32_e32 v1, s1
	v_add_co_u32_e32 v39, vcc, s0, v3
	s_cselect_b32 s24, s3, 0
	v_addc_co_u32_e32 v40, vcc, v1, v4, vcc
	v_cmp_ne_u32_e64 s[0:1], 0, v2
	v_cmp_eq_u32_e64 s[2:3], 0, v2
	s_and_saveexec_b64 s[12:13], s[2:3]
	s_cbranch_execz .LBB62_9
; %bb.5:
	s_cmp_lg_u32 s24, 0
	s_cselect_b64 s[14:15], -1, 0
	v_cmp_le_i32_e32 vcc, s24, v0
	v_mov_b32_e32 v1, 0x4700
	s_and_b64 s[14:15], s[14:15], vcc
	v_lshl_add_u32 v1, v0, 4, v1
	s_and_saveexec_b64 s[16:17], s[14:15]
	s_xor_b64 s[14:15], exec, s[16:17]
; %bb.6:
	v_mov_b32_e32 v3, 0
	v_mov_b32_e32 v4, v3
	;; [unrolled: 1-line block ×4, first 2 shown]
	ds_write_b128 v1, v[3:6]
                                        ; implicit-def: $vgpr1
; %bb.7:
	s_andn2_saveexec_b64 s[14:15], s[14:15]
	s_cbranch_execz .LBB62_9
; %bb.8:
	flat_load_dwordx4 v[3:6], v[39:40]
	s_waitcnt vmcnt(0) lgkmcnt(0)
	ds_write2_b64 v1, v[3:4], v[5:6] offset1:1
.LBB62_9:
	s_or_b64 exec, exec, s[12:13]
	s_load_dword s28, s[4:5], 0x30
	s_lshl_b64 s[10:11], s[10:11], 4
	v_lshl_add_u32 v45, v2, 6, v0
	s_add_u32 s10, s8, s10
	v_and_b32_e32 v1, 31, v0
	v_lshrrev_b32_e32 v13, 5, v45
	s_addc_u32 s11, s9, s11
	s_waitcnt lgkmcnt(0)
	v_mad_u64_u32 v[3:4], s[8:9], s28, v13, v[1:2]
	s_ashr_i32 s27, s26, 31
	s_lshl_b64 s[8:9], s[26:27], 4
	v_ashrrev_i32_e32 v4, 31, v3
	v_lshlrev_b64 v[41:42], 4, v[3:4]
	s_add_u32 s8, s10, s8
	s_addc_u32 s9, s11, s9
	v_add_co_u32_e32 v4, vcc, s8, v41
	s_mul_i32 s8, s28, s26
	v_mov_b32_e32 v3, s9
	s_ashr_i32 s9, s8, 31
	v_addc_co_u32_e32 v3, vcc, v3, v42, vcc
	s_lshl_b64 s[30:31], s[8:9], 4
	v_mov_b32_e32 v5, s31
	v_add_co_u32_e32 v7, vcc, s30, v4
	s_cmp_lg_u32 s24, 0
	v_addc_co_u32_e32 v8, vcc, v3, v5, vcc
	s_cselect_b64 s[34:35], -1, 0
	s_cmp_eq_u32 s24, 0
	s_cselect_b64 s[18:19], -1, 0
	s_mov_b64 s[8:9], -1
	s_and_b64 vcc, exec, s[34:35]
	s_cbranch_vccnz .LBB62_11
; %bb.10:
	flat_load_dwordx4 v[3:6], v[7:8]
	s_lshl_b32 s8, s28, 3
	s_ashr_i32 s9, s8, 31
	v_mul_u32_u24_e32 v9, 0x210, v13
	s_lshl_b64 s[8:9], s[8:9], 4
	v_lshl_add_u32 v11, v1, 4, v9
	v_mov_b32_e32 v10, s9
	v_add_co_u32_e32 v9, vcc, s8, v7
	v_addc_co_u32_e32 v10, vcc, v8, v10, vcc
	s_ashr_i32 s29, s28, 31
	s_lshl_b64 s[8:9], s[28:29], 7
	v_add_u32_e32 v12, 0x1080, v11
	v_mov_b32_e32 v14, s9
	s_waitcnt vmcnt(0) lgkmcnt(0)
	ds_write2_b64 v11, v[3:4], v[5:6] offset1:1
	flat_load_dwordx4 v[3:6], v[9:10]
	v_add_co_u32_e32 v9, vcc, s8, v9
	v_addc_co_u32_e32 v10, vcc, v10, v14, vcc
	s_waitcnt vmcnt(0) lgkmcnt(0)
	ds_write2_b64 v12, v[3:4], v[5:6] offset1:1
	flat_load_dwordx4 v[3:6], v[9:10]
	v_add_u32_e32 v12, 0x2100, v11
	v_add_co_u32_e32 v9, vcc, s8, v9
	v_addc_co_u32_e32 v10, vcc, v10, v14, vcc
	s_mov_b64 s[8:9], 0
	s_waitcnt vmcnt(0) lgkmcnt(0)
	ds_write2_b64 v12, v[3:4], v[5:6] offset1:1
	flat_load_dwordx4 v[3:6], v[9:10]
	v_add_u32_e32 v9, 0x3180, v11
	s_waitcnt vmcnt(0) lgkmcnt(0)
	ds_write2_b64 v9, v[3:4], v[5:6] offset1:1
.LBB62_11:
	s_andn2_b64 vcc, exec, s[8:9]
	v_lshlrev_b32_e32 v14, 4, v1
	s_cbranch_vccnz .LBB62_29
; %bb.12:
	v_sub_co_u32_e32 v3, vcc, v7, v14
	s_ashr_i32 s25, s24, 31
	v_subbrev_co_u32_e32 v4, vcc, 0, v8, vcc
	s_lshl_b64 s[10:11], s[24:25], 4
	v_mov_b32_e32 v5, s11
	v_add_co_u32_e32 v3, vcc, s10, v3
	v_addc_co_u32_e32 v4, vcc, v4, v5, vcc
	v_add_co_u32_e32 v3, vcc, -16, v3
	v_addc_co_u32_e32 v4, vcc, -1, v4, vcc
	v_cmp_gt_i32_e32 vcc, s24, v1
	s_movk_i32 s12, 0x210
	v_cndmask_b32_e32 v4, v4, v8, vcc
	v_cndmask_b32_e32 v3, v3, v7, vcc
	v_cmp_le_i32_e64 s[8:9], s24, v13
	v_mad_u32_u24 v5, v13, s12, v14
	s_and_saveexec_b64 s[12:13], s[8:9]
	s_xor_b64 s[8:9], exec, s[12:13]
; %bb.13:
	v_mov_b32_e32 v9, 0
	v_mov_b32_e32 v10, v9
	;; [unrolled: 1-line block ×4, first 2 shown]
	ds_write_b128 v5, v[9:12]
                                        ; implicit-def: $vgpr5
; %bb.14:
	s_andn2_saveexec_b64 s[8:9], s[8:9]
	s_cbranch_execz .LBB62_16
; %bb.15:
	flat_load_dwordx4 v[9:12], v[3:4]
	s_waitcnt vmcnt(0) lgkmcnt(0)
	ds_write2_b64 v5, v[9:10], v[11:12] offset1:1
.LBB62_16:
	s_or_b64 exec, exec, s[8:9]
	v_add_u32_e32 v6, 8, v13
	v_mul_u32_u24_e32 v5, 0x210, v13
	v_cmp_le_i32_e64 s[8:9], s24, v6
	s_and_saveexec_b64 s[12:13], s[8:9]
	s_xor_b64 s[8:9], exec, s[12:13]
	s_cbranch_execz .LBB62_18
; %bb.17:
	v_mov_b32_e32 v9, 0
	v_add_u32_e32 v6, v5, v14
	v_mov_b32_e32 v10, v9
	v_mov_b32_e32 v11, v9
	;; [unrolled: 1-line block ×3, first 2 shown]
	ds_write_b128 v6, v[9:12] offset:4224
.LBB62_18:
	s_andn2_saveexec_b64 s[12:13], s[8:9]
	s_cbranch_execz .LBB62_20
; %bb.19:
	s_lshl_b32 s8, s28, 3
	s_ashr_i32 s9, s8, 31
	s_lshl_b64 s[8:9], s[8:9], 4
	v_mov_b32_e32 v6, s9
	v_add_co_u32_e64 v9, s[8:9], s8, v3
	v_addc_co_u32_e64 v10, s[8:9], v4, v6, s[8:9]
	flat_load_dwordx4 v[9:12], v[9:10]
	s_movk_i32 s8, 0x1080
	v_add3_u32 v6, v5, v14, s8
	s_waitcnt vmcnt(0) lgkmcnt(0)
	ds_write2_b64 v6, v[9:10], v[11:12] offset1:1
.LBB62_20:
	s_or_b64 exec, exec, s[12:13]
	v_add_u32_e32 v6, 16, v13
	v_cmp_le_i32_e64 s[8:9], s24, v6
	s_and_saveexec_b64 s[12:13], s[8:9]
	s_xor_b64 s[8:9], exec, s[12:13]
	s_cbranch_execz .LBB62_22
; %bb.21:
	v_mov_b32_e32 v9, 0
	v_add_u32_e32 v6, v5, v14
	v_mov_b32_e32 v10, v9
	v_mov_b32_e32 v11, v9
	;; [unrolled: 1-line block ×3, first 2 shown]
	ds_write_b128 v6, v[9:12] offset:8448
.LBB62_22:
	s_andn2_saveexec_b64 s[12:13], s[8:9]
	s_cbranch_execz .LBB62_24
; %bb.23:
	s_lshl_b32 s8, s28, 4
	s_ashr_i32 s9, s8, 31
	s_lshl_b64 s[8:9], s[8:9], 4
	v_mov_b32_e32 v6, s9
	v_add_co_u32_e64 v9, s[8:9], s8, v3
	v_addc_co_u32_e64 v10, s[8:9], v4, v6, s[8:9]
	flat_load_dwordx4 v[9:12], v[9:10]
	s_movk_i32 s8, 0x2100
	v_add3_u32 v6, v5, v14, s8
	s_waitcnt vmcnt(0) lgkmcnt(0)
	ds_write2_b64 v6, v[9:10], v[11:12] offset1:1
.LBB62_24:
	s_or_b64 exec, exec, s[12:13]
	v_add_u32_e32 v6, 24, v13
	v_cmp_le_i32_e64 s[8:9], s24, v6
	s_and_saveexec_b64 s[12:13], s[8:9]
	s_xor_b64 s[8:9], exec, s[12:13]
	s_cbranch_execz .LBB62_26
; %bb.25:
	v_mov_b32_e32 v9, 0
	v_add_u32_e32 v5, v5, v14
	v_mov_b32_e32 v10, v9
	v_mov_b32_e32 v11, v9
	;; [unrolled: 1-line block ×3, first 2 shown]
	ds_write_b128 v5, v[9:12] offset:12672
                                        ; implicit-def: $vgpr5
.LBB62_26:
	s_andn2_saveexec_b64 s[12:13], s[8:9]
	s_cbranch_execz .LBB62_28
; %bb.27:
	s_mul_i32 s8, s28, 24
	s_ashr_i32 s9, s8, 31
	s_lshl_b64 s[8:9], s[8:9], 4
	v_mov_b32_e32 v6, s9
	v_add_co_u32_e64 v9, s[8:9], s8, v3
	v_addc_co_u32_e64 v10, s[8:9], v4, v6, s[8:9]
	flat_load_dwordx4 v[9:12], v[9:10]
	s_movk_i32 s8, 0x3180
	v_add3_u32 v5, v5, v14, s8
	s_waitcnt vmcnt(0) lgkmcnt(0)
	ds_write2_b64 v5, v[9:10], v[11:12] offset1:1
.LBB62_28:
	s_or_b64 exec, exec, s[12:13]
	v_add_co_u32_e64 v3, s[8:9], v3, v14
	v_addc_co_u32_e64 v4, s[8:9], 0, v4, s[8:9]
	v_mov_b32_e32 v5, s11
	v_subrev_co_u32_e64 v3, s[8:9], s10, v3
	v_subb_co_u32_e64 v4, s[8:9], v4, v5, s[8:9]
	v_add_co_u32_e64 v3, s[8:9], 16, v3
	v_addc_co_u32_e64 v4, s[8:9], 0, v4, s[8:9]
	v_cndmask_b32_e32 v8, v4, v8, vcc
	v_cndmask_b32_e32 v7, v3, v7, vcc
.LBB62_29:
	v_lshlrev_b32_e32 v15, 2, v13
	v_mul_u32_u24_e32 v16, 0x210, v1
	v_cmp_ge_u32_e64 s[8:9], v15, v1
	s_mov_b64 s[10:11], 0
	s_waitcnt lgkmcnt(0)
	s_barrier
                                        ; implicit-def: $vgpr10
	s_and_saveexec_b64 s[12:13], s[8:9]
	s_xor_b64 s[12:13], exec, s[12:13]
	s_cbranch_execz .LBB62_33
; %bb.30:
	v_cmp_eq_u32_e32 vcc, v15, v1
                                        ; implicit-def: $vgpr10
	s_and_saveexec_b64 s[14:15], vcc
	s_xor_b64 s[14:15], exec, s[14:15]
; %bb.31:
	s_mov_b64 s[10:11], exec
	v_add_u32_e32 v10, v14, v16
; %bb.32:
	s_or_b64 exec, exec, s[14:15]
	s_and_b64 s[10:11], s[10:11], exec
.LBB62_33:
	s_or_saveexec_b64 s[12:13], s[12:13]
	v_mov_b32_e32 v5, 0
	v_mov_b32_e32 v6, 0
	v_lshl_or_b32 v9, v1, 9, v14
	s_xor_b64 exec, exec, s[12:13]
	s_cbranch_execz .LBB62_35
; %bb.34:
	s_movk_i32 s14, 0x840
	v_mad_u32_u24 v3, v13, s14, v14
	ds_read_b128 v[3:6], v3
	v_lshl_add_u32 v10, v15, 4, v9
	s_or_b64 s[10:11], s[10:11], exec
	s_waitcnt lgkmcnt(0)
	v_xor_b32_e32 v6, 0x80000000, v6
	ds_write_b64 v10, v[3:4]
.LBB62_35:
	s_or_b64 exec, exec, s[12:13]
	s_and_saveexec_b64 s[12:13], s[10:11]
; %bb.36:
	ds_write_b64 v10, v[5:6] offset:8
; %bb.37:
	s_or_b64 exec, exec, s[12:13]
	v_or_b32_e32 v18, 1, v15
	v_cmp_ge_u32_e64 s[10:11], v18, v1
	s_mov_b64 s[12:13], 0
                                        ; implicit-def: $vgpr10
	s_and_saveexec_b64 s[14:15], s[10:11]
	s_xor_b64 s[14:15], exec, s[14:15]
	s_cbranch_execz .LBB62_41
; %bb.38:
	v_cmp_eq_u32_e32 vcc, v18, v1
                                        ; implicit-def: $vgpr10
	s_and_saveexec_b64 s[16:17], vcc
; %bb.39:
	s_mov_b64 s[12:13], exec
	v_add_u32_e32 v10, v14, v16
; %bb.40:
	s_or_b64 exec, exec, s[16:17]
	s_and_b64 s[12:13], s[12:13], exec
.LBB62_41:
	s_or_saveexec_b64 s[14:15], s[14:15]
	v_mov_b32_e32 v5, 0
	v_mov_b32_e32 v6, 0
	s_xor_b64 exec, exec, s[14:15]
	s_cbranch_execz .LBB62_43
; %bb.42:
	s_movk_i32 s16, 0x210
	v_mad_u32_u24 v3, v18, s16, v14
	ds_read_b128 v[3:6], v3
	v_lshl_add_u32 v11, v15, 4, v9
	v_add_u32_e32 v10, 16, v11
	s_or_b64 s[12:13], s[12:13], exec
	s_waitcnt lgkmcnt(0)
	v_xor_b32_e32 v6, 0x80000000, v6
	ds_write_b64 v11, v[3:4] offset:16
.LBB62_43:
	s_or_b64 exec, exec, s[14:15]
	s_and_saveexec_b64 s[14:15], s[12:13]
; %bb.44:
	ds_write_b64 v10, v[5:6] offset:8
; %bb.45:
	s_or_b64 exec, exec, s[14:15]
	v_or_b32_e32 v19, 2, v15
	v_cmp_ge_u32_e64 s[12:13], v19, v1
	s_mov_b64 s[14:15], 0
                                        ; implicit-def: $vgpr10
	s_and_saveexec_b64 s[16:17], s[12:13]
	s_xor_b64 s[16:17], exec, s[16:17]
	s_cbranch_execz .LBB62_49
; %bb.46:
	v_cmp_eq_u32_e32 vcc, v19, v1
                                        ; implicit-def: $vgpr10
	s_and_saveexec_b64 s[20:21], vcc
; %bb.47:
	s_mov_b64 s[14:15], exec
	v_add_u32_e32 v10, v14, v16
; %bb.48:
	s_or_b64 exec, exec, s[20:21]
	s_and_b64 s[14:15], s[14:15], exec
.LBB62_49:
	s_or_saveexec_b64 s[16:17], s[16:17]
	v_mov_b32_e32 v5, 0
	v_mov_b32_e32 v6, 0
	s_xor_b64 exec, exec, s[16:17]
	s_cbranch_execz .LBB62_51
; %bb.50:
	s_movk_i32 s20, 0x210
	v_mad_u32_u24 v3, v19, s20, v14
	ds_read_b128 v[3:6], v3
	v_lshl_add_u32 v11, v15, 4, v9
	v_add_u32_e32 v10, 32, v11
	s_or_b64 s[14:15], s[14:15], exec
	s_waitcnt lgkmcnt(0)
	v_xor_b32_e32 v6, 0x80000000, v6
	ds_write_b64 v11, v[3:4] offset:32
.LBB62_51:
	s_or_b64 exec, exec, s[16:17]
	s_and_saveexec_b64 s[16:17], s[14:15]
; %bb.52:
	ds_write_b64 v10, v[5:6] offset:8
; %bb.53:
	s_or_b64 exec, exec, s[16:17]
	v_or_b32_e32 v20, 3, v15
	v_cmp_ge_u32_e64 s[14:15], v20, v1
	s_mov_b64 s[16:17], 0
                                        ; implicit-def: $vgpr10
	s_and_saveexec_b64 s[20:21], s[14:15]
	s_xor_b64 s[20:21], exec, s[20:21]
	s_cbranch_execz .LBB62_57
; %bb.54:
	v_cmp_eq_u32_e32 vcc, v20, v1
                                        ; implicit-def: $vgpr10
	s_and_saveexec_b64 s[36:37], vcc
; %bb.55:
	s_mov_b64 s[16:17], exec
	v_add_u32_e32 v10, v14, v16
; %bb.56:
	s_or_b64 exec, exec, s[36:37]
	s_and_b64 s[16:17], s[16:17], exec
                                        ; implicit-def: $vgpr9
.LBB62_57:
	s_or_saveexec_b64 s[20:21], s[20:21]
	v_mov_b32_e32 v5, 0
	v_mov_b32_e32 v6, 0
	s_xor_b64 exec, exec, s[20:21]
	s_cbranch_execz .LBB62_59
; %bb.58:
	s_movk_i32 s25, 0x210
	v_mad_u32_u24 v3, v20, s25, v14
	ds_read_b128 v[3:6], v3
	v_lshl_add_u32 v9, v15, 4, v9
	v_add_u32_e32 v10, 48, v9
	s_or_b64 s[16:17], s[16:17], exec
	s_waitcnt lgkmcnt(0)
	v_xor_b32_e32 v6, 0x80000000, v6
	ds_write_b64 v9, v[3:4] offset:48
.LBB62_59:
	s_or_b64 exec, exec, s[20:21]
	s_and_saveexec_b64 s[20:21], s[16:17]
; %bb.60:
	ds_write_b64 v10, v[5:6] offset:8
; %bb.61:
	s_or_b64 exec, exec, s[20:21]
	s_movk_i32 s16, 0x840
	v_lshlrev_b32_e32 v9, 4, v15
	s_waitcnt lgkmcnt(0)
	s_barrier
	v_mad_u32_u24 v10, v13, s16, v14
	ds_read_b128 v[3:6], v9 offset:18176
	ds_read_b128 v[21:24], v10
	ds_read_b128 v[25:28], v9 offset:18192
	s_movk_i32 s16, 0x210
	v_mad_u32_u24 v12, v18, s16, v14
	ds_read_b128 v[29:32], v12
	ds_read_b128 v[33:36], v9 offset:18208
	s_waitcnt lgkmcnt(3)
	v_mul_f64 v[10:11], v[5:6], v[23:24]
	v_mul_f64 v[23:24], v[3:4], v[23:24]
	ds_read_b128 v[46:49], v12 offset:528
	s_waitcnt lgkmcnt(2)
	v_mul_f64 v[37:38], v[27:28], v[31:32]
	v_mul_f64 v[31:32], v[25:26], v[31:32]
	v_cmp_gt_u32_e64 s[20:21], 32, v45
	v_fma_f64 v[10:11], v[3:4], v[21:22], -v[10:11]
	v_fma_f64 v[43:44], v[5:6], v[21:22], v[23:24]
	ds_read_b128 v[3:6], v9 offset:18224
	ds_read_b128 v[21:24], v12 offset:1056
	v_fma_f64 v[25:26], v[25:26], v[29:30], -v[37:38]
	s_waitcnt lgkmcnt(2)
	v_mul_f64 v[37:38], v[35:36], v[48:49]
	v_fma_f64 v[27:28], v[27:28], v[29:30], v[31:32]
	v_mul_f64 v[29:30], v[33:34], v[48:49]
	s_waitcnt lgkmcnt(0)
	v_add_f64 v[10:11], v[10:11], 0
	v_add_f64 v[31:32], v[43:44], 0
	v_mul_f64 v[43:44], v[5:6], v[23:24]
	v_mul_f64 v[23:24], v[3:4], v[23:24]
	v_fma_f64 v[33:34], v[33:34], v[46:47], -v[37:38]
	s_barrier
	v_add_f64 v[10:11], v[10:11], v[25:26]
	v_fma_f64 v[25:26], v[35:36], v[46:47], v[29:30]
	v_add_f64 v[27:28], v[31:32], v[27:28]
	v_fma_f64 v[29:30], v[3:4], v[21:22], -v[43:44]
	v_fma_f64 v[5:6], v[5:6], v[21:22], v[23:24]
	v_mov_b32_e32 v3, 0
	v_mov_b32_e32 v4, 0
	v_add_f64 v[10:11], v[10:11], v[33:34]
	v_add_f64 v[23:24], v[27:28], v[25:26]
	;; [unrolled: 1-line block ×3, first 2 shown]
	v_mul_u32_u24_e32 v10, 33, v1
	v_add_f64 v[23:24], v[23:24], v[5:6]
	v_mov_b32_e32 v5, 0
	v_lshlrev_b32_e32 v46, 4, v10
	v_mov_b32_e32 v6, 0
	v_lshl_add_u32 v47, v13, 4, v46
	ds_write_b128 v47, v[21:24]
	s_waitcnt lgkmcnt(0)
	s_barrier
	s_and_saveexec_b64 s[16:17], s[20:21]
	s_cbranch_execz .LBB62_63
; %bb.62:
	ds_read_b128 v[3:6], v46
	ds_read_b128 v[21:24], v46 offset:16
	s_waitcnt lgkmcnt(0)
	v_add_f64 v[10:11], v[21:22], v[3:4]
	v_add_f64 v[25:26], v[23:24], v[5:6]
	ds_read_b128 v[3:6], v46 offset:32
	ds_read_b128 v[21:24], v46 offset:48
	s_waitcnt lgkmcnt(1)
	v_add_f64 v[3:4], v[10:11], v[3:4]
	v_add_f64 v[5:6], v[25:26], v[5:6]
	s_waitcnt lgkmcnt(0)
	v_add_f64 v[10:11], v[3:4], v[21:22]
	v_add_f64 v[25:26], v[5:6], v[23:24]
	ds_read_b128 v[3:6], v46 offset:64
	ds_read_b128 v[21:24], v46 offset:80
	s_waitcnt lgkmcnt(1)
	v_add_f64 v[3:4], v[10:11], v[3:4]
	v_add_f64 v[5:6], v[25:26], v[5:6]
	;; [unrolled: 8-line block ×3, first 2 shown]
	s_waitcnt lgkmcnt(0)
	v_add_f64 v[3:4], v[3:4], v[21:22]
	v_add_f64 v[5:6], v[5:6], v[23:24]
.LBB62_63:
	s_or_b64 exec, exec, s[16:17]
	s_lshl_b32 s16, s28, 5
	s_ashr_i32 s17, s16, 31
	s_lshl_b64 s[36:37], s[16:17], 4
	v_mov_b32_e32 v10, s37
	v_add_co_u32_e32 v7, vcc, s36, v7
	v_addc_co_u32_e32 v8, vcc, v8, v10, vcc
	v_add_co_u32_e32 v11, vcc, 0x200, v7
	v_addc_co_u32_e32 v12, vcc, 0, v8, vcc
	v_cndmask_b32_e64 v10, 0, 1, s[18:19]
	v_cmp_ne_u32_e64 s[16:17], 1, v10
	s_andn2_b64 vcc, exec, s[18:19]
	s_mov_b64 s[18:19], -1
	s_barrier
	s_cbranch_vccnz .LBB62_65
; %bb.64:
	flat_load_dwordx4 v[21:24], v[11:12]
	s_movk_i32 s19, 0x210
	s_lshl_b32 s18, s28, 3
	v_mad_u32_u24 v10, v13, s19, v14
	s_ashr_i32 s19, s18, 31
	s_lshl_b64 s[18:19], s[18:19], 4
	v_mov_b32_e32 v17, s19
	v_add_co_u32_e32 v25, vcc, s18, v7
	v_addc_co_u32_e32 v26, vcc, v8, v17, vcc
	s_ashr_i32 s29, s28, 31
	s_lshl_b64 s[18:19], s[28:29], 7
	v_add_u32_e32 v17, 0x1080, v10
	v_mov_b32_e32 v27, s19
	s_waitcnt vmcnt(0) lgkmcnt(0)
	ds_write2_b64 v10, v[21:22], v[23:24] offset1:1
	flat_load_dwordx4 v[21:24], v[25:26] offset:512
	v_add_co_u32_e32 v25, vcc, s18, v25
	v_addc_co_u32_e32 v26, vcc, v26, v27, vcc
	s_waitcnt vmcnt(0) lgkmcnt(0)
	ds_write2_b64 v17, v[21:22], v[23:24] offset1:1
	flat_load_dwordx4 v[21:24], v[25:26] offset:512
	v_add_u32_e32 v17, 0x2100, v10
	v_add_co_u32_e32 v25, vcc, s18, v25
	v_addc_co_u32_e32 v26, vcc, v26, v27, vcc
	v_add_u32_e32 v10, 0x3180, v10
	s_mov_b64 s[18:19], 0
	s_waitcnt vmcnt(0) lgkmcnt(0)
	ds_write2_b64 v17, v[21:22], v[23:24] offset1:1
	flat_load_dwordx4 v[21:24], v[25:26] offset:512
	s_waitcnt vmcnt(0) lgkmcnt(0)
	ds_write2_b64 v10, v[21:22], v[23:24] offset1:1
.LBB62_65:
	s_andn2_b64 vcc, exec, s[18:19]
	s_cbranch_vccnz .LBB62_83
; %bb.66:
	v_sub_co_u32_e32 v7, vcc, v7, v14
	s_ashr_i32 s25, s24, 31
	v_subbrev_co_u32_e32 v8, vcc, 0, v8, vcc
	s_lshl_b64 s[38:39], s[24:25], 4
	v_mov_b32_e32 v17, s39
	v_add_co_u32_e32 v7, vcc, s38, v7
	v_addc_co_u32_e32 v8, vcc, v8, v17, vcc
	v_or_b32_e32 v10, 32, v1
	v_add_co_u32_e32 v7, vcc, -16, v7
	v_addc_co_u32_e32 v8, vcc, -1, v8, vcc
	v_cmp_gt_i32_e64 s[18:19], s24, v10
	s_sub_i32 s25, s24, 32
	s_movk_i32 s27, 0x210
	v_cndmask_b32_e64 v8, v8, v12, s[18:19]
	v_cndmask_b32_e64 v7, v7, v11, s[18:19]
	v_cmp_le_i32_e32 vcc, s25, v13
	v_mad_u32_u24 v10, v13, s27, v14
	s_and_saveexec_b64 s[40:41], vcc
	s_xor_b64 s[40:41], exec, s[40:41]
; %bb.67:
	v_mov_b32_e32 v21, 0
	v_mov_b32_e32 v22, v21
	;; [unrolled: 1-line block ×4, first 2 shown]
	ds_write_b128 v10, v[21:24]
                                        ; implicit-def: $vgpr10
; %bb.68:
	s_andn2_saveexec_b64 s[40:41], s[40:41]
	s_cbranch_execz .LBB62_70
; %bb.69:
	flat_load_dwordx4 v[21:24], v[7:8]
	s_waitcnt vmcnt(0) lgkmcnt(0)
	ds_write2_b64 v10, v[21:22], v[23:24] offset1:1
.LBB62_70:
	s_or_b64 exec, exec, s[40:41]
	v_add_u32_e32 v17, 8, v13
	v_mul_u32_u24_e32 v10, 0x210, v13
	v_cmp_le_i32_e32 vcc, s25, v17
	s_and_saveexec_b64 s[40:41], vcc
	s_xor_b64 s[40:41], exec, s[40:41]
	s_cbranch_execz .LBB62_72
; %bb.71:
	v_mov_b32_e32 v21, 0
	v_add_u32_e32 v17, v10, v14
	v_mov_b32_e32 v22, v21
	v_mov_b32_e32 v23, v21
	;; [unrolled: 1-line block ×3, first 2 shown]
	ds_write_b128 v17, v[21:24] offset:4224
.LBB62_72:
	s_andn2_saveexec_b64 s[40:41], s[40:41]
	s_cbranch_execz .LBB62_74
; %bb.73:
	s_lshl_b32 s44, s28, 3
	s_ashr_i32 s45, s44, 31
	s_lshl_b64 s[44:45], s[44:45], 4
	v_mov_b32_e32 v17, s45
	v_add_co_u32_e32 v21, vcc, s44, v7
	v_addc_co_u32_e32 v22, vcc, v8, v17, vcc
	flat_load_dwordx4 v[21:24], v[21:22]
	s_movk_i32 s27, 0x1080
	v_add3_u32 v17, v10, v14, s27
	s_waitcnt vmcnt(0) lgkmcnt(0)
	ds_write2_b64 v17, v[21:22], v[23:24] offset1:1
.LBB62_74:
	s_or_b64 exec, exec, s[40:41]
	v_add_u32_e32 v17, 16, v13
	v_cmp_le_i32_e32 vcc, s25, v17
	s_and_saveexec_b64 s[40:41], vcc
	s_xor_b64 s[40:41], exec, s[40:41]
	s_cbranch_execz .LBB62_76
; %bb.75:
	v_mov_b32_e32 v21, 0
	v_add_u32_e32 v17, v10, v14
	v_mov_b32_e32 v22, v21
	v_mov_b32_e32 v23, v21
	;; [unrolled: 1-line block ×3, first 2 shown]
	ds_write_b128 v17, v[21:24] offset:8448
.LBB62_76:
	s_andn2_saveexec_b64 s[40:41], s[40:41]
	s_cbranch_execz .LBB62_78
; %bb.77:
	s_lshl_b32 s44, s28, 4
	s_ashr_i32 s45, s44, 31
	s_lshl_b64 s[44:45], s[44:45], 4
	v_mov_b32_e32 v17, s45
	v_add_co_u32_e32 v21, vcc, s44, v7
	v_addc_co_u32_e32 v22, vcc, v8, v17, vcc
	flat_load_dwordx4 v[21:24], v[21:22]
	s_movk_i32 s27, 0x2100
	v_add3_u32 v17, v10, v14, s27
	s_waitcnt vmcnt(0) lgkmcnt(0)
	ds_write2_b64 v17, v[21:22], v[23:24] offset1:1
.LBB62_78:
	s_or_b64 exec, exec, s[40:41]
	v_add_u32_e32 v17, 24, v13
	v_cmp_le_i32_e32 vcc, s25, v17
	s_and_saveexec_b64 s[40:41], vcc
	s_xor_b64 s[40:41], exec, s[40:41]
	s_cbranch_execz .LBB62_80
; %bb.79:
	v_mov_b32_e32 v21, 0
	v_add_u32_e32 v10, v10, v14
	v_mov_b32_e32 v22, v21
	v_mov_b32_e32 v23, v21
	;; [unrolled: 1-line block ×3, first 2 shown]
	ds_write_b128 v10, v[21:24] offset:12672
                                        ; implicit-def: $vgpr10
.LBB62_80:
	s_andn2_saveexec_b64 s[40:41], s[40:41]
	s_cbranch_execz .LBB62_82
; %bb.81:
	s_mul_i32 s44, s28, 24
	s_ashr_i32 s45, s44, 31
	s_lshl_b64 s[44:45], s[44:45], 4
	v_mov_b32_e32 v17, s45
	v_add_co_u32_e32 v21, vcc, s44, v7
	v_addc_co_u32_e32 v22, vcc, v8, v17, vcc
	flat_load_dwordx4 v[21:24], v[21:22]
	s_movk_i32 s25, 0x3180
	v_add3_u32 v10, v10, v14, s25
	s_waitcnt vmcnt(0) lgkmcnt(0)
	ds_write2_b64 v10, v[21:22], v[23:24] offset1:1
.LBB62_82:
	s_or_b64 exec, exec, s[40:41]
	v_add_co_u32_e32 v7, vcc, v7, v14
	v_addc_co_u32_e32 v8, vcc, 0, v8, vcc
	v_mov_b32_e32 v10, s39
	v_subrev_co_u32_e32 v7, vcc, s38, v7
	v_subb_co_u32_e32 v8, vcc, v8, v10, vcc
	v_add_co_u32_e32 v7, vcc, 0x210, v7
	v_addc_co_u32_e32 v8, vcc, 0, v8, vcc
	v_cndmask_b32_e64 v12, v8, v12, s[18:19]
	v_cndmask_b32_e64 v11, v7, v11, s[18:19]
.LBB62_83:
	v_mul_u32_u24_e32 v7, 0x840, v13
	v_add_u32_e32 v17, 0x4700, v9
	v_mul_u32_u24_e32 v22, 0x210, v18
	s_mov_b64 s[18:19], 0
	s_waitcnt lgkmcnt(0)
	s_barrier
                                        ; implicit-def: $vgpr23
	s_and_saveexec_b64 s[38:39], s[8:9]
	s_xor_b64 s[8:9], exec, s[38:39]
	s_cbranch_execz .LBB62_87
; %bb.84:
	v_cmp_eq_u32_e32 vcc, v15, v1
                                        ; implicit-def: $vgpr23
	s_and_saveexec_b64 s[38:39], vcc
	s_xor_b64 s[38:39], exec, s[38:39]
; %bb.85:
	s_mov_b64 s[18:19], exec
	v_add_u32_e32 v23, v14, v16
; %bb.86:
	s_or_b64 exec, exec, s[38:39]
	s_and_b64 s[18:19], s[18:19], exec
.LBB62_87:
	s_or_saveexec_b64 s[8:9], s[8:9]
	v_mov_b32_e32 v9, 0
	v_mov_b32_e32 v10, 0
	v_add_u32_e32 v21, v14, v7
	s_xor_b64 exec, exec, s[8:9]
	s_cbranch_execz .LBB62_89
; %bb.88:
	ds_read_b128 v[7:10], v21
	v_lshl_add_u32 v23, v15, 4, v46
	s_or_b64 s[18:19], s[18:19], exec
	s_waitcnt lgkmcnt(0)
	v_xor_b32_e32 v10, 0x80000000, v10
	ds_write_b64 v23, v[7:8]
.LBB62_89:
	s_or_b64 exec, exec, s[8:9]
	s_and_saveexec_b64 s[8:9], s[18:19]
; %bb.90:
	ds_write_b64 v23, v[9:10] offset:8
; %bb.91:
	s_or_b64 exec, exec, s[8:9]
	s_mov_b64 s[8:9], 0
                                        ; implicit-def: $vgpr23
	s_and_saveexec_b64 s[18:19], s[10:11]
	s_xor_b64 s[10:11], exec, s[18:19]
	s_cbranch_execz .LBB62_95
; %bb.92:
	v_cmp_eq_u32_e32 vcc, v18, v1
                                        ; implicit-def: $vgpr23
	s_and_saveexec_b64 s[18:19], vcc
; %bb.93:
	s_mov_b64 s[8:9], exec
	v_add_u32_e32 v23, v14, v16
; %bb.94:
	s_or_b64 exec, exec, s[18:19]
	s_and_b64 s[8:9], s[8:9], exec
.LBB62_95:
	s_or_saveexec_b64 s[10:11], s[10:11]
	v_mov_b32_e32 v9, 0
	v_mov_b32_e32 v10, 0
	v_add_u32_e32 v18, v14, v22
	s_xor_b64 exec, exec, s[10:11]
	s_cbranch_execz .LBB62_97
; %bb.96:
	ds_read_b128 v[7:10], v18
	v_lshl_add_u32 v22, v15, 4, v46
	v_add_u32_e32 v23, 16, v22
	s_or_b64 s[8:9], s[8:9], exec
	s_waitcnt lgkmcnt(0)
	v_xor_b32_e32 v10, 0x80000000, v10
	ds_write_b64 v22, v[7:8] offset:16
.LBB62_97:
	s_or_b64 exec, exec, s[10:11]
	s_and_saveexec_b64 s[10:11], s[8:9]
; %bb.98:
	ds_write_b64 v23, v[9:10] offset:8
; %bb.99:
	s_or_b64 exec, exec, s[10:11]
	s_mov_b64 s[8:9], 0
                                        ; implicit-def: $vgpr22
	s_and_saveexec_b64 s[10:11], s[12:13]
	s_xor_b64 s[10:11], exec, s[10:11]
	s_cbranch_execz .LBB62_103
; %bb.100:
	v_cmp_eq_u32_e32 vcc, v19, v1
                                        ; implicit-def: $vgpr22
	s_and_saveexec_b64 s[12:13], vcc
; %bb.101:
	s_mov_b64 s[8:9], exec
	v_add_u32_e32 v22, v14, v16
; %bb.102:
	s_or_b64 exec, exec, s[12:13]
	s_and_b64 s[8:9], s[8:9], exec
.LBB62_103:
	s_or_saveexec_b64 s[10:11], s[10:11]
	v_mov_b32_e32 v9, 0
	v_mov_b32_e32 v10, 0
	s_xor_b64 exec, exec, s[10:11]
	s_cbranch_execz .LBB62_105
; %bb.104:
	ds_read_b128 v[7:10], v18 offset:528
	v_lshl_add_u32 v19, v15, 4, v46
	v_add_u32_e32 v22, 32, v19
	s_or_b64 s[8:9], s[8:9], exec
	s_waitcnt lgkmcnt(0)
	v_xor_b32_e32 v10, 0x80000000, v10
	ds_write_b64 v19, v[7:8] offset:32
.LBB62_105:
	s_or_b64 exec, exec, s[10:11]
	s_and_saveexec_b64 s[10:11], s[8:9]
; %bb.106:
	ds_write_b64 v22, v[9:10] offset:8
; %bb.107:
	s_or_b64 exec, exec, s[10:11]
	s_mov_b64 s[8:9], 0
                                        ; implicit-def: $vgpr19
	s_and_saveexec_b64 s[10:11], s[14:15]
	s_xor_b64 s[10:11], exec, s[10:11]
	s_cbranch_execz .LBB62_111
; %bb.108:
	v_cmp_eq_u32_e32 vcc, v20, v1
                                        ; implicit-def: $vgpr19
	s_and_saveexec_b64 s[12:13], vcc
; %bb.109:
	s_mov_b64 s[8:9], exec
	v_add_u32_e32 v19, v14, v16
; %bb.110:
	s_or_b64 exec, exec, s[12:13]
	s_and_b64 s[8:9], s[8:9], exec
.LBB62_111:
	s_or_saveexec_b64 s[10:11], s[10:11]
	v_mov_b32_e32 v9, 0
	v_mov_b32_e32 v10, 0
	s_xor_b64 exec, exec, s[10:11]
	s_cbranch_execz .LBB62_113
; %bb.112:
	ds_read_b128 v[7:10], v18 offset:1056
	v_lshl_add_u32 v16, v15, 4, v46
	v_add_u32_e32 v19, 48, v16
	s_or_b64 s[8:9], s[8:9], exec
	s_waitcnt lgkmcnt(0)
	v_xor_b32_e32 v10, 0x80000000, v10
	ds_write_b64 v16, v[7:8] offset:48
.LBB62_113:
	s_or_b64 exec, exec, s[10:11]
	s_and_saveexec_b64 s[10:11], s[8:9]
; %bb.114:
	ds_write_b64 v19, v[9:10] offset:8
; %bb.115:
	s_or_b64 exec, exec, s[10:11]
	s_waitcnt lgkmcnt(0)
	s_barrier
	ds_read_b128 v[7:10], v21
	ds_read_b128 v[19:22], v17 offset:512
	ds_read_b128 v[23:26], v17 offset:528
	;; [unrolled: 1-line block ×3, first 2 shown]
	ds_read_b128 v[31:34], v18
	ds_read_b128 v[35:38], v17 offset:544
	ds_read_b128 v[48:51], v18 offset:528
	v_cmp_eq_u32_e64 s[8:9], 1, v13
	s_waitcnt lgkmcnt(5)
	v_mul_f64 v[43:44], v[21:22], v[9:10]
	v_mul_f64 v[9:10], v[19:20], v[9:10]
	s_waitcnt lgkmcnt(2)
	v_mul_f64 v[52:53], v[25:26], v[33:34]
	v_mul_f64 v[33:34], v[23:24], v[33:34]
	v_fma_f64 v[18:19], v[19:20], v[7:8], -v[43:44]
	v_fma_f64 v[20:21], v[21:22], v[7:8], v[9:10]
	s_waitcnt lgkmcnt(0)
	v_mul_f64 v[43:44], v[37:38], v[50:51]
	v_mul_f64 v[50:51], v[35:36], v[50:51]
	v_fma_f64 v[22:23], v[23:24], v[31:32], -v[52:53]
	v_fma_f64 v[24:25], v[25:26], v[31:32], v[33:34]
	ds_read_b128 v[7:10], v17 offset:560
	s_waitcnt lgkmcnt(0)
	v_add_f64 v[18:19], v[18:19], 0
	v_add_f64 v[20:21], v[20:21], 0
	v_fma_f64 v[33:34], v[35:36], v[48:49], -v[43:44]
	v_mul_f64 v[31:32], v[9:10], v[29:30]
	v_mul_f64 v[29:30], v[7:8], v[29:30]
	v_fma_f64 v[35:36], v[37:38], v[48:49], v[50:51]
	s_barrier
	v_add_f64 v[18:19], v[18:19], v[22:23]
	v_add_f64 v[20:21], v[20:21], v[24:25]
	v_fma_f64 v[7:8], v[7:8], v[27:28], -v[31:32]
	v_fma_f64 v[9:10], v[9:10], v[27:28], v[29:30]
	v_add_f64 v[18:19], v[18:19], v[33:34]
	v_add_f64 v[20:21], v[20:21], v[35:36]
	;; [unrolled: 1-line block ×4, first 2 shown]
	ds_write_b128 v47, v[7:10]
	s_waitcnt lgkmcnt(0)
	s_barrier
	s_and_saveexec_b64 s[10:11], s[8:9]
	s_cbranch_execz .LBB62_117
; %bb.116:
	ds_read_b128 v[3:6], v46
	ds_read_b128 v[7:10], v46 offset:16
	s_waitcnt lgkmcnt(0)
	v_add_f64 v[18:19], v[7:8], v[3:4]
	v_add_f64 v[20:21], v[9:10], v[5:6]
	ds_read_b128 v[3:6], v46 offset:32
	ds_read_b128 v[7:10], v46 offset:48
	s_waitcnt lgkmcnt(1)
	v_add_f64 v[3:4], v[18:19], v[3:4]
	v_add_f64 v[5:6], v[20:21], v[5:6]
	s_waitcnt lgkmcnt(0)
	v_add_f64 v[18:19], v[3:4], v[7:8]
	v_add_f64 v[20:21], v[5:6], v[9:10]
	ds_read_b128 v[3:6], v46 offset:64
	ds_read_b128 v[7:10], v46 offset:80
	s_waitcnt lgkmcnt(1)
	v_add_f64 v[3:4], v[18:19], v[3:4]
	v_add_f64 v[5:6], v[20:21], v[5:6]
	;; [unrolled: 8-line block ×3, first 2 shown]
	s_waitcnt lgkmcnt(0)
	v_add_f64 v[3:4], v[3:4], v[7:8]
	v_add_f64 v[5:6], v[5:6], v[9:10]
.LBB62_117:
	s_or_b64 exec, exec, s[10:11]
	v_mov_b32_e32 v7, s37
	v_subrev_co_u32_e64 v43, s[10:11], s36, v11
	s_and_b64 vcc, exec, s[16:17]
	v_subb_co_u32_e64 v44, s[10:11], v12, v7, s[10:11]
	s_barrier
	s_cbranch_vccnz .LBB62_119
; %bb.118:
	flat_load_dwordx4 v[7:10], v[43:44]
	s_lshl_b32 s10, s28, 3
	s_ashr_i32 s11, s10, 31
	s_movk_i32 s12, 0x210
	s_lshl_b64 s[10:11], s[10:11], 4
	v_mad_u32_u24 v11, v13, s12, v14
	v_mov_b32_e32 v12, s11
	v_add_co_u32_e32 v18, vcc, s10, v43
	v_addc_co_u32_e32 v19, vcc, v44, v12, vcc
	s_ashr_i32 s29, s28, 31
	s_lshl_b64 s[10:11], s[28:29], 7
	v_mov_b32_e32 v16, s11
	s_waitcnt vmcnt(0) lgkmcnt(0)
	ds_write2_b64 v11, v[7:8], v[9:10] offset1:1
	flat_load_dwordx4 v[9:12], v[18:19]
	v_mov_b32_e32 v7, 0x1080
	v_mad_u32_u24 v8, v13, s12, v7
	v_add_u32_e32 v7, v14, v8
	v_add_co_u32_e32 v18, vcc, s10, v18
	v_addc_co_u32_e32 v19, vcc, v19, v16, vcc
	s_waitcnt vmcnt(0) lgkmcnt(0)
	ds_write2_b64 v7, v[9:10], v[11:12] offset1:1
	flat_load_dwordx4 v[9:12], v[18:19]
	v_mov_b32_e32 v7, 0x2100
	v_mad_u32_u24 v7, v13, s12, v7
	v_add_u32_e32 v20, v14, v7
	v_add_co_u32_e32 v18, vcc, s10, v18
	v_addc_co_u32_e32 v19, vcc, v19, v16, vcc
	v_mov_b32_e32 v16, 0x3180
	v_mad_u32_u24 v16, v13, s12, v16
	v_add_u32_e32 v22, v14, v16
	s_waitcnt vmcnt(0) lgkmcnt(0)
	ds_write2_b64 v20, v[9:10], v[11:12] offset1:1
	flat_load_dwordx4 v[18:21], v[18:19]
	v_mul_u32_u24_e32 v11, 0x210, v13
	v_add_u32_e32 v10, 8, v13
	v_add_u32_e32 v9, 16, v13
	;; [unrolled: 1-line block ×3, first 2 shown]
	s_waitcnt vmcnt(0) lgkmcnt(0)
	ds_write2_b64 v22, v[18:19], v[20:21] offset1:1
	s_cbranch_execz .LBB62_120
	s_branch .LBB62_137
.LBB62_119:
                                        ; implicit-def: $vgpr11
                                        ; implicit-def: $vgpr10
                                        ; implicit-def: $vgpr8
                                        ; implicit-def: $vgpr9
                                        ; implicit-def: $vgpr7
                                        ; implicit-def: $vgpr12
                                        ; implicit-def: $vgpr16
.LBB62_120:
	v_or_b32_e32 v1, 32, v1
	v_lshlrev_b32_e32 v7, 4, v1
	v_sub_co_u32_e32 v7, vcc, v43, v7
	s_ashr_i32 s25, s24, 31
	v_subbrev_co_u32_e32 v8, vcc, 0, v44, vcc
	s_lshl_b64 s[12:13], s[24:25], 4
	v_mov_b32_e32 v9, s13
	v_add_co_u32_e32 v7, vcc, s12, v7
	v_addc_co_u32_e32 v8, vcc, v8, v9, vcc
	v_add_co_u32_e32 v7, vcc, -16, v7
	v_addc_co_u32_e32 v8, vcc, -1, v8, vcc
	v_cmp_gt_i32_e64 s[10:11], s24, v1
	s_movk_i32 s14, 0x210
	v_cndmask_b32_e64 v8, v8, v44, s[10:11]
	v_cndmask_b32_e64 v7, v7, v43, s[10:11]
	v_cmp_le_i32_e32 vcc, s24, v13
	v_mad_u32_u24 v1, v13, s14, v14
	s_and_saveexec_b64 s[14:15], vcc
	s_xor_b64 s[14:15], exec, s[14:15]
; %bb.121:
	v_mov_b32_e32 v9, 0
	v_mov_b32_e32 v10, v9
	v_mov_b32_e32 v11, v9
	v_mov_b32_e32 v12, v9
	ds_write_b128 v1, v[9:12]
                                        ; implicit-def: $vgpr1
; %bb.122:
	s_andn2_saveexec_b64 s[14:15], s[14:15]
	s_cbranch_execz .LBB62_124
; %bb.123:
	flat_load_dwordx4 v[9:12], v[7:8]
	s_waitcnt vmcnt(0) lgkmcnt(0)
	ds_write2_b64 v1, v[9:10], v[11:12] offset1:1
.LBB62_124:
	s_or_b64 exec, exec, s[14:15]
	v_add_u32_e32 v10, 8, v13
	v_mul_u32_u24_e32 v11, 0x210, v13
	v_cmp_le_i32_e32 vcc, s24, v10
	s_and_saveexec_b64 s[14:15], vcc
	s_xor_b64 s[14:15], exec, s[14:15]
	s_cbranch_execz .LBB62_126
; %bb.125:
	v_mov_b32_e32 v18, 0
	v_add_u32_e32 v1, v11, v14
	v_mov_b32_e32 v19, v18
	v_mov_b32_e32 v20, v18
	;; [unrolled: 1-line block ×3, first 2 shown]
	ds_write_b128 v1, v[18:21] offset:4224
.LBB62_126:
	s_andn2_saveexec_b64 s[14:15], s[14:15]
	s_cbranch_execz .LBB62_128
; %bb.127:
	s_lshl_b32 s16, s28, 3
	s_ashr_i32 s17, s16, 31
	s_lshl_b64 s[16:17], s[16:17], 4
	v_mov_b32_e32 v1, s17
	v_add_co_u32_e32 v18, vcc, s16, v7
	v_addc_co_u32_e32 v19, vcc, v8, v1, vcc
	flat_load_dwordx4 v[18:21], v[18:19]
	s_movk_i32 s16, 0x1080
	v_add3_u32 v1, v11, v14, s16
	s_waitcnt vmcnt(0) lgkmcnt(0)
	ds_write2_b64 v1, v[18:19], v[20:21] offset1:1
.LBB62_128:
	s_or_b64 exec, exec, s[14:15]
	v_add_u32_e32 v9, 16, v13
	v_cmp_le_i32_e32 vcc, s24, v9
	s_and_saveexec_b64 s[14:15], vcc
	s_xor_b64 s[14:15], exec, s[14:15]
	s_cbranch_execz .LBB62_130
; %bb.129:
	v_mov_b32_e32 v18, 0
	v_add_u32_e32 v1, v11, v14
	v_mov_b32_e32 v19, v18
	v_mov_b32_e32 v20, v18
	;; [unrolled: 1-line block ×3, first 2 shown]
	ds_write_b128 v1, v[18:21] offset:8448
.LBB62_130:
	s_andn2_saveexec_b64 s[14:15], s[14:15]
	s_cbranch_execz .LBB62_132
; %bb.131:
	s_lshl_b32 s16, s28, 4
	s_ashr_i32 s17, s16, 31
	s_lshl_b64 s[16:17], s[16:17], 4
	v_mov_b32_e32 v1, s17
	v_add_co_u32_e32 v18, vcc, s16, v7
	v_addc_co_u32_e32 v19, vcc, v8, v1, vcc
	flat_load_dwordx4 v[18:21], v[18:19]
	s_movk_i32 s16, 0x2100
	v_add3_u32 v1, v11, v14, s16
	s_waitcnt vmcnt(0) lgkmcnt(0)
	ds_write2_b64 v1, v[18:19], v[20:21] offset1:1
.LBB62_132:
	s_or_b64 exec, exec, s[14:15]
	v_add_u32_e32 v12, 24, v13
	v_cmp_le_i32_e32 vcc, s24, v12
                                        ; implicit-def: $vgpr16
	s_and_saveexec_b64 s[14:15], vcc
	s_xor_b64 s[14:15], exec, s[14:15]
	s_cbranch_execz .LBB62_134
; %bb.133:
	v_add_u32_e32 v16, 0x3180, v11
	v_mov_b32_e32 v18, 0
	v_add_u32_e32 v1, v14, v16
	v_mov_b32_e32 v19, v18
	v_mov_b32_e32 v20, v18
	;; [unrolled: 1-line block ×3, first 2 shown]
	ds_write_b128 v1, v[18:21]
.LBB62_134:
	s_andn2_saveexec_b64 s[14:15], s[14:15]
	s_cbranch_execz .LBB62_136
; %bb.135:
	s_mul_i32 s16, s28, 24
	s_ashr_i32 s17, s16, 31
	s_lshl_b64 s[16:17], s[16:17], 4
	v_mov_b32_e32 v1, s17
	v_add_co_u32_e32 v18, vcc, s16, v7
	v_addc_co_u32_e32 v19, vcc, v8, v1, vcc
	flat_load_dwordx4 v[18:21], v[18:19]
	v_add_u32_e32 v16, 0x3180, v11
	v_add_u32_e32 v1, v14, v16
	s_waitcnt vmcnt(0) lgkmcnt(0)
	ds_write2_b64 v1, v[18:19], v[20:21] offset1:1
.LBB62_136:
	s_or_b64 exec, exec, s[14:15]
	v_add_co_u32_e32 v1, vcc, v7, v14
	v_addc_co_u32_e32 v7, vcc, 0, v8, vcc
	v_mov_b32_e32 v8, s13
	v_subrev_co_u32_e32 v1, vcc, s12, v1
	v_subb_co_u32_e32 v7, vcc, v7, v8, vcc
	v_add_co_u32_e32 v1, vcc, 0x210, v1
	v_addc_co_u32_e32 v7, vcc, 0, v7, vcc
	v_cndmask_b32_e64 v44, v7, v44, s[10:11]
	v_cndmask_b32_e64 v43, v1, v43, s[10:11]
	v_add_u32_e32 v8, 0x1080, v11
	v_add_u32_e32 v7, 0x2100, v11
.LBB62_137:
	v_add_u32_e32 v1, v14, v11
	v_lshlrev_b32_e32 v11, 4, v13
	s_waitcnt lgkmcnt(0)
	s_barrier
	ds_read_b128 v[18:21], v11 offset:18176
	ds_read_b128 v[22:25], v1
	v_add_u32_e32 v1, v14, v8
	v_lshlrev_b32_e32 v8, 4, v10
	ds_read_b128 v[26:29], v8 offset:18176
	ds_read_b128 v[30:33], v1
	v_add_u32_e32 v1, v14, v7
	s_waitcnt lgkmcnt(2)
	v_mul_f64 v[34:35], v[20:21], v[24:25]
	v_mul_f64 v[24:25], v[18:19], v[24:25]
	v_lshlrev_b32_e32 v7, 4, v9
	s_waitcnt lgkmcnt(0)
	v_mul_f64 v[48:49], v[28:29], v[32:33]
	v_mul_f64 v[32:33], v[26:27], v[32:33]
	v_lshlrev_b32_e32 v11, 4, v12
	v_fma_f64 v[18:19], v[18:19], v[22:23], -v[34:35]
	v_fma_f64 v[22:23], v[20:21], v[22:23], v[24:25]
	ds_read_b128 v[7:10], v7 offset:18176
	ds_read_b128 v[34:37], v1
	v_fma_f64 v[26:27], v[26:27], v[30:31], -v[48:49]
	v_fma_f64 v[28:29], v[28:29], v[30:31], v[32:33]
	v_add_u32_e32 v1, v14, v16
	s_waitcnt lgkmcnt(0)
	v_mul_f64 v[48:49], v[9:10], v[36:37]
	v_add_f64 v[24:25], v[18:19], 0
	v_mul_f64 v[36:37], v[7:8], v[36:37]
	v_add_f64 v[22:23], v[22:23], 0
	ds_read_b128 v[11:14], v11 offset:18176
	ds_read2_b64 v[18:21], v1 offset1:1
	v_lshl_add_u32 v1, v15, 4, v46
	v_fma_f64 v[7:8], v[7:8], v[34:35], -v[48:49]
	v_add_f64 v[24:25], v[24:25], v[26:27]
	s_waitcnt lgkmcnt(0)
	v_mul_f64 v[26:27], v[13:14], v[20:21]
	v_fma_f64 v[9:10], v[9:10], v[34:35], v[36:37]
	v_mul_f64 v[20:21], v[11:12], v[20:21]
	v_add_f64 v[22:23], v[22:23], v[28:29]
	v_add_f64 v[29:30], v[24:25], v[7:8]
	v_fma_f64 v[27:28], v[11:12], v[18:19], -v[26:27]
	v_fma_f64 v[18:19], v[13:14], v[18:19], v[20:21]
	v_add_f64 v[20:21], v[22:23], v[9:10]
	ds_read_b128 v[31:34], v1
	ds_read_b128 v[23:26], v1 offset:16
	ds_read_b128 v[11:14], v1 offset:32
	;; [unrolled: 1-line block ×3, first 2 shown]
	v_add_f64 v[48:49], v[29:30], v[27:28]
	v_add_f64 v[50:51], v[20:21], v[18:19]
	ds_read_b128 v[35:38], v17 offset:512
	ds_read_b128 v[27:30], v17 offset:528
	;; [unrolled: 1-line block ×4, first 2 shown]
	s_waitcnt lgkmcnt(0)
	s_barrier
	ds_write_b128 v47, v[48:51]
	s_waitcnt lgkmcnt(0)
	s_barrier
	s_and_saveexec_b64 s[10:11], s[8:9]
	s_cbranch_execz .LBB62_139
; %bb.138:
	ds_read_b128 v[48:51], v46
	ds_read_b128 v[52:55], v46 offset:16
	s_waitcnt lgkmcnt(1)
	v_add_f64 v[3:4], v[3:4], v[48:49]
	v_add_f64 v[5:6], v[5:6], v[50:51]
	s_waitcnt lgkmcnt(0)
	v_add_f64 v[52:53], v[3:4], v[52:53]
	v_add_f64 v[54:55], v[5:6], v[54:55]
	ds_read_b128 v[3:6], v46 offset:32
	ds_read_b128 v[48:51], v46 offset:48
	s_waitcnt lgkmcnt(1)
	v_add_f64 v[3:4], v[52:53], v[3:4]
	v_add_f64 v[5:6], v[54:55], v[5:6]
	s_waitcnt lgkmcnt(0)
	v_add_f64 v[52:53], v[3:4], v[48:49]
	v_add_f64 v[54:55], v[5:6], v[50:51]
	ds_read_b128 v[3:6], v46 offset:64
	;; [unrolled: 8-line block ×3, first 2 shown]
	ds_read_b128 v[48:51], v46 offset:112
	s_waitcnt lgkmcnt(1)
	v_add_f64 v[3:4], v[52:53], v[3:4]
	v_add_f64 v[5:6], v[54:55], v[5:6]
	s_waitcnt lgkmcnt(0)
	v_add_f64 v[3:4], v[3:4], v[48:49]
	v_add_f64 v[5:6], v[5:6], v[50:51]
.LBB62_139:
	s_or_b64 exec, exec, s[10:11]
	v_mul_f64 v[48:49], v[33:34], v[37:38]
	v_mul_f64 v[33:34], v[33:34], v[35:36]
	;; [unrolled: 1-line block ×4, first 2 shown]
	s_barrier
	v_fma_f64 v[35:36], v[31:32], v[35:36], v[48:49]
	v_fma_f64 v[31:32], v[31:32], v[37:38], -v[33:34]
	v_mul_f64 v[33:34], v[13:14], v[21:22]
	v_mul_f64 v[13:14], v[13:14], v[19:20]
	v_fma_f64 v[27:28], v[23:24], v[27:28], v[50:51]
	v_fma_f64 v[23:24], v[23:24], v[29:30], -v[25:26]
	v_add_f64 v[25:26], v[35:36], 0
	v_add_f64 v[29:30], v[31:32], 0
	v_mul_f64 v[31:32], v[9:10], v[17:18]
	v_mul_f64 v[9:10], v[9:10], v[15:16]
	v_fma_f64 v[19:20], v[11:12], v[19:20], v[33:34]
	v_fma_f64 v[11:12], v[11:12], v[21:22], -v[13:14]
	v_add_f64 v[13:14], v[25:26], v[27:28]
	v_add_f64 v[21:22], v[29:30], v[23:24]
	v_fma_f64 v[15:16], v[7:8], v[15:16], v[31:32]
	v_fma_f64 v[9:10], v[7:8], v[17:18], -v[9:10]
	v_add_f64 v[7:8], v[13:14], v[19:20]
	v_add_f64 v[11:12], v[21:22], v[11:12]
	;; [unrolled: 1-line block ×4, first 2 shown]
	ds_write_b128 v47, v[7:10]
	s_waitcnt lgkmcnt(0)
	s_barrier
	s_and_saveexec_b64 s[8:9], s[20:21]
	s_cbranch_execz .LBB62_141
; %bb.140:
	ds_read_b128 v[7:10], v46
	ds_read_b128 v[11:14], v46 offset:16
	s_waitcnt lgkmcnt(1)
	v_add_f64 v[3:4], v[3:4], v[7:8]
	v_add_f64 v[5:6], v[5:6], v[9:10]
	s_waitcnt lgkmcnt(0)
	v_add_f64 v[11:12], v[3:4], v[11:12]
	v_add_f64 v[13:14], v[5:6], v[13:14]
	ds_read_b128 v[3:6], v46 offset:32
	ds_read_b128 v[7:10], v46 offset:48
	s_waitcnt lgkmcnt(1)
	v_add_f64 v[3:4], v[11:12], v[3:4]
	v_add_f64 v[5:6], v[13:14], v[5:6]
	s_waitcnt lgkmcnt(0)
	v_add_f64 v[11:12], v[3:4], v[7:8]
	v_add_f64 v[13:14], v[5:6], v[9:10]
	ds_read_b128 v[3:6], v46 offset:64
	;; [unrolled: 8-line block ×3, first 2 shown]
	ds_read_b128 v[7:10], v46 offset:112
	s_waitcnt lgkmcnt(1)
	v_add_f64 v[3:4], v[11:12], v[3:4]
	v_add_f64 v[5:6], v[13:14], v[5:6]
	s_waitcnt lgkmcnt(0)
	v_add_f64 v[3:4], v[3:4], v[7:8]
	v_add_f64 v[5:6], v[5:6], v[9:10]
.LBB62_141:
	s_or_b64 exec, exec, s[8:9]
	s_load_dwordx2 s[4:5], s[4:5], 0x78
	s_mul_hi_u32 s8, s23, s22
	s_mul_i32 s42, s42, s22
	s_add_i32 s8, s8, s42
	s_mul_i32 s10, s23, s22
	s_mul_i32 s8, s8, s33
	s_mul_hi_u32 s9, s10, s33
	s_add_i32 s9, s9, s8
	s_mul_i32 s8, s10, s33
	s_lshl_b64 s[8:9], s[8:9], 4
	s_waitcnt lgkmcnt(0)
	s_add_u32 s8, s4, s8
	s_mul_i32 s4, s23, s6
	s_addc_u32 s9, s5, s9
	s_ashr_i32 s5, s4, 31
	s_lshl_b64 s[4:5], s[4:5], 4
	s_add_u32 s16, s8, s4
	v_cmp_le_i32_e32 vcc, s24, v0
	s_addc_u32 s17, s9, s5
	s_and_b64 s[4:5], s[34:35], vcc
	s_cmp_lt_i32 s6, 1
	v_lshlrev_b32_e32 v146, 4, v0
	s_barrier
	s_cbranch_scc1 .LBB62_148
; %bb.142:
	s_mul_i32 s8, s7, s26
	s_ashr_i32 s9, s8, 31
	s_lshl_b64 s[8:9], s[8:9], 4
	v_mov_b32_e32 v1, s9
	v_subrev_co_u32_e32 v147, vcc, s8, v39
	v_subb_co_u32_e32 v148, vcc, v40, v1, vcc
	v_mov_b32_e32 v1, s31
	v_subrev_co_u32_e32 v7, vcc, s30, v43
	v_mul_lo_u32 v8, v2, s28
	v_subb_co_u32_e32 v1, vcc, v44, v1, vcc
	v_add_co_u32_e32 v7, vcc, 0xfffffe00, v7
	v_addc_co_u32_e32 v1, vcc, -1, v1, vcc
	v_sub_co_u32_e32 v11, vcc, v7, v41
	v_lshl_add_u32 v7, v8, 2, v0
	v_ashrrev_i32_e32 v8, 31, v7
	v_lshlrev_b64 v[7:8], 4, v[7:8]
	v_subb_co_u32_e32 v1, vcc, v1, v42, vcc
	v_add_co_u32_e32 v7, vcc, v11, v7
	v_addc_co_u32_e32 v8, vcc, v1, v8, vcc
	v_sub_co_u32_e32 v11, vcc, v7, v146
	s_ashr_i32 s25, s24, 31
	v_subbrev_co_u32_e32 v12, vcc, 0, v8, vcc
	s_lshl_b64 s[8:9], s[24:25], 4
	v_mov_b32_e32 v13, s9
	v_add_co_u32_e32 v11, vcc, s8, v11
	v_addc_co_u32_e32 v12, vcc, v12, v13, vcc
	v_add_co_u32_e32 v11, vcc, -16, v11
	v_addc_co_u32_e32 v12, vcc, -1, v12, vcc
	v_lshrrev_b32_e32 v9, 4, v45
	v_cndmask_b32_e64 v12, v8, v12, s[4:5]
	v_cndmask_b32_e64 v11, v7, v11, s[4:5]
	v_mov_b32_e32 v7, 0x4300
	s_movk_i32 s8, 0x10c0
	v_and_b32_e32 v8, 48, v0
	v_and_b32_e32 v10, 15, v0
	v_lshl_add_u32 v150, v2, 6, v7
	v_mad_u32_u24 v152, v2, s8, v146
	v_lshlrev_b32_e32 v7, 6, v9
	s_movk_i32 s8, 0x430
	v_lshlrev_b32_e32 v8, 4, v8
	s_ashr_i32 s29, s28, 31
	v_mad_u32_u24 v153, v10, s8, v7
	v_mul_i32_i24_e32 v7, 0xffffffd0, v9
	v_mad_u32_u24 v154, v10, s8, v8
	v_or_b32_e32 v8, 0xf0, v146
	s_lshl_b64 s[10:11], s[28:29], 4
	s_mul_hi_i32 s18, s28, 0xd0
	v_mov_b32_e32 v1, 0
	s_lshl_b32 s7, s7, 6
	v_add_u32_e32 v149, 0x4300, v146
	v_add_u32_e32 v151, 0x4700, v146
	v_cmp_gt_u32_e32 vcc, 64, v45
	v_mad_u32_u24 v155, v10, s8, v8
	s_mul_i32 s19, s28, 0xd0
	s_mov_b32 s12, 0
	v_mov_b32_e32 v156, s11
	v_mov_b32_e32 v157, s18
	v_add_u32_e32 v158, v153, v7
	s_branch .LBB62_144
.LBB62_143:                             ;   in Loop: Header=BB62_144 Depth=1
	s_or_b64 exec, exec, s[14:15]
	v_mul_f64 v[87:88], v[9:10], v[37:38]
	v_mul_f64 v[37:38], v[7:8], v[37:38]
	;; [unrolled: 1-line block ×4, first 2 shown]
	s_add_i32 s6, s6, -1
	s_add_i32 s12, s12, s7
	v_add_u32_e32 v0, 64, v0
	s_cmp_eq_u32 s6, 0
	v_fma_f64 v[7:8], v[7:8], v[35:36], -v[87:88]
	v_fma_f64 v[9:10], v[9:10], v[35:36], v[37:38]
	v_mul_f64 v[35:36], v[17:18], v[29:30]
	v_mul_f64 v[29:30], v[15:16], v[29:30]
	v_fma_f64 v[19:20], v[19:20], v[31:32], -v[89:90]
	v_fma_f64 v[21:22], v[21:22], v[31:32], v[33:34]
	s_waitcnt vmcnt(0)
	s_barrier
	v_add_f64 v[3:4], v[3:4], v[7:8]
	v_add_f64 v[5:6], v[5:6], v[9:10]
	v_mul_f64 v[7:8], v[13:14], v[25:26]
	v_mul_f64 v[9:10], v[11:12], v[25:26]
	v_fma_f64 v[15:16], v[15:16], v[27:28], -v[35:36]
	v_fma_f64 v[17:18], v[17:18], v[27:28], v[29:30]
	v_add_f64 v[3:4], v[3:4], v[19:20]
	v_add_f64 v[5:6], v[5:6], v[21:22]
	v_mul_f64 v[19:20], v[49:50], v[85:86]
	v_mul_f64 v[21:22], v[47:48], v[85:86]
	v_fma_f64 v[7:8], v[11:12], v[23:24], -v[7:8]
	v_fma_f64 v[9:10], v[13:14], v[23:24], v[9:10]
	v_mul_f64 v[11:12], v[53:54], v[81:82]
	v_mul_f64 v[13:14], v[51:52], v[81:82]
	v_add_f64 v[3:4], v[3:4], v[15:16]
	v_add_f64 v[5:6], v[5:6], v[17:18]
	v_fma_f64 v[15:16], v[47:48], v[83:84], -v[19:20]
	v_fma_f64 v[17:18], v[49:50], v[83:84], v[21:22]
	v_fma_f64 v[11:12], v[51:52], v[79:80], -v[11:12]
	v_fma_f64 v[13:14], v[53:54], v[79:80], v[13:14]
	v_add_f64 v[3:4], v[3:4], v[7:8]
	v_add_f64 v[5:6], v[5:6], v[9:10]
	v_mul_f64 v[7:8], v[45:46], v[77:78]
	v_mul_f64 v[9:10], v[43:44], v[77:78]
	v_add_f64 v[3:4], v[3:4], v[15:16]
	v_add_f64 v[5:6], v[5:6], v[17:18]
	v_mul_f64 v[15:16], v[41:42], v[73:74]
	v_mul_f64 v[17:18], v[39:40], v[73:74]
	v_fma_f64 v[7:8], v[43:44], v[75:76], -v[7:8]
	v_fma_f64 v[9:10], v[45:46], v[75:76], v[9:10]
	v_add_f64 v[3:4], v[3:4], v[11:12]
	v_add_f64 v[5:6], v[5:6], v[13:14]
	v_mul_f64 v[11:12], v[65:66], v[125:126]
	v_mul_f64 v[13:14], v[63:64], v[125:126]
	v_fma_f64 v[15:16], v[39:40], v[71:72], -v[15:16]
	v_fma_f64 v[17:18], v[41:42], v[71:72], v[17:18]
	v_add_f64 v[3:4], v[3:4], v[7:8]
	v_add_f64 v[5:6], v[5:6], v[9:10]
	v_mul_f64 v[7:8], v[61:62], v[121:122]
	v_mul_f64 v[9:10], v[59:60], v[121:122]
	v_fma_f64 v[11:12], v[63:64], v[123:124], -v[11:12]
	v_fma_f64 v[13:14], v[65:66], v[123:124], v[13:14]
	v_add_f64 v[3:4], v[3:4], v[15:16]
	v_add_f64 v[5:6], v[5:6], v[17:18]
	v_mul_f64 v[15:16], v[57:58], v[117:118]
	v_mul_f64 v[17:18], v[55:56], v[117:118]
	v_fma_f64 v[7:8], v[59:60], v[119:120], -v[7:8]
	v_fma_f64 v[9:10], v[61:62], v[119:120], v[9:10]
	v_add_f64 v[3:4], v[3:4], v[11:12]
	v_add_f64 v[5:6], v[5:6], v[13:14]
	v_mul_f64 v[11:12], v[69:70], v[113:114]
	v_mul_f64 v[13:14], v[67:68], v[113:114]
	v_fma_f64 v[15:16], v[55:56], v[115:116], -v[15:16]
	v_fma_f64 v[17:18], v[57:58], v[115:116], v[17:18]
	v_add_f64 v[3:4], v[3:4], v[7:8]
	v_add_f64 v[5:6], v[5:6], v[9:10]
	v_mul_f64 v[7:8], v[101:102], v[141:142]
	v_mul_f64 v[9:10], v[99:100], v[141:142]
	v_fma_f64 v[11:12], v[67:68], v[111:112], -v[11:12]
	v_fma_f64 v[13:14], v[69:70], v[111:112], v[13:14]
	v_add_f64 v[3:4], v[3:4], v[15:16]
	v_add_f64 v[5:6], v[5:6], v[17:18]
	v_mul_f64 v[15:16], v[97:98], v[137:138]
	v_mul_f64 v[17:18], v[95:96], v[137:138]
	v_fma_f64 v[7:8], v[99:100], v[139:140], -v[7:8]
	v_fma_f64 v[9:10], v[101:102], v[139:140], v[9:10]
	v_add_f64 v[3:4], v[3:4], v[11:12]
	v_add_f64 v[5:6], v[5:6], v[13:14]
	v_mul_f64 v[11:12], v[105:106], v[133:134]
	v_mul_f64 v[13:14], v[103:104], v[133:134]
	v_fma_f64 v[15:16], v[95:96], v[135:136], -v[15:16]
	v_fma_f64 v[17:18], v[97:98], v[135:136], v[17:18]
	v_add_f64 v[3:4], v[3:4], v[7:8]
	v_add_f64 v[5:6], v[5:6], v[9:10]
	v_mul_f64 v[7:8], v[109:110], v[129:130]
	v_mul_f64 v[9:10], v[107:108], v[129:130]
	v_fma_f64 v[11:12], v[103:104], v[131:132], -v[11:12]
	v_fma_f64 v[13:14], v[105:106], v[131:132], v[13:14]
	v_add_f64 v[3:4], v[3:4], v[15:16]
	v_add_f64 v[5:6], v[5:6], v[17:18]
	v_fma_f64 v[7:8], v[107:108], v[127:128], -v[7:8]
	v_fma_f64 v[9:10], v[109:110], v[127:128], v[9:10]
	v_add_f64 v[3:4], v[3:4], v[11:12]
	v_add_f64 v[5:6], v[5:6], v[13:14]
	v_add_co_u32_e64 v11, s[8:9], s19, v144
	v_add_f64 v[3:4], v[3:4], v[7:8]
	v_add_f64 v[5:6], v[5:6], v[9:10]
	v_mov_b32_e32 v7, s18
	v_addc_co_u32_e64 v12, s[8:9], v145, v7, s[8:9]
	s_cbranch_scc1 .LBB62_148
.LBB62_144:                             ; =>This Inner Loop Header: Depth=1
	s_and_saveexec_b64 s[14:15], s[2:3]
	s_cbranch_execz .LBB62_146
; %bb.145:                              ;   in Loop: Header=BB62_144 Depth=1
	s_ashr_i32 s13, s12, 31
	s_lshl_b64 s[8:9], s[12:13], 4
	v_mov_b32_e32 v8, s9
	v_add_co_u32_e64 v7, s[8:9], s8, v147
	v_addc_co_u32_e64 v8, s[8:9], v148, v8, s[8:9]
	flat_load_dwordx4 v[7:10], v[7:8]
	s_waitcnt vmcnt(0) lgkmcnt(0)
	ds_write2_b64 v149, v[7:8], v[9:10] offset1:1
.LBB62_146:                             ;   in Loop: Header=BB62_144 Depth=1
	s_or_b64 exec, exec, s[14:15]
	s_waitcnt lgkmcnt(0)
	s_barrier
	flat_load_dwordx4 v[7:10], v[11:12]
	v_add_co_u32_e64 v11, s[8:9], s10, v11
	v_addc_co_u32_e64 v12, s[8:9], v12, v156, s[8:9]
	v_add_co_u32_e64 v13, s[8:9], s10, v11
	v_addc_co_u32_e64 v14, s[8:9], v12, v156, s[8:9]
	v_add_co_u32_e64 v43, s[8:9], s10, v13
	flat_load_dwordx4 v[19:22], v[11:12]
	flat_load_dwordx4 v[15:18], v[13:14]
	v_addc_co_u32_e64 v44, s[8:9], v14, v156, s[8:9]
	flat_load_dwordx4 v[11:14], v[43:44]
	ds_read_b128 v[39:42], v151
	ds_read_b128 v[35:38], v150
	ds_read_b128 v[31:34], v150 offset:16
	ds_read_b128 v[27:30], v150 offset:32
	;; [unrolled: 1-line block ×3, first 2 shown]
	v_add_co_u32_e64 v55, s[8:9], s19, v43
	v_addc_co_u32_e64 v56, s[8:9], v44, v157, s[8:9]
	v_add_co_u32_e64 v57, s[8:9], s10, v55
	v_addc_co_u32_e64 v58, s[8:9], v56, v156, s[8:9]
	s_waitcnt vmcnt(0) lgkmcnt(0)
	v_mul_f64 v[43:44], v[9:10], v[41:42]
	v_mul_f64 v[45:46], v[9:10], v[39:40]
	v_fma_f64 v[43:44], v[7:8], v[39:40], v[43:44]
	v_fma_f64 v[45:46], v[7:8], v[41:42], -v[45:46]
	v_mul_f64 v[47:48], v[21:22], v[41:42]
	v_mul_f64 v[49:50], v[21:22], v[39:40]
	;; [unrolled: 1-line block ×6, first 2 shown]
	v_fma_f64 v[47:48], v[19:20], v[39:40], v[47:48]
	v_fma_f64 v[49:50], v[19:20], v[41:42], -v[49:50]
	v_fma_f64 v[51:52], v[15:16], v[39:40], v[51:52]
	v_fma_f64 v[53:54], v[15:16], v[41:42], -v[53:54]
	;; [unrolled: 2-line block ×3, first 2 shown]
	v_add_co_u32_e64 v59, s[8:9], s10, v57
	v_addc_co_u32_e64 v60, s[8:9], v58, v156, s[8:9]
	ds_write_b128 v152, v[43:46]
	ds_write_b128 v152, v[47:50] offset:1072
	ds_write_b128 v152, v[51:54] offset:2144
	;; [unrolled: 1-line block ×3, first 2 shown]
	s_waitcnt lgkmcnt(0)
	s_barrier
	ds_read_b128 v[127:130], v153
	ds_read_b128 v[131:134], v153 offset:16
	ds_read_b128 v[91:94], v153 offset:32
	;; [unrolled: 1-line block ×3, first 2 shown]
	s_waitcnt lgkmcnt(0)
	s_barrier
	flat_load_dwordx4 v[47:50], v[55:56]
	flat_load_dwordx4 v[51:54], v[57:58]
	flat_load_dwordx4 v[43:46], v[59:60]
	v_add_co_u32_e64 v55, s[8:9], s10, v59
	v_addc_co_u32_e64 v56, s[8:9], v60, v156, s[8:9]
	flat_load_dwordx4 v[39:42], v[55:56]
	v_add_co_u32_e64 v95, s[8:9], s19, v55
	v_addc_co_u32_e64 v96, s[8:9], v56, v157, s[8:9]
	ds_read_b128 v[55:58], v151
	v_add_co_u32_e64 v97, s[8:9], s10, v95
	v_addc_co_u32_e64 v98, s[8:9], v96, v156, s[8:9]
	v_add_co_u32_e64 v99, s[8:9], s10, v97
	v_addc_co_u32_e64 v100, s[8:9], v98, v156, s[8:9]
	s_waitcnt vmcnt(0) lgkmcnt(0)
	v_mul_f64 v[59:60], v[49:50], v[57:58]
	v_mul_f64 v[61:62], v[49:50], v[55:56]
	;; [unrolled: 1-line block ×8, first 2 shown]
	v_fma_f64 v[59:60], v[47:48], v[55:56], v[59:60]
	v_fma_f64 v[61:62], v[47:48], v[57:58], -v[61:62]
	v_fma_f64 v[63:64], v[51:52], v[55:56], v[63:64]
	v_fma_f64 v[65:66], v[51:52], v[57:58], -v[65:66]
	;; [unrolled: 2-line block ×4, first 2 shown]
	ds_read_b128 v[83:86], v150 offset:256
	ds_read_b128 v[79:82], v150 offset:272
	;; [unrolled: 1-line block ×4, first 2 shown]
	ds_write_b128 v152, v[59:62]
	ds_write_b128 v152, v[63:66] offset:1072
	ds_write_b128 v152, v[67:70] offset:2144
	;; [unrolled: 1-line block ×3, first 2 shown]
	s_waitcnt lgkmcnt(0)
	s_barrier
	ds_read_b128 v[159:162], v153
	ds_read_b128 v[163:166], v153 offset:16
	ds_read_b128 v[167:170], v153 offset:32
	;; [unrolled: 1-line block ×3, first 2 shown]
	s_waitcnt lgkmcnt(0)
	s_barrier
	flat_load_dwordx4 v[63:66], v[95:96]
	flat_load_dwordx4 v[59:62], v[97:98]
	;; [unrolled: 1-line block ×3, first 2 shown]
	v_add_co_u32_e64 v95, s[8:9], s10, v99
	v_addc_co_u32_e64 v96, s[8:9], v100, v156, s[8:9]
	flat_load_dwordx4 v[67:70], v[95:96]
	v_add_co_u32_e64 v135, s[8:9], s19, v95
	v_addc_co_u32_e64 v136, s[8:9], v96, v157, s[8:9]
	ds_read_b128 v[95:98], v151
	v_add_co_u32_e64 v137, s[8:9], s10, v135
	v_addc_co_u32_e64 v138, s[8:9], v136, v156, s[8:9]
	v_add_co_u32_e64 v139, s[8:9], s10, v137
	v_addc_co_u32_e64 v140, s[8:9], v138, v156, s[8:9]
	;; [unrolled: 2-line block ×3, first 2 shown]
	v_add_f64 v[211:212], v[159:160], 0
	v_add_f64 v[163:164], v[211:212], v[163:164]
	;; [unrolled: 1-line block ×3, first 2 shown]
	s_waitcnt vmcnt(0) lgkmcnt(0)
	v_mul_f64 v[99:100], v[65:66], v[97:98]
	v_mul_f64 v[101:102], v[65:66], v[95:96]
	v_mul_f64 v[103:104], v[61:62], v[97:98]
	v_mul_f64 v[105:106], v[61:62], v[95:96]
	v_mul_f64 v[107:108], v[57:58], v[97:98]
	v_mul_f64 v[109:110], v[57:58], v[95:96]
	v_mul_f64 v[111:112], v[69:70], v[97:98]
	v_mul_f64 v[113:114], v[69:70], v[95:96]
	v_fma_f64 v[99:100], v[63:64], v[95:96], v[99:100]
	v_fma_f64 v[101:102], v[63:64], v[97:98], -v[101:102]
	v_fma_f64 v[103:104], v[59:60], v[95:96], v[103:104]
	v_fma_f64 v[105:106], v[59:60], v[97:98], -v[105:106]
	;; [unrolled: 2-line block ×4, first 2 shown]
	ds_read_b128 v[123:126], v150 offset:512
	ds_read_b128 v[119:122], v150 offset:528
	;; [unrolled: 1-line block ×4, first 2 shown]
	ds_write_b128 v152, v[99:102]
	ds_write_b128 v152, v[103:106] offset:1072
	ds_write_b128 v152, v[107:110] offset:2144
	;; [unrolled: 1-line block ×3, first 2 shown]
	s_waitcnt lgkmcnt(0)
	s_barrier
	ds_read_b128 v[175:178], v153
	ds_read_b128 v[179:182], v153 offset:16
	ds_read_b128 v[183:186], v153 offset:32
	ds_read_b128 v[187:190], v153 offset:48
	s_waitcnt lgkmcnt(0)
	s_barrier
	flat_load_dwordx4 v[99:102], v[135:136]
	flat_load_dwordx4 v[95:98], v[137:138]
	;; [unrolled: 1-line block ×4, first 2 shown]
	v_add_f64 v[135:136], v[127:128], 0
	v_add_f64 v[137:138], v[129:130], 0
	ds_read_b128 v[127:130], v151
	v_add_f64 v[175:176], v[175:176], 0
	v_add_f64 v[177:178], v[177:178], 0
	;; [unrolled: 1-line block ×9, first 2 shown]
	s_waitcnt vmcnt(0) lgkmcnt(0)
	v_mul_f64 v[131:132], v[101:102], v[129:130]
	v_mul_f64 v[133:134], v[101:102], v[127:128]
	;; [unrolled: 1-line block ×8, first 2 shown]
	v_fma_f64 v[191:192], v[99:100], v[127:128], v[131:132]
	v_fma_f64 v[193:194], v[99:100], v[129:130], -v[133:134]
	v_fma_f64 v[195:196], v[95:96], v[127:128], v[135:136]
	v_fma_f64 v[197:198], v[95:96], v[129:130], -v[137:138]
	;; [unrolled: 2-line block ×4, first 2 shown]
	ds_read_b128 v[139:142], v150 offset:768
	ds_read_b128 v[135:138], v150 offset:784
	;; [unrolled: 1-line block ×4, first 2 shown]
	ds_write_b128 v152, v[191:194]
	ds_write_b128 v152, v[195:198] offset:1072
	ds_write_b128 v152, v[199:202] offset:2144
	;; [unrolled: 1-line block ×3, first 2 shown]
	s_waitcnt lgkmcnt(0)
	s_barrier
	ds_read_b128 v[191:194], v153
	v_add_f64 v[195:196], v[161:162], 0
	ds_read_b128 v[159:162], v153 offset:16
	v_add_f64 v[197:198], v[207:208], v[91:92]
	ds_read_b128 v[91:94], v153 offset:32
	s_waitcnt lgkmcnt(2)
	v_add_f64 v[191:192], v[191:192], 0
	v_add_f64 v[193:194], v[193:194], 0
	;; [unrolled: 1-line block ×4, first 2 shown]
	s_waitcnt lgkmcnt(1)
	v_add_f64 v[181:182], v[191:192], v[159:160]
	v_add_f64 v[191:192], v[193:194], v[161:162]
	ds_read_b128 v[159:162], v153 offset:48
	s_waitcnt lgkmcnt(0)
	v_add_f64 v[165:166], v[165:166], v[169:170]
	v_add_f64 v[169:170], v[177:178], v[185:186]
	s_barrier
	v_add_f64 v[175:176], v[181:182], v[91:92]
	v_add_f64 v[177:178], v[191:192], v[93:94]
	;; [unrolled: 1-line block ×8, first 2 shown]
	ds_write_b128 v158, v[87:90]
	ds_write_b128 v158, v[91:94] offset:256
	ds_write_b128 v158, v[163:166] offset:512
	;; [unrolled: 1-line block ×3, first 2 shown]
	s_waitcnt lgkmcnt(0)
	s_barrier
	s_and_saveexec_b64 s[14:15], vcc
	s_cbranch_execz .LBB62_143
; %bb.147:                              ;   in Loop: Header=BB62_144 Depth=1
	ds_read_b128 v[87:90], v154
	ds_read_b128 v[91:94], v154 offset:16
	s_waitcnt lgkmcnt(0)
	v_add_f64 v[159:160], v[91:92], v[87:88]
	v_add_f64 v[161:162], v[93:94], v[89:90]
	ds_read_b128 v[87:90], v154 offset:32
	ds_read_b128 v[91:94], v154 offset:48
	s_waitcnt lgkmcnt(1)
	v_add_f64 v[87:88], v[159:160], v[87:88]
	v_add_f64 v[89:90], v[161:162], v[89:90]
	s_waitcnt lgkmcnt(0)
	v_add_f64 v[159:160], v[87:88], v[91:92]
	v_add_f64 v[161:162], v[89:90], v[93:94]
	ds_read_b128 v[87:90], v154 offset:64
	ds_read_b128 v[91:94], v154 offset:80
	s_waitcnt lgkmcnt(1)
	v_add_f64 v[87:88], v[159:160], v[87:88]
	v_add_f64 v[89:90], v[161:162], v[89:90]
	;; [unrolled: 8-line block ×6, first 2 shown]
	s_waitcnt lgkmcnt(0)
	v_add_f64 v[159:160], v[87:88], v[91:92]
	v_add_f64 v[161:162], v[89:90], v[93:94]
	ds_read_b128 v[87:90], v154 offset:224
	ds_read_b128 v[91:94], v155
	s_waitcnt lgkmcnt(1)
	v_add_f64 v[87:88], v[159:160], v[87:88]
	v_add_f64 v[89:90], v[161:162], v[89:90]
	s_waitcnt lgkmcnt(0)
	v_add_f64 v[87:88], v[87:88], v[91:92]
	v_add_f64 v[89:90], v[89:90], v[93:94]
	v_lshlrev_b64 v[91:92], 4, v[0:1]
	v_mov_b32_e32 v93, s17
	v_add_co_u32_e64 v91, s[8:9], s16, v91
	v_addc_co_u32_e64 v92, s[8:9], v93, v92, s[8:9]
	global_store_dwordx4 v[91:92], v[87:90], off
	s_branch .LBB62_143
.LBB62_148:
	s_movk_i32 s2, 0x430
	v_mad_u32_u24 v0, v2, s2, v146
	s_nor_b64 s[0:1], s[0:1], s[4:5]
	ds_write_b128 v0, v[3:6]
	s_waitcnt lgkmcnt(0)
	s_barrier
	s_and_saveexec_b64 s[2:3], s[0:1]
	s_cbranch_execz .LBB62_150
; %bb.149:
	ds_read_b128 v[0:3], v146 offset:1072
	ds_read_b128 v[4:7], v146
	v_ashrrev_i32_e32 v144, 31, v143
	s_waitcnt lgkmcnt(0)
	v_add_f64 v[8:9], v[0:1], v[4:5]
	v_add_f64 v[10:11], v[2:3], v[6:7]
	ds_read_b128 v[0:3], v146 offset:2144
	ds_read_b128 v[4:7], v146 offset:3216
	s_waitcnt lgkmcnt(1)
	v_add_f64 v[0:1], v[8:9], v[0:1]
	v_add_f64 v[2:3], v[10:11], v[2:3]
	s_waitcnt lgkmcnt(0)
	v_add_f64 v[0:1], v[0:1], v[4:5]
	v_add_f64 v[2:3], v[2:3], v[6:7]
	v_lshlrev_b64 v[4:5], 4, v[143:144]
	v_mov_b32_e32 v6, s17
	v_add_co_u32_e32 v4, vcc, s16, v4
	v_addc_co_u32_e32 v5, vcc, v6, v5, vcc
	global_store_dwordx4 v[4:5], v[0:3], off
.LBB62_150:
	s_endpgm
	.section	.rodata,"a",@progbits
	.p2align	6, 0x0
	.amdhsa_kernel _ZL26rocblas_hemvn_kernel_lowerILb1ELi64ELi4ELi33ELi32ELi16Ei19rocblas_complex_numIdEPKPKS1_PS1_EviT6_lT7_lT5_lS8_lS9_lS7_lT8_i
		.amdhsa_group_segment_fixed_size 19200
		.amdhsa_private_segment_fixed_size 0
		.amdhsa_kernarg_size 392
		.amdhsa_user_sgpr_count 6
		.amdhsa_user_sgpr_private_segment_buffer 1
		.amdhsa_user_sgpr_dispatch_ptr 0
		.amdhsa_user_sgpr_queue_ptr 0
		.amdhsa_user_sgpr_kernarg_segment_ptr 1
		.amdhsa_user_sgpr_dispatch_id 0
		.amdhsa_user_sgpr_flat_scratch_init 0
		.amdhsa_user_sgpr_private_segment_size 0
		.amdhsa_uses_dynamic_stack 0
		.amdhsa_system_sgpr_private_segment_wavefront_offset 0
		.amdhsa_system_sgpr_workgroup_id_x 1
		.amdhsa_system_sgpr_workgroup_id_y 0
		.amdhsa_system_sgpr_workgroup_id_z 1
		.amdhsa_system_sgpr_workgroup_info 0
		.amdhsa_system_vgpr_workitem_id 1
		.amdhsa_next_free_vgpr 213
		.amdhsa_next_free_sgpr 98
		.amdhsa_reserve_vcc 1
		.amdhsa_reserve_flat_scratch 0
		.amdhsa_float_round_mode_32 0
		.amdhsa_float_round_mode_16_64 0
		.amdhsa_float_denorm_mode_32 3
		.amdhsa_float_denorm_mode_16_64 3
		.amdhsa_dx10_clamp 1
		.amdhsa_ieee_mode 1
		.amdhsa_fp16_overflow 0
		.amdhsa_exception_fp_ieee_invalid_op 0
		.amdhsa_exception_fp_denorm_src 0
		.amdhsa_exception_fp_ieee_div_zero 0
		.amdhsa_exception_fp_ieee_overflow 0
		.amdhsa_exception_fp_ieee_underflow 0
		.amdhsa_exception_fp_ieee_inexact 0
		.amdhsa_exception_int_div_zero 0
	.end_amdhsa_kernel
	.section	.text._ZL26rocblas_hemvn_kernel_lowerILb1ELi64ELi4ELi33ELi32ELi16Ei19rocblas_complex_numIdEPKPKS1_PS1_EviT6_lT7_lT5_lS8_lS9_lS7_lT8_i,"axG",@progbits,_ZL26rocblas_hemvn_kernel_lowerILb1ELi64ELi4ELi33ELi32ELi16Ei19rocblas_complex_numIdEPKPKS1_PS1_EviT6_lT7_lT5_lS8_lS9_lS7_lT8_i,comdat
.Lfunc_end62:
	.size	_ZL26rocblas_hemvn_kernel_lowerILb1ELi64ELi4ELi33ELi32ELi16Ei19rocblas_complex_numIdEPKPKS1_PS1_EviT6_lT7_lT5_lS8_lS9_lS7_lT8_i, .Lfunc_end62-_ZL26rocblas_hemvn_kernel_lowerILb1ELi64ELi4ELi33ELi32ELi16Ei19rocblas_complex_numIdEPKPKS1_PS1_EviT6_lT7_lT5_lS8_lS9_lS7_lT8_i
                                        ; -- End function
	.set _ZL26rocblas_hemvn_kernel_lowerILb1ELi64ELi4ELi33ELi32ELi16Ei19rocblas_complex_numIdEPKPKS1_PS1_EviT6_lT7_lT5_lS8_lS9_lS7_lT8_i.num_vgpr, 213
	.set _ZL26rocblas_hemvn_kernel_lowerILb1ELi64ELi4ELi33ELi32ELi16Ei19rocblas_complex_numIdEPKPKS1_PS1_EviT6_lT7_lT5_lS8_lS9_lS7_lT8_i.num_agpr, 0
	.set _ZL26rocblas_hemvn_kernel_lowerILb1ELi64ELi4ELi33ELi32ELi16Ei19rocblas_complex_numIdEPKPKS1_PS1_EviT6_lT7_lT5_lS8_lS9_lS7_lT8_i.numbered_sgpr, 46
	.set _ZL26rocblas_hemvn_kernel_lowerILb1ELi64ELi4ELi33ELi32ELi16Ei19rocblas_complex_numIdEPKPKS1_PS1_EviT6_lT7_lT5_lS8_lS9_lS7_lT8_i.num_named_barrier, 0
	.set _ZL26rocblas_hemvn_kernel_lowerILb1ELi64ELi4ELi33ELi32ELi16Ei19rocblas_complex_numIdEPKPKS1_PS1_EviT6_lT7_lT5_lS8_lS9_lS7_lT8_i.private_seg_size, 0
	.set _ZL26rocblas_hemvn_kernel_lowerILb1ELi64ELi4ELi33ELi32ELi16Ei19rocblas_complex_numIdEPKPKS1_PS1_EviT6_lT7_lT5_lS8_lS9_lS7_lT8_i.uses_vcc, 1
	.set _ZL26rocblas_hemvn_kernel_lowerILb1ELi64ELi4ELi33ELi32ELi16Ei19rocblas_complex_numIdEPKPKS1_PS1_EviT6_lT7_lT5_lS8_lS9_lS7_lT8_i.uses_flat_scratch, 0
	.set _ZL26rocblas_hemvn_kernel_lowerILb1ELi64ELi4ELi33ELi32ELi16Ei19rocblas_complex_numIdEPKPKS1_PS1_EviT6_lT7_lT5_lS8_lS9_lS7_lT8_i.has_dyn_sized_stack, 0
	.set _ZL26rocblas_hemvn_kernel_lowerILb1ELi64ELi4ELi33ELi32ELi16Ei19rocblas_complex_numIdEPKPKS1_PS1_EviT6_lT7_lT5_lS8_lS9_lS7_lT8_i.has_recursion, 0
	.set _ZL26rocblas_hemvn_kernel_lowerILb1ELi64ELi4ELi33ELi32ELi16Ei19rocblas_complex_numIdEPKPKS1_PS1_EviT6_lT7_lT5_lS8_lS9_lS7_lT8_i.has_indirect_call, 0
	.section	.AMDGPU.csdata,"",@progbits
; Kernel info:
; codeLenInByte = 9976
; TotalNumSgprs: 50
; NumVgprs: 213
; ScratchSize: 0
; MemoryBound: 0
; FloatMode: 240
; IeeeMode: 1
; LDSByteSize: 19200 bytes/workgroup (compile time only)
; SGPRBlocks: 12
; VGPRBlocks: 53
; NumSGPRsForWavesPerEU: 102
; NumVGPRsForWavesPerEU: 213
; Occupancy: 1
; WaveLimiterHint : 0
; COMPUTE_PGM_RSRC2:SCRATCH_EN: 0
; COMPUTE_PGM_RSRC2:USER_SGPR: 6
; COMPUTE_PGM_RSRC2:TRAP_HANDLER: 0
; COMPUTE_PGM_RSRC2:TGID_X_EN: 1
; COMPUTE_PGM_RSRC2:TGID_Y_EN: 0
; COMPUTE_PGM_RSRC2:TGID_Z_EN: 1
; COMPUTE_PGM_RSRC2:TIDIG_COMP_CNT: 1
	.section	.text._ZL36rocblas_hemvn_kernel_lower_block_sumILi64Ei19rocblas_complex_numIdEPKPS1_S1_EviT1_lS5_lT2_lT0_lPT3_i,"axG",@progbits,_ZL36rocblas_hemvn_kernel_lower_block_sumILi64Ei19rocblas_complex_numIdEPKPS1_S1_EviT1_lS5_lT2_lT0_lPT3_i,comdat
	.globl	_ZL36rocblas_hemvn_kernel_lower_block_sumILi64Ei19rocblas_complex_numIdEPKPS1_S1_EviT1_lS5_lT2_lT0_lPT3_i ; -- Begin function _ZL36rocblas_hemvn_kernel_lower_block_sumILi64Ei19rocblas_complex_numIdEPKPS1_S1_EviT1_lS5_lT2_lT0_lPT3_i
	.p2align	8
	.type	_ZL36rocblas_hemvn_kernel_lower_block_sumILi64Ei19rocblas_complex_numIdEPKPS1_S1_EviT1_lS5_lT2_lT0_lPT3_i,@function
_ZL36rocblas_hemvn_kernel_lower_block_sumILi64Ei19rocblas_complex_numIdEPKPS1_S1_EviT1_lS5_lT2_lT0_lPT3_i: ; @_ZL36rocblas_hemvn_kernel_lower_block_sumILi64Ei19rocblas_complex_numIdEPKPS1_S1_EviT1_lS5_lT2_lT0_lPT3_i
; %bb.0:
	s_load_dwordx4 s[12:15], s[4:5], 0x8
	s_load_dwordx4 s[8:11], s[4:5], 0x20
	s_mov_b32 s16, s7
	s_waitcnt lgkmcnt(0)
	v_cmp_neq_f64_e64 s[0:1], s[12:13], 0
	v_cmp_neq_f64_e64 s[2:3], s[14:15], 0
	s_or_b64 s[0:1], s[0:1], s[2:3]
	s_mov_b64 s[2:3], -1
	s_and_b64 vcc, exec, s[0:1]
	s_cbranch_vccnz .LBB63_2
; %bb.1:
	v_cmp_neq_f64_e64 s[2:3], s[8:9], 1.0
	v_cmp_neq_f64_e64 s[18:19], s[10:11], 0
	s_or_b64 s[2:3], s[2:3], s[18:19]
.LBB63_2:
	s_andn2_b64 vcc, exec, s[2:3]
	s_cbranch_vccnz .LBB63_22
; %bb.3:
	s_xor_b64 s[20:21], s[0:1], -1
	s_load_dwordx4 s[0:3], s[4:5], 0x38
	s_load_dword s24, s[4:5], 0x48
	s_load_dword s18, s[4:5], 0x0
	s_mov_b32 s17, 0
	s_lshl_b64 s[22:23], s[16:17], 3
	s_waitcnt lgkmcnt(0)
	s_add_u32 s0, s0, s22
	s_addc_u32 s1, s1, s23
	s_load_dwordx2 s[0:1], s[0:1], 0x0
	s_lshl_b64 s[2:3], s[2:3], 4
	v_lshl_or_b32 v6, s6, 6, v0
	s_waitcnt lgkmcnt(0)
	s_add_u32 s7, s0, s2
	s_addc_u32 s17, s1, s3
	s_andn2_b64 vcc, exec, s[20:21]
	v_cmp_gt_i32_e64 s[0:1], s18, v6
	s_cbranch_vccnz .LBB63_8
; %bb.4:
	s_mov_b64 s[20:21], 0
	s_mov_b64 s[2:3], 0
                                        ; implicit-def: $vgpr2_vgpr3
                                        ; implicit-def: $vgpr4_vgpr5
	s_and_saveexec_b64 s[22:23], s[0:1]
	s_cbranch_execz .LBB63_9
; %bb.5:
	v_cmp_neq_f64_e64 s[0:1], s[8:9], 0
	v_cmp_neq_f64_e64 s[2:3], s[10:11], 0
	v_mul_lo_u32 v4, s24, v6
	v_mov_b32_e32 v2, 0
	v_mov_b32_e32 v0, 0
	;; [unrolled: 1-line block ×4, first 2 shown]
	v_ashrrev_i32_e32 v5, 31, v4
	s_or_b64 s[0:1], s[0:1], s[2:3]
	s_andn2_b64 vcc, exec, s[0:1]
	s_cbranch_vccnz .LBB63_7
; %bb.6:
	v_lshlrev_b64 v[0:1], 4, v[4:5]
	v_mov_b32_e32 v2, s17
	v_add_co_u32_e32 v0, vcc, s7, v0
	v_addc_co_u32_e32 v1, vcc, v2, v1, vcc
	flat_load_dwordx4 v[7:10], v[0:1]
	s_waitcnt vmcnt(0) lgkmcnt(0)
	v_mul_f64 v[0:1], s[10:11], v[9:10]
	v_mul_f64 v[2:3], s[8:9], v[9:10]
	v_fma_f64 v[0:1], s[8:9], v[7:8], -v[0:1]
	v_fma_f64 v[2:3], s[10:11], v[7:8], v[2:3]
.LBB63_7:
	s_mov_b64 s[2:3], exec
	s_or_b64 exec, exec, s[22:23]
	s_and_b64 vcc, exec, s[20:21]
	s_cbranch_vccnz .LBB63_10
	s_branch .LBB63_20
.LBB63_8:
	s_mov_b64 s[2:3], 0
                                        ; implicit-def: $vgpr2_vgpr3
                                        ; implicit-def: $vgpr4_vgpr5
	s_cbranch_execnz .LBB63_10
	s_branch .LBB63_20
.LBB63_9:
	s_or_b64 exec, exec, s[22:23]
	s_and_b64 vcc, exec, s[20:21]
	s_cbranch_vccz .LBB63_20
.LBB63_10:
	v_cmp_gt_i32_e32 vcc, s18, v6
                                        ; implicit-def: $vgpr2_vgpr3
                                        ; implicit-def: $vgpr4_vgpr5
	s_and_saveexec_b64 s[0:1], vcc
	s_cbranch_execz .LBB63_19
; %bb.11:
	s_load_dword s20, s[4:5], 0x68
	v_mov_b32_e32 v0, 0
	v_mov_b32_e32 v2, 0
	;; [unrolled: 1-line block ×4, first 2 shown]
	s_waitcnt lgkmcnt(0)
	s_cmp_ge_i32 s6, s20
	s_cbranch_scc1 .LBB63_14
; %bb.12:
	s_ashr_i32 s19, s18, 31
	s_mul_i32 s21, s18, s6
	s_load_dwordx2 s[4:5], s[4:5], 0x58
	v_add_u32_e32 v0, s21, v6
	s_mul_hi_u32 s21, s18, s16
	s_mul_i32 s22, s19, s16
	s_add_i32 s21, s21, s22
	s_mul_i32 s16, s18, s16
	s_mul_i32 s21, s21, s20
	s_mul_hi_u32 s22, s16, s20
	s_add_i32 s23, s22, s21
	s_mul_i32 s22, s16, s20
	v_ashrrev_i32_e32 v1, 31, v0
	s_lshl_b64 s[22:23], s[22:23], 4
	v_lshlrev_b64 v[0:1], 4, v[0:1]
	s_waitcnt lgkmcnt(0)
	s_add_u32 s4, s4, s22
	s_addc_u32 s5, s5, s23
	v_mov_b32_e32 v2, s5
	v_add_co_u32_e32 v0, vcc, s4, v0
	v_addc_co_u32_e32 v1, vcc, v2, v1, vcc
	v_add_co_u32_e32 v4, vcc, 8, v0
	v_addc_co_u32_e32 v5, vcc, 0, v1, vcc
	s_lshl_b64 s[4:5], s[18:19], 4
	v_mov_b32_e32 v0, 0
	v_mov_b32_e32 v2, 0
	;; [unrolled: 1-line block ×5, first 2 shown]
.LBB63_13:                              ; =>This Inner Loop Header: Depth=1
	global_load_dwordx4 v[8:11], v[4:5], off offset:-8
	s_add_i32 s6, s6, 1
	v_add_co_u32_e32 v4, vcc, s4, v4
	s_cmp_ge_i32 s6, s20
	v_addc_co_u32_e32 v5, vcc, v5, v7, vcc
	s_waitcnt vmcnt(0)
	v_add_f64 v[2:3], v[2:3], v[8:9]
	v_add_f64 v[0:1], v[0:1], v[10:11]
	s_cbranch_scc0 .LBB63_13
.LBB63_14:
	v_mul_f64 v[4:5], s[14:15], v[0:1]
	v_mul_f64 v[7:8], s[12:13], v[0:1]
	v_cmp_neq_f64_e64 s[18:19], s[8:9], 0
	v_cmp_neq_f64_e64 s[20:21], s[10:11], 0
	s_mov_b64 s[4:5], 0
	v_fma_f64 v[0:1], s[12:13], v[2:3], -v[4:5]
	v_fma_f64 v[2:3], s[14:15], v[2:3], v[7:8]
	v_mul_lo_u32 v4, s24, v6
	s_or_b64 s[12:13], s[18:19], s[20:21]
	s_andn2_b64 vcc, exec, s[12:13]
	v_ashrrev_i32_e32 v5, 31, v4
	s_cbranch_vccnz .LBB63_16
; %bb.15:
	s_mov_b64 s[4:5], -1
.LBB63_16:
	s_andn2_b64 vcc, exec, s[4:5]
	s_cbranch_vccnz .LBB63_18
; %bb.17:
	v_lshlrev_b64 v[6:7], 4, v[4:5]
	v_mov_b32_e32 v8, s17
	v_add_co_u32_e32 v6, vcc, s7, v6
	v_addc_co_u32_e32 v7, vcc, v8, v7, vcc
	flat_load_dwordx4 v[6:9], v[6:7]
	s_waitcnt vmcnt(0) lgkmcnt(0)
	v_mul_f64 v[10:11], s[10:11], v[8:9]
	v_mul_f64 v[8:9], s[8:9], v[8:9]
	v_fma_f64 v[10:11], s[8:9], v[6:7], -v[10:11]
	v_fma_f64 v[6:7], s[10:11], v[6:7], v[8:9]
	v_add_f64 v[0:1], v[0:1], v[10:11]
	v_add_f64 v[2:3], v[2:3], v[6:7]
.LBB63_18:
	s_or_b64 s[2:3], s[2:3], exec
.LBB63_19:
	s_or_b64 exec, exec, s[0:1]
.LBB63_20:
	s_and_saveexec_b64 s[0:1], s[2:3]
	s_cbranch_execz .LBB63_22
; %bb.21:
	v_lshlrev_b64 v[4:5], 4, v[4:5]
	v_mov_b32_e32 v6, s17
	v_add_co_u32_e32 v4, vcc, s7, v4
	v_addc_co_u32_e32 v5, vcc, v6, v5, vcc
	flat_store_dwordx4 v[4:5], v[0:3]
.LBB63_22:
	s_endpgm
	.section	.rodata,"a",@progbits
	.p2align	6, 0x0
	.amdhsa_kernel _ZL36rocblas_hemvn_kernel_lower_block_sumILi64Ei19rocblas_complex_numIdEPKPS1_S1_EviT1_lS5_lT2_lT0_lPT3_i
		.amdhsa_group_segment_fixed_size 0
		.amdhsa_private_segment_fixed_size 0
		.amdhsa_kernarg_size 360
		.amdhsa_user_sgpr_count 6
		.amdhsa_user_sgpr_private_segment_buffer 1
		.amdhsa_user_sgpr_dispatch_ptr 0
		.amdhsa_user_sgpr_queue_ptr 0
		.amdhsa_user_sgpr_kernarg_segment_ptr 1
		.amdhsa_user_sgpr_dispatch_id 0
		.amdhsa_user_sgpr_flat_scratch_init 0
		.amdhsa_user_sgpr_private_segment_size 0
		.amdhsa_uses_dynamic_stack 0
		.amdhsa_system_sgpr_private_segment_wavefront_offset 0
		.amdhsa_system_sgpr_workgroup_id_x 1
		.amdhsa_system_sgpr_workgroup_id_y 0
		.amdhsa_system_sgpr_workgroup_id_z 1
		.amdhsa_system_sgpr_workgroup_info 0
		.amdhsa_system_vgpr_workitem_id 0
		.amdhsa_next_free_vgpr 12
		.amdhsa_next_free_sgpr 25
		.amdhsa_reserve_vcc 1
		.amdhsa_reserve_flat_scratch 0
		.amdhsa_float_round_mode_32 0
		.amdhsa_float_round_mode_16_64 0
		.amdhsa_float_denorm_mode_32 3
		.amdhsa_float_denorm_mode_16_64 3
		.amdhsa_dx10_clamp 1
		.amdhsa_ieee_mode 1
		.amdhsa_fp16_overflow 0
		.amdhsa_exception_fp_ieee_invalid_op 0
		.amdhsa_exception_fp_denorm_src 0
		.amdhsa_exception_fp_ieee_div_zero 0
		.amdhsa_exception_fp_ieee_overflow 0
		.amdhsa_exception_fp_ieee_underflow 0
		.amdhsa_exception_fp_ieee_inexact 0
		.amdhsa_exception_int_div_zero 0
	.end_amdhsa_kernel
	.section	.text._ZL36rocblas_hemvn_kernel_lower_block_sumILi64Ei19rocblas_complex_numIdEPKPS1_S1_EviT1_lS5_lT2_lT0_lPT3_i,"axG",@progbits,_ZL36rocblas_hemvn_kernel_lower_block_sumILi64Ei19rocblas_complex_numIdEPKPS1_S1_EviT1_lS5_lT2_lT0_lPT3_i,comdat
.Lfunc_end63:
	.size	_ZL36rocblas_hemvn_kernel_lower_block_sumILi64Ei19rocblas_complex_numIdEPKPS1_S1_EviT1_lS5_lT2_lT0_lPT3_i, .Lfunc_end63-_ZL36rocblas_hemvn_kernel_lower_block_sumILi64Ei19rocblas_complex_numIdEPKPS1_S1_EviT1_lS5_lT2_lT0_lPT3_i
                                        ; -- End function
	.set _ZL36rocblas_hemvn_kernel_lower_block_sumILi64Ei19rocblas_complex_numIdEPKPS1_S1_EviT1_lS5_lT2_lT0_lPT3_i.num_vgpr, 12
	.set _ZL36rocblas_hemvn_kernel_lower_block_sumILi64Ei19rocblas_complex_numIdEPKPS1_S1_EviT1_lS5_lT2_lT0_lPT3_i.num_agpr, 0
	.set _ZL36rocblas_hemvn_kernel_lower_block_sumILi64Ei19rocblas_complex_numIdEPKPS1_S1_EviT1_lS5_lT2_lT0_lPT3_i.numbered_sgpr, 25
	.set _ZL36rocblas_hemvn_kernel_lower_block_sumILi64Ei19rocblas_complex_numIdEPKPS1_S1_EviT1_lS5_lT2_lT0_lPT3_i.num_named_barrier, 0
	.set _ZL36rocblas_hemvn_kernel_lower_block_sumILi64Ei19rocblas_complex_numIdEPKPS1_S1_EviT1_lS5_lT2_lT0_lPT3_i.private_seg_size, 0
	.set _ZL36rocblas_hemvn_kernel_lower_block_sumILi64Ei19rocblas_complex_numIdEPKPS1_S1_EviT1_lS5_lT2_lT0_lPT3_i.uses_vcc, 1
	.set _ZL36rocblas_hemvn_kernel_lower_block_sumILi64Ei19rocblas_complex_numIdEPKPS1_S1_EviT1_lS5_lT2_lT0_lPT3_i.uses_flat_scratch, 0
	.set _ZL36rocblas_hemvn_kernel_lower_block_sumILi64Ei19rocblas_complex_numIdEPKPS1_S1_EviT1_lS5_lT2_lT0_lPT3_i.has_dyn_sized_stack, 0
	.set _ZL36rocblas_hemvn_kernel_lower_block_sumILi64Ei19rocblas_complex_numIdEPKPS1_S1_EviT1_lS5_lT2_lT0_lPT3_i.has_recursion, 0
	.set _ZL36rocblas_hemvn_kernel_lower_block_sumILi64Ei19rocblas_complex_numIdEPKPS1_S1_EviT1_lS5_lT2_lT0_lPT3_i.has_indirect_call, 0
	.section	.AMDGPU.csdata,"",@progbits
; Kernel info:
; codeLenInByte = 796
; TotalNumSgprs: 29
; NumVgprs: 12
; ScratchSize: 0
; MemoryBound: 0
; FloatMode: 240
; IeeeMode: 1
; LDSByteSize: 0 bytes/workgroup (compile time only)
; SGPRBlocks: 3
; VGPRBlocks: 2
; NumSGPRsForWavesPerEU: 29
; NumVGPRsForWavesPerEU: 12
; Occupancy: 10
; WaveLimiterHint : 1
; COMPUTE_PGM_RSRC2:SCRATCH_EN: 0
; COMPUTE_PGM_RSRC2:USER_SGPR: 6
; COMPUTE_PGM_RSRC2:TRAP_HANDLER: 0
; COMPUTE_PGM_RSRC2:TGID_X_EN: 1
; COMPUTE_PGM_RSRC2:TGID_Y_EN: 0
; COMPUTE_PGM_RSRC2:TGID_Z_EN: 1
; COMPUTE_PGM_RSRC2:TIDIG_COMP_CNT: 0
	.section	.text._ZL50rocblas_symv_kernel_upper_double_buffered_diagonalILi32ELi4E24rocblas_internal_val_ptrIfEPKfPfEvbiT1_lT2_lllS6_lllS5_lT3_llli,"axG",@progbits,_ZL50rocblas_symv_kernel_upper_double_buffered_diagonalILi32ELi4E24rocblas_internal_val_ptrIfEPKfPfEvbiT1_lT2_lllS6_lllS5_lT3_llli,comdat
	.globl	_ZL50rocblas_symv_kernel_upper_double_buffered_diagonalILi32ELi4E24rocblas_internal_val_ptrIfEPKfPfEvbiT1_lT2_lllS6_lllS5_lT3_llli ; -- Begin function _ZL50rocblas_symv_kernel_upper_double_buffered_diagonalILi32ELi4E24rocblas_internal_val_ptrIfEPKfPfEvbiT1_lT2_lllS6_lllS5_lT3_llli
	.p2align	8
	.type	_ZL50rocblas_symv_kernel_upper_double_buffered_diagonalILi32ELi4E24rocblas_internal_val_ptrIfEPKfPfEvbiT1_lT2_lllS6_lllS5_lT3_llli,@function
_ZL50rocblas_symv_kernel_upper_double_buffered_diagonalILi32ELi4E24rocblas_internal_val_ptrIfEPKfPfEvbiT1_lT2_lllS6_lllS5_lT3_llli: ; @_ZL50rocblas_symv_kernel_upper_double_buffered_diagonalILi32ELi4E24rocblas_internal_val_ptrIfEPKfPfEvbiT1_lT2_lllS6_lllS5_lT3_llli
; %bb.0:
	s_load_dword s0, s[4:5], 0x0
	s_load_dwordx16 s[8:23], s[4:5], 0x8
	s_mov_b64 s[2:3], -1
                                        ; implicit-def: $sgpr33
	s_waitcnt lgkmcnt(0)
	s_bitcmp1_b32 s0, 0
	s_cselect_b64 s[0:1], -1, 0
	s_xor_b64 s[0:1], s[0:1], -1
	s_and_b64 vcc, exec, s[0:1]
	s_cbranch_vccnz .LBB64_10
; %bb.1:
	s_load_dwordx8 s[24:31], s[4:5], 0x48
	s_andn2_b64 vcc, exec, s[2:3]
	s_cbranch_vccz .LBB64_11
.LBB64_2:
	s_andn2_b64 vcc, exec, s[0:1]
	s_cbranch_vccnz .LBB64_4
.LBB64_3:
	s_waitcnt lgkmcnt(0)
	s_mul_i32 s0, s31, s7
	s_mul_hi_u32 s1, s30, s7
	s_add_i32 s1, s1, s0
	s_mul_i32 s0, s30, s7
	s_lshl_b64 s[0:1], s[0:1], 2
	s_add_u32 s0, s28, s0
	s_addc_u32 s1, s29, s1
	s_load_dword s28, s[0:1], 0x0
.LBB64_4:
	s_waitcnt lgkmcnt(0)
	v_cmp_eq_f32_e64 s[0:1], s33, 0
	v_cmp_eq_f32_e64 s[2:3], s28, 1.0
	s_and_b64 s[0:1], s[0:1], s[2:3]
	s_and_b64 vcc, exec, s[0:1]
	s_cbranch_vccnz .LBB64_9
; %bb.5:
	s_load_dwordx2 s[8:9], s[4:5], 0x80
	s_load_dwordx2 s[10:11], s[4:5], 0x68
	s_load_dwordx4 s[0:3], s[4:5], 0x70
	s_waitcnt lgkmcnt(0)
	s_mul_i32 s5, s9, s7
	s_mul_hi_u32 s9, s8, s7
	s_mul_i32 s4, s8, s7
	s_add_i32 s5, s9, s5
	s_lshl_b64 s[4:5], s[4:5], 2
	s_add_u32 s4, s10, s4
	s_addc_u32 s5, s11, s5
	s_lshl_b64 s[0:1], s[0:1], 2
	s_add_u32 s4, s4, s0
	s_addc_u32 s5, s5, s1
	s_lshl_b32 s6, s6, 5
	s_ashr_i32 s8, s6, 31
	s_mul_i32 s0, s2, s8
	s_mul_hi_u32 s1, s2, s6
	s_add_i32 s0, s1, s0
	s_mul_i32 s1, s3, s6
	s_add_i32 s1, s0, s1
	s_mul_i32 s0, s2, s6
	s_lshl_b64 s[0:1], s[0:1], 2
	s_add_u32 s29, s4, s0
	s_addc_u32 s30, s5, s1
	v_cmp_neq_f32_e64 s[0:1], s33, 0
	s_and_b64 vcc, exec, s[0:1]
	v_cmp_eq_u32_e64 s[0:1], 0, v1
	s_cbranch_vccnz .LBB64_12
; %bb.6:
	s_and_saveexec_b64 s[4:5], s[0:1]
	s_cbranch_execz .LBB64_8
; %bb.7:
	v_mad_u64_u32 v[2:3], s[0:1], s2, v0, 0
	v_mad_u64_u32 v[3:4], s[0:1], s3, v0, v[3:4]
	v_mov_b32_e32 v4, s30
	v_lshlrev_b64 v[2:3], 2, v[2:3]
	v_add_co_u32_e32 v2, vcc, s29, v2
	v_addc_co_u32_e32 v3, vcc, v4, v3, vcc
	global_load_dword v4, v[2:3], off
	s_waitcnt vmcnt(0)
	v_mul_f32_e32 v4, s28, v4
	global_store_dword v[2:3], v4, off
.LBB64_8:
	s_or_b64 exec, exec, s[4:5]
	s_cbranch_execz .LBB64_13
.LBB64_9:
	s_endpgm
.LBB64_10:
	s_mul_i32 s2, s11, s7
	s_mul_hi_u32 s3, s10, s7
	s_add_i32 s3, s3, s2
	s_mul_i32 s2, s10, s7
	s_lshl_b64 s[2:3], s[2:3], 2
	s_add_u32 s2, s8, s2
	s_addc_u32 s3, s9, s3
	s_load_dword s33, s[2:3], 0x0
	s_load_dwordx8 s[24:31], s[4:5], 0x48
	s_cbranch_execnz .LBB64_2
.LBB64_11:
	s_waitcnt lgkmcnt(0)
	s_mov_b32 s33, s8
	s_andn2_b64 vcc, exec, s[0:1]
	s_cbranch_vccz .LBB64_3
	s_branch .LBB64_4
.LBB64_12:
.LBB64_13:
	v_mov_b32_e32 v10, 0
	v_cmp_eq_u32_e64 s[0:1], 0, v1
	s_and_saveexec_b64 s[4:5], s[0:1]
	s_cbranch_execz .LBB64_17
; %bb.14:
	v_cmp_eq_f32_e64 s[10:11], s28, 0
	v_mov_b32_e32 v10, 0
	s_and_b64 vcc, exec, s[10:11]
	s_cbranch_vccnz .LBB64_16
; %bb.15:
	v_mad_u64_u32 v[2:3], s[10:11], s2, v0, 0
	v_mad_u64_u32 v[3:4], s[10:11], s3, v0, v[3:4]
	v_mov_b32_e32 v4, s30
	v_lshlrev_b64 v[2:3], 2, v[2:3]
	v_add_co_u32_e32 v2, vcc, s29, v2
	v_addc_co_u32_e32 v3, vcc, v4, v3, vcc
	global_load_dword v2, v[2:3], off
	s_waitcnt vmcnt(0)
	v_mul_f32_e32 v10, s28, v2
.LBB64_16:
	s_mul_i32 s9, s27, s7
	s_mul_hi_u32 s10, s26, s7
	s_add_i32 s11, s10, s9
	s_mul_i32 s10, s26, s7
	s_lshl_b64 s[10:11], s[10:11], 2
	s_add_u32 s9, s20, s10
	s_addc_u32 s20, s21, s11
	s_lshl_b64 s[10:11], s[22:23], 2
	s_add_u32 s9, s9, s10
	s_addc_u32 s22, s20, s11
	s_mul_i32 s10, s24, s8
	s_mul_hi_u32 s11, s24, s6
	s_add_i32 s20, s11, s10
	v_mad_u64_u32 v[2:3], s[10:11], s24, v0, 0
	s_mul_i32 s10, s25, s6
	s_add_i32 s11, s20, s10
	v_mad_u64_u32 v[3:4], s[20:21], s25, v0, v[3:4]
	s_mul_i32 s10, s24, s6
	s_lshl_b64 s[10:11], s[10:11], 2
	s_add_u32 s9, s9, s10
	v_lshlrev_b64 v[2:3], 2, v[2:3]
	s_addc_u32 s10, s22, s11
	v_mov_b32_e32 v4, s10
	v_add_co_u32_e32 v2, vcc, s9, v2
	v_addc_co_u32_e32 v3, vcc, v4, v3, vcc
	global_load_dword v2, v[2:3], off
	v_lshlrev_b32_e32 v3, 2, v0
	s_waitcnt vmcnt(0)
	ds_write_b32 v3, v2 offset:5120
.LBB64_17:
	s_or_b64 exec, exec, s[4:5]
	s_mul_i32 s4, s19, s7
	s_mul_hi_u32 s5, s18, s7
	s_add_i32 s5, s5, s4
	s_mul_i32 s4, s18, s7
	s_lshl_b64 s[4:5], s[4:5], 2
	s_add_u32 s7, s12, s4
	s_addc_u32 s9, s13, s5
	s_lshl_b64 s[4:5], s[14:15], 2
	s_add_u32 s10, s7, s4
	s_addc_u32 s9, s9, s5
	s_add_u32 s7, s16, 1
	s_mul_i32 s4, s7, s8
	s_mul_hi_u32 s5, s7, s6
	s_addc_u32 s11, s17, 0
	s_add_i32 s8, s5, s4
	v_mad_u64_u32 v[2:3], s[4:5], s16, v1, 0
	s_mul_i32 s11, s11, s6
	s_mul_i32 s4, s7, s6
	v_mad_u64_u32 v[3:4], s[6:7], s17, v1, v[3:4]
	s_add_i32 s5, s8, s11
	s_lshl_b64 s[4:5], s[4:5], 2
	s_add_u32 s4, s10, s4
	v_lshlrev_b64 v[2:3], 2, v[2:3]
	s_addc_u32 s5, s9, s5
	v_mov_b32_e32 v4, s5
	v_add_co_u32_e32 v2, vcc, s4, v2
	v_addc_co_u32_e32 v3, vcc, v4, v3, vcc
	v_lshlrev_b32_e32 v11, 2, v0
	v_add_co_u32_e32 v2, vcc, v2, v11
	v_addc_co_u32_e32 v3, vcc, 0, v3, vcc
	v_cmp_lt_u32_e32 vcc, 15, v0
	s_mul_i32 s12, s17, 12
	s_mul_hi_u32 s13, s16, 12
	s_mul_i32 s4, s16, 12
                                        ; implicit-def: $sgpr8_sgpr9
                                        ; implicit-def: $sgpr10_sgpr11
	s_and_saveexec_b64 s[6:7], vcc
	s_xor_b64 s[6:7], exec, s[6:7]
; %bb.18:
	s_lshl_b64 s[8:9], s[16:17], 2
	s_lshl_b64 s[10:11], s[16:17], 3
	s_add_i32 s5, s13, s12
; %bb.19:
	s_or_saveexec_b64 s[6:7], s[6:7]
	v_mov_b32_e32 v4, s4
	v_mov_b32_e32 v6, s10
	v_mov_b32_e32 v8, s8
	v_mov_b32_e32 v5, s5
	v_mov_b32_e32 v7, s11
	v_mov_b32_e32 v9, s9
	v_lshlrev_b32_e32 v12, 7, v1
	s_xor_b64 exec, exec, s[6:7]
	s_cbranch_execz .LBB64_21
; %bb.20:
	s_lshl_b64 s[8:9], s[16:17], 4
	v_mov_b32_e32 v9, s9
	v_add_co_u32_e32 v4, vcc, s8, v2
	v_addc_co_u32_e32 v5, vcc, v3, v9, vcc
	v_add_co_u32_e32 v6, vcc, s8, v4
	v_addc_co_u32_e32 v7, vcc, v5, v9, vcc
	;; [unrolled: 2-line block ×3, first 2 shown]
	global_load_dword v13, v[2:3], off
	global_load_dword v14, v[4:5], off
	;; [unrolled: 1-line block ×4, first 2 shown]
	v_lshl_add_u32 v8, v0, 2, v12
	s_lshl_b64 s[8:9], s[16:17], 2
	s_lshl_b64 s[10:11], s[16:17], 3
	s_add_i32 s5, s13, s12
	v_mov_b32_e32 v4, s4
	v_mov_b32_e32 v6, s10
	;; [unrolled: 1-line block ×4, first 2 shown]
	s_waitcnt vmcnt(2)
	ds_write2st64_b32 v8, v13, v14 offset1:2
	s_waitcnt vmcnt(0)
	ds_write2st64_b32 v8, v15, v16 offset0:4 offset1:6
	v_mov_b32_e32 v8, s8
	v_mov_b32_e32 v9, s9
.LBB64_21:
	s_or_b64 exec, exec, s[6:7]
	s_lshl_b64 s[4:5], s[16:17], 6
	v_mov_b32_e32 v13, s5
	v_add_co_u32_e32 v2, vcc, s4, v2
	v_lshlrev_b64 v[8:9], 2, v[8:9]
	v_addc_co_u32_e32 v3, vcc, v3, v13, vcc
	v_add_co_u32_e32 v8, vcc, v2, v8
	v_lshlrev_b64 v[6:7], 2, v[6:7]
	v_addc_co_u32_e32 v9, vcc, v3, v9, vcc
	;; [unrolled: 3-line block ×3, first 2 shown]
	v_add_co_u32_e32 v4, vcc, v2, v4
	v_addc_co_u32_e32 v5, vcc, v3, v5, vcc
	global_load_dword v13, v[2:3], off
	global_load_dword v14, v[8:9], off
	;; [unrolled: 1-line block ×4, first 2 shown]
	v_add_u32_e32 v2, 0x800, v12
	v_add_u32_e32 v6, 0xe00, v12
	v_sub_u32_e32 v7, v0, v1
	s_movk_i32 s4, 0x7c
	v_add_u32_e32 v3, v11, v2
	v_add_u32_e32 v2, v11, v6
	v_sub_u32_e32 v6, 0, v7
	v_add_u32_e32 v4, 0xa00, v12
	v_add_u32_e32 v5, 0xc00, v12
	v_mad_u32_u24 v9, v0, s4, v11
	v_max_i32_e32 v8, v7, v6
	v_add_u32_e32 v4, v11, v4
	v_add_u32_e32 v5, v11, v5
	v_cmp_lt_u32_e32 vcc, 16, v8
	v_lshl_add_u32 v7, v1, 2, v9
	s_waitcnt vmcnt(3)
	ds_write_b32 v3, v13
	s_waitcnt vmcnt(2)
	ds_write_b32 v4, v14
	;; [unrolled: 2-line block ×4, first 2 shown]
	s_waitcnt lgkmcnt(0)
	s_barrier
	s_and_saveexec_b64 s[4:5], vcc
	s_cbranch_execnz .LBB64_36
; %bb.22:
	s_or_b64 exec, exec, s[4:5]
	v_cmp_lt_u32_e32 vcc, 20, v8
	s_and_saveexec_b64 s[4:5], vcc
	s_cbranch_execnz .LBB64_37
.LBB64_23:
	s_or_b64 exec, exec, s[4:5]
	v_cmp_lt_u32_e32 vcc, 24, v8
	s_and_saveexec_b64 s[4:5], vcc
	s_cbranch_execnz .LBB64_38
.LBB64_24:
	s_or_b64 exec, exec, s[4:5]
	v_cmp_lt_u32_e32 vcc, 28, v8
	s_and_saveexec_b64 s[4:5], vcc
	s_cbranch_execz .LBB64_26
.LBB64_25:
	ds_read_b32 v6, v7 offset:112
	s_waitcnt lgkmcnt(0)
	ds_write_b32 v2, v6
.LBB64_26:
	s_or_b64 exec, exec, s[4:5]
	v_lshlrev_b32_e32 v6, 5, v1
	v_cmp_ge_u32_e32 vcc, v0, v1
	s_and_saveexec_b64 s[4:5], vcc
	s_cbranch_execz .LBB64_28
; %bb.27:
	ds_read_b32 v9, v7
	v_lshl_add_u32 v12, v6, 2, v11
	s_waitcnt lgkmcnt(0)
	ds_write_b32 v12, v9
.LBB64_28:
	s_or_b64 exec, exec, s[4:5]
	v_cmp_lt_u32_e32 vcc, 4, v8
	v_lshl_add_u32 v9, v1, 7, v11
	s_and_saveexec_b64 s[4:5], vcc
	s_cbranch_execz .LBB64_30
; %bb.29:
	ds_read_b32 v12, v7 offset:16
	s_waitcnt lgkmcnt(0)
	ds_write_b32 v9, v12 offset:512
.LBB64_30:
	s_or_b64 exec, exec, s[4:5]
	v_cmp_lt_u32_e32 vcc, 8, v8
	s_and_saveexec_b64 s[4:5], vcc
	s_cbranch_execz .LBB64_32
; %bb.31:
	ds_read_b32 v12, v7 offset:32
	s_waitcnt lgkmcnt(0)
	ds_write_b32 v9, v12 offset:1024
.LBB64_32:
	s_or_b64 exec, exec, s[4:5]
	v_cmp_lt_u32_e32 vcc, 12, v8
	v_mov_b32_e32 v8, 0x600
	v_lshl_add_u32 v8, v1, 7, v8
	v_add_u32_e32 v8, v11, v8
	s_and_saveexec_b64 s[4:5], vcc
	s_cbranch_execz .LBB64_34
; %bb.33:
	ds_read_b32 v7, v7 offset:48
	s_waitcnt lgkmcnt(0)
	ds_write_b32 v8, v7
.LBB64_34:
	s_or_b64 exec, exec, s[4:5]
	s_waitcnt lgkmcnt(0)
	s_barrier
	ds_read2st64_b32 v[12:13], v9 offset1:2
	v_lshlrev_b32_e32 v1, 2, v1
	v_add_u32_e32 v1, 0x1400, v1
	ds_read2_b32 v[14:15], v1 offset1:4
	ds_read2_b32 v[16:17], v1 offset0:8 offset1:12
	ds_read_b32 v7, v9 offset:1024
	s_waitcnt lgkmcnt(2)
	v_fma_f32 v9, v12, v14, 0
	ds_read_b32 v14, v8
	v_fmac_f32_e32 v9, v13, v15
	s_waitcnt lgkmcnt(1)
	v_fmac_f32_e32 v9, v7, v16
	ds_read2_b32 v[7:8], v1 offset0:16 offset1:20
	ds_read2_b32 v[12:13], v1 offset0:24 offset1:28
	ds_read_b32 v1, v3
	ds_read_b32 v3, v4
	;; [unrolled: 1-line block ×4, first 2 shown]
	s_waitcnt lgkmcnt(6)
	v_fmac_f32_e32 v9, v14, v17
	s_waitcnt lgkmcnt(3)
	v_fmac_f32_e32 v9, v1, v7
	;; [unrolled: 2-line block ×5, first 2 shown]
	v_add_lshl_u32 v1, v6, v0, 2
	ds_write_b32 v1, v9 offset:4096
	s_waitcnt lgkmcnt(0)
	s_barrier
	s_and_saveexec_b64 s[4:5], s[0:1]
	s_cbranch_execz .LBB64_9
; %bb.35:
	v_add_u32_e32 v5, 0x1000, v11
	ds_read2_b32 v[1:2], v5 offset1:32
	ds_read2_b32 v[5:6], v5 offset0:64 offset1:96
	v_mad_u64_u32 v[3:4], s[0:1], s2, v0, 0
	v_cmp_neq_f32_e64 vcc, s28, 0
	s_waitcnt lgkmcnt(1)
	v_add_f32_e32 v1, 0, v1
	v_add_f32_e32 v1, v1, v2
	s_waitcnt lgkmcnt(0)
	v_add_f32_e32 v1, v1, v5
	v_add_f32_e32 v2, v1, v6
	v_mul_f32_e32 v5, s33, v2
	v_mad_u64_u32 v[0:1], s[0:1], s3, v0, v[4:5]
	v_fmac_f32_e32 v10, s33, v2
	v_cndmask_b32_e32 v2, v5, v10, vcc
	v_mov_b32_e32 v4, v0
	v_lshlrev_b64 v[0:1], 2, v[3:4]
	v_mov_b32_e32 v3, s30
	v_add_co_u32_e32 v0, vcc, s29, v0
	v_addc_co_u32_e32 v1, vcc, v3, v1, vcc
	global_store_dword v[0:1], v2, off
	s_endpgm
.LBB64_36:
	ds_read_b32 v6, v7 offset:64
	s_waitcnt lgkmcnt(0)
	ds_write_b32 v3, v6
	s_or_b64 exec, exec, s[4:5]
	v_cmp_lt_u32_e32 vcc, 20, v8
	s_and_saveexec_b64 s[4:5], vcc
	s_cbranch_execz .LBB64_23
.LBB64_37:
	ds_read_b32 v6, v7 offset:80
	s_waitcnt lgkmcnt(0)
	ds_write_b32 v4, v6
	s_or_b64 exec, exec, s[4:5]
	v_cmp_lt_u32_e32 vcc, 24, v8
	s_and_saveexec_b64 s[4:5], vcc
	s_cbranch_execz .LBB64_24
.LBB64_38:
	ds_read_b32 v6, v7 offset:96
	s_waitcnt lgkmcnt(0)
	ds_write_b32 v5, v6
	s_or_b64 exec, exec, s[4:5]
	v_cmp_lt_u32_e32 vcc, 28, v8
	s_and_saveexec_b64 s[4:5], vcc
	s_cbranch_execnz .LBB64_25
	s_branch .LBB64_26
	.section	.rodata,"a",@progbits
	.p2align	6, 0x0
	.amdhsa_kernel _ZL50rocblas_symv_kernel_upper_double_buffered_diagonalILi32ELi4E24rocblas_internal_val_ptrIfEPKfPfEvbiT1_lT2_lllS6_lllS5_lT3_llli
		.amdhsa_group_segment_fixed_size 5248
		.amdhsa_private_segment_fixed_size 0
		.amdhsa_kernarg_size 140
		.amdhsa_user_sgpr_count 6
		.amdhsa_user_sgpr_private_segment_buffer 1
		.amdhsa_user_sgpr_dispatch_ptr 0
		.amdhsa_user_sgpr_queue_ptr 0
		.amdhsa_user_sgpr_kernarg_segment_ptr 1
		.amdhsa_user_sgpr_dispatch_id 0
		.amdhsa_user_sgpr_flat_scratch_init 0
		.amdhsa_user_sgpr_private_segment_size 0
		.amdhsa_uses_dynamic_stack 0
		.amdhsa_system_sgpr_private_segment_wavefront_offset 0
		.amdhsa_system_sgpr_workgroup_id_x 1
		.amdhsa_system_sgpr_workgroup_id_y 0
		.amdhsa_system_sgpr_workgroup_id_z 1
		.amdhsa_system_sgpr_workgroup_info 0
		.amdhsa_system_vgpr_workitem_id 1
		.amdhsa_next_free_vgpr 37
		.amdhsa_next_free_sgpr 93
		.amdhsa_reserve_vcc 1
		.amdhsa_reserve_flat_scratch 0
		.amdhsa_float_round_mode_32 0
		.amdhsa_float_round_mode_16_64 0
		.amdhsa_float_denorm_mode_32 3
		.amdhsa_float_denorm_mode_16_64 3
		.amdhsa_dx10_clamp 1
		.amdhsa_ieee_mode 1
		.amdhsa_fp16_overflow 0
		.amdhsa_exception_fp_ieee_invalid_op 0
		.amdhsa_exception_fp_denorm_src 0
		.amdhsa_exception_fp_ieee_div_zero 0
		.amdhsa_exception_fp_ieee_overflow 0
		.amdhsa_exception_fp_ieee_underflow 0
		.amdhsa_exception_fp_ieee_inexact 0
		.amdhsa_exception_int_div_zero 0
	.end_amdhsa_kernel
	.section	.text._ZL50rocblas_symv_kernel_upper_double_buffered_diagonalILi32ELi4E24rocblas_internal_val_ptrIfEPKfPfEvbiT1_lT2_lllS6_lllS5_lT3_llli,"axG",@progbits,_ZL50rocblas_symv_kernel_upper_double_buffered_diagonalILi32ELi4E24rocblas_internal_val_ptrIfEPKfPfEvbiT1_lT2_lllS6_lllS5_lT3_llli,comdat
.Lfunc_end64:
	.size	_ZL50rocblas_symv_kernel_upper_double_buffered_diagonalILi32ELi4E24rocblas_internal_val_ptrIfEPKfPfEvbiT1_lT2_lllS6_lllS5_lT3_llli, .Lfunc_end64-_ZL50rocblas_symv_kernel_upper_double_buffered_diagonalILi32ELi4E24rocblas_internal_val_ptrIfEPKfPfEvbiT1_lT2_lllS6_lllS5_lT3_llli
                                        ; -- End function
	.set _ZL50rocblas_symv_kernel_upper_double_buffered_diagonalILi32ELi4E24rocblas_internal_val_ptrIfEPKfPfEvbiT1_lT2_lllS6_lllS5_lT3_llli.num_vgpr, 18
	.set _ZL50rocblas_symv_kernel_upper_double_buffered_diagonalILi32ELi4E24rocblas_internal_val_ptrIfEPKfPfEvbiT1_lT2_lllS6_lllS5_lT3_llli.num_agpr, 0
	.set _ZL50rocblas_symv_kernel_upper_double_buffered_diagonalILi32ELi4E24rocblas_internal_val_ptrIfEPKfPfEvbiT1_lT2_lllS6_lllS5_lT3_llli.numbered_sgpr, 34
	.set _ZL50rocblas_symv_kernel_upper_double_buffered_diagonalILi32ELi4E24rocblas_internal_val_ptrIfEPKfPfEvbiT1_lT2_lllS6_lllS5_lT3_llli.num_named_barrier, 0
	.set _ZL50rocblas_symv_kernel_upper_double_buffered_diagonalILi32ELi4E24rocblas_internal_val_ptrIfEPKfPfEvbiT1_lT2_lllS6_lllS5_lT3_llli.private_seg_size, 0
	.set _ZL50rocblas_symv_kernel_upper_double_buffered_diagonalILi32ELi4E24rocblas_internal_val_ptrIfEPKfPfEvbiT1_lT2_lllS6_lllS5_lT3_llli.uses_vcc, 1
	.set _ZL50rocblas_symv_kernel_upper_double_buffered_diagonalILi32ELi4E24rocblas_internal_val_ptrIfEPKfPfEvbiT1_lT2_lllS6_lllS5_lT3_llli.uses_flat_scratch, 0
	.set _ZL50rocblas_symv_kernel_upper_double_buffered_diagonalILi32ELi4E24rocblas_internal_val_ptrIfEPKfPfEvbiT1_lT2_lllS6_lllS5_lT3_llli.has_dyn_sized_stack, 0
	.set _ZL50rocblas_symv_kernel_upper_double_buffered_diagonalILi32ELi4E24rocblas_internal_val_ptrIfEPKfPfEvbiT1_lT2_lllS6_lllS5_lT3_llli.has_recursion, 0
	.set _ZL50rocblas_symv_kernel_upper_double_buffered_diagonalILi32ELi4E24rocblas_internal_val_ptrIfEPKfPfEvbiT1_lT2_lllS6_lllS5_lT3_llli.has_indirect_call, 0
	.section	.AMDGPU.csdata,"",@progbits
; Kernel info:
; codeLenInByte = 1936
; TotalNumSgprs: 38
; NumVgprs: 18
; ScratchSize: 0
; MemoryBound: 0
; FloatMode: 240
; IeeeMode: 1
; LDSByteSize: 5248 bytes/workgroup (compile time only)
; SGPRBlocks: 12
; VGPRBlocks: 9
; NumSGPRsForWavesPerEU: 97
; NumVGPRsForWavesPerEU: 37
; Occupancy: 6
; WaveLimiterHint : 0
; COMPUTE_PGM_RSRC2:SCRATCH_EN: 0
; COMPUTE_PGM_RSRC2:USER_SGPR: 6
; COMPUTE_PGM_RSRC2:TRAP_HANDLER: 0
; COMPUTE_PGM_RSRC2:TGID_X_EN: 1
; COMPUTE_PGM_RSRC2:TGID_Y_EN: 0
; COMPUTE_PGM_RSRC2:TGID_Z_EN: 1
; COMPUTE_PGM_RSRC2:TIDIG_COMP_CNT: 1
	.section	.text._ZL54rocblas_symv_kernel_upper_double_buffered_non_diagonalILi32ELi4ELi4E24rocblas_internal_val_ptrIfEPKfPfEvbiT2_lT3_lllS6_lllT4_llli,"axG",@progbits,_ZL54rocblas_symv_kernel_upper_double_buffered_non_diagonalILi32ELi4ELi4E24rocblas_internal_val_ptrIfEPKfPfEvbiT2_lT3_lllS6_lllT4_llli,comdat
	.globl	_ZL54rocblas_symv_kernel_upper_double_buffered_non_diagonalILi32ELi4ELi4E24rocblas_internal_val_ptrIfEPKfPfEvbiT2_lT3_lllS6_lllT4_llli ; -- Begin function _ZL54rocblas_symv_kernel_upper_double_buffered_non_diagonalILi32ELi4ELi4E24rocblas_internal_val_ptrIfEPKfPfEvbiT2_lT3_lllS6_lllT4_llli
	.p2align	8
	.type	_ZL54rocblas_symv_kernel_upper_double_buffered_non_diagonalILi32ELi4ELi4E24rocblas_internal_val_ptrIfEPKfPfEvbiT2_lT3_lllS6_lllT4_llli,@function
_ZL54rocblas_symv_kernel_upper_double_buffered_non_diagonalILi32ELi4ELi4E24rocblas_internal_val_ptrIfEPKfPfEvbiT2_lT3_lllS6_lllT4_llli: ; @_ZL54rocblas_symv_kernel_upper_double_buffered_non_diagonalILi32ELi4ELi4E24rocblas_internal_val_ptrIfEPKfPfEvbiT2_lT3_lllS6_lllT4_llli
; %bb.0:
	s_load_dword s0, s[4:5], 0x0
	s_load_dwordx16 s[12:27], s[4:5], 0x8
	s_waitcnt lgkmcnt(0)
	s_bitcmp0_b32 s0, 0
	s_cbranch_scc0 .LBB65_2
; %bb.1:
	s_mul_i32 s0, s15, s8
	s_mul_hi_u32 s1, s14, s8
	s_add_i32 s1, s1, s0
	s_mul_i32 s0, s14, s8
	s_lshl_b64 s[0:1], s[0:1], 2
	s_add_u32 s0, s12, s0
	s_addc_u32 s1, s13, s1
	s_load_dword s28, s[0:1], 0x0
	s_cbranch_execz .LBB65_3
	s_branch .LBB65_4
.LBB65_2:
                                        ; implicit-def: $sgpr28
.LBB65_3:
	s_waitcnt lgkmcnt(0)
	s_mov_b32 s28, s12
.LBB65_4:
	s_waitcnt lgkmcnt(0)
	v_cmp_eq_f32_e64 s[0:1], s28, 0
	s_and_b64 vcc, exec, s[0:1]
	s_cbranch_vccnz .LBB65_29
; %bb.5:
	s_load_dword s10, s[4:5], 0x84
	s_cmp_eq_u32 s6, 0
	s_waitcnt lgkmcnt(0)
	v_cvt_f32_u32_e32 v2, s10
	v_rcp_iflag_f32_e32 v2, v2
	v_mul_f32_e32 v2, 0x4f7ffffe, v2
	v_cvt_u32_f32_e32 v2, v2
	v_readfirstlane_b32 s0, v2
	s_cbranch_scc1 .LBB65_29
; %bb.6:
	s_load_dwordx4 s[12:15], s[4:5], 0x48
	s_sub_i32 s1, 0, s10
	s_mul_i32 s1, s1, s0
	s_mul_hi_u32 s1, s0, s1
	s_add_i32 s0, s0, s1
	s_mul_hi_u32 s11, s6, s0
	s_waitcnt lgkmcnt(0)
	s_mul_i32 s0, s15, s8
	s_mul_hi_u32 s1, s14, s8
	s_add_i32 s1, s1, s0
	s_mul_i32 s0, s14, s8
	s_lshl_b64 s[0:1], s[0:1], 2
	s_add_u32 s2, s24, s0
	s_addc_u32 s3, s25, s1
	s_lshl_b64 s[0:1], s[26:27], 2
	s_add_u32 s9, s2, s0
	s_addc_u32 s26, s3, s1
	s_lshl_b32 s14, s6, 5
	s_ashr_i32 s25, s14, 31
	v_cmp_eq_u32_e32 vcc, 0, v1
	s_and_saveexec_b64 s[2:3], vcc
	s_cbranch_execz .LBB65_8
; %bb.7:
	s_mul_i32 s0, s12, s25
	s_mul_hi_u32 s1, s12, s14
	s_add_i32 s15, s1, s0
	v_mad_u64_u32 v[2:3], s[0:1], s12, v0, 0
	s_mul_i32 s0, s13, s14
	s_add_i32 s1, s15, s0
	v_mad_u64_u32 v[3:4], s[30:31], s13, v0, v[3:4]
	s_mul_i32 s0, s12, s14
	s_lshl_b64 s[0:1], s[0:1], 2
	s_add_u32 s0, s9, s0
	v_lshlrev_b64 v[2:3], 2, v[2:3]
	s_addc_u32 s1, s26, s1
	v_mov_b32_e32 v4, s1
	v_add_co_u32_e64 v2, s[0:1], s0, v2
	v_addc_co_u32_e64 v3, s[0:1], v4, v3, s[0:1]
	global_load_dword v2, v[2:3], off
	v_lshlrev_b32_e32 v3, 2, v0
	s_waitcnt vmcnt(0)
	ds_write_b32 v3, v2 offset:3072
.LBB65_8:
	s_or_b64 exec, exec, s[2:3]
	s_mul_i32 s0, s11, s10
	s_sub_i32 s0, s6, s0
	s_add_i32 s1, s11, 1
	s_sub_i32 s2, s0, s10
	s_cmp_ge_u32 s0, s10
	s_cselect_b32 s1, s1, s11
	s_cselect_b32 s0, s2, s0
	s_add_i32 s2, s1, 1
	s_cmp_ge_u32 s0, s10
	s_cselect_b32 s11, s2, s1
	s_add_i32 s0, s10, -1
	s_cmp_lg_u32 s7, s0
	s_mov_b32 s27, s11
	s_cbranch_scc1 .LBB65_10
; %bb.9:
	s_mul_i32 s0, s11, s10
	s_sub_i32 s0, s6, s0
	s_add_i32 s27, s0, s11
.LBB65_10:
	s_cmp_eq_u32 s27, 0
	s_cbranch_scc1 .LBB65_29
; %bb.11:
	s_load_dwordx2 s[30:31], s[4:5], 0x70
	s_load_dwordx2 s[34:35], s[4:5], 0x58
	s_load_dwordx4 s[0:3], s[4:5], 0x60
	v_lshl_add_u32 v2, v1, 5, v0
	v_and_b32_e32 v1, 15, v0
	s_waitcnt lgkmcnt(0)
	s_mul_i32 s5, s31, s8
	s_mul_hi_u32 s6, s30, s8
	s_mul_i32 s4, s30, s8
	s_add_i32 s5, s6, s5
	s_lshl_b64 s[4:5], s[4:5], 2
	s_add_u32 s4, s34, s4
	s_addc_u32 s5, s35, s5
	s_lshl_b64 s[0:1], s[0:1], 2
	s_add_u32 s15, s4, s0
	s_addc_u32 s24, s5, s1
	v_lshrrev_b32_e32 v17, 4, v2
	s_cmp_lt_i32 s27, 1
	s_barrier
	s_cbranch_scc1 .LBB65_20
; %bb.12:
	s_mul_i32 s7, s7, s11
	s_mul_i32 s0, s23, s8
	s_mul_hi_u32 s1, s22, s8
	s_lshl_b32 s6, s7, 5
	s_add_i32 s1, s1, s0
	s_mul_i32 s0, s22, s8
	s_ashr_i32 s7, s6, 31
	s_lshl_b64 s[0:1], s[0:1], 2
	s_add_u32 s4, s16, s0
	s_addc_u32 s5, s17, s1
	s_lshl_b64 s[0:1], s[18:19], 2
	s_add_u32 s8, s4, s0
	s_addc_u32 s10, s5, s1
	s_mul_i32 s0, s20, s25
	s_mul_hi_u32 s1, s20, s14
	v_lshlrev_b32_e32 v5, 2, v17
	v_mov_b32_e32 v2, 0
	s_add_i32 s0, s1, s0
	s_mul_i32 s1, s21, s14
	v_mad_u64_u32 v[3:4], s[4:5], s20, v5, v[1:2]
	s_add_i32 s1, s0, s1
	s_mul_i32 s0, s20, s14
	s_lshl_b64 s[0:1], s[0:1], 2
	s_add_u32 s4, s8, s0
	s_addc_u32 s5, s10, s1
	v_mad_u64_u32 v[4:5], s[0:1], s21, v5, v[4:5]
	s_lshl_b64 s[0:1], s[6:7], 2
	s_add_u32 s16, s4, s0
	v_lshlrev_b64 v[5:6], 2, v[3:4]
	s_addc_u32 s17, s5, s1
	v_mov_b32_e32 v4, s17
	v_add_co_u32_e64 v3, s[0:1], s16, v5
	v_addc_co_u32_e64 v4, s[0:1], v4, v6, s[0:1]
	s_lshl_b64 s[4:5], s[20:21], 2
	v_mov_b32_e32 v14, s5
	v_add_co_u32_e64 v7, s[0:1], s4, v3
	v_addc_co_u32_e64 v8, s[0:1], v4, v14, s[0:1]
	v_add_co_u32_e64 v9, s[0:1], s4, v7
	v_addc_co_u32_e64 v10, s[0:1], v8, v14, s[0:1]
	v_mad_u64_u32 v[11:12], s[0:1], s12, v1, 0
	v_add_co_u32_e64 v13, s[0:1], s4, v9
	v_addc_co_u32_e64 v14, s[0:1], v10, v14, s[0:1]
	v_mad_u64_u32 v[15:16], s[0:1], s13, v1, v[12:13]
	s_mul_i32 s0, s2, s7
	s_mul_hi_u32 s1, s2, s6
	s_add_i32 s0, s1, s0
	s_mul_i32 s1, s3, s6
	s_add_i32 s1, s0, s1
	s_mul_i32 s0, s2, s6
	s_lshl_b64 s[0:1], s[0:1], 2
	s_add_u32 s10, s15, s0
	s_addc_u32 s11, s24, s1
	s_mul_i32 s0, s12, s7
	s_mul_hi_u32 s1, s12, s6
	s_add_i32 s0, s1, s0
	s_mul_i32 s1, s13, s6
	s_add_i32 s1, s0, s1
	s_mul_i32 s0, s12, s6
	v_mov_b32_e32 v12, v15
	s_lshl_b64 s[0:1], s[0:1], 2
	s_add_u32 s18, s9, s0
	v_lshlrev_b64 v[11:12], 2, v[11:12]
	s_addc_u32 s19, s26, s1
	global_load_dword v25, v[3:4], off
	global_load_dword v26, v[7:8], off
	;; [unrolled: 1-line block ×4, first 2 shown]
	v_mov_b32_e32 v4, s19
	v_add_co_u32_e64 v3, s[0:1], s18, v11
	v_addc_co_u32_e64 v4, s[0:1], v4, v12, s[0:1]
	global_load_dword v29, v[3:4], off
	v_or_b32_e32 v4, 16, v1
	v_mad_u64_u32 v[9:10], s[0:1], s12, v4, 0
	v_mov_b32_e32 v13, 0x800
	v_mov_b32_e32 v14, 0xc00
	;; [unrolled: 1-line block ×3, first 2 shown]
	v_mad_u64_u32 v[7:8], s[0:1], s13, v4, v[3:4]
	v_mad_u64_u32 v[3:4], s[0:1], s2, v0, 0
	v_mov_b32_e32 v10, v7
	v_lshl_or_b32 v22, v1, 2, v13
	v_mad_u64_u32 v[7:8], s[0:1], s3, v0, v[4:5]
	v_lshl_add_u32 v24, v17, 4, v14
	v_lshlrev_b32_e32 v23, 7, v17
	v_lshl_or_b32 v21, v0, 2, v13
	v_mov_b32_e32 v4, v7
	s_cmp_eq_u32 s27, 1
	s_cbranch_scc1 .LBB65_21
; %bb.13:
	s_lshl_b64 s[6:7], s[12:13], 7
	s_lshl_b64 s[8:9], s[2:3], 7
	s_add_i32 s22, s27, -2
	s_lshl_b64 s[0:1], s[20:21], 3
	s_sub_u32 s20, 0, s0
	v_mov_b32_e32 v18, 0
	v_mov_b32_e32 v7, s10
	s_subb_u32 s21, 0, s1
	s_mov_b32 s23, 0
	v_mov_b32_e32 v8, s11
	v_mov_b32_e32 v20, 0
	v_mov_b32_e32 v19, 0
	v_mov_b32_e32 v2, v18
.LBB65_14:                              ; =>This Loop Header: Depth=1
                                        ;     Child Loop BB65_16 Depth 2
	v_mov_b32_e32 v14, s17
	v_add_co_u32_e64 v13, s[0:1], s16, v5
	v_addc_co_u32_e64 v14, s[0:1], v14, v6, s[0:1]
	v_mov_b32_e32 v16, s5
	v_add_co_u32_e64 v15, s[0:1], s4, v13
	v_addc_co_u32_e64 v16, s[0:1], v14, v16, s[0:1]
	;; [unrolled: 3-line block ×3, first 2 shown]
	v_add_co_u32_e64 v32, s[0:1], s4, v30
	v_addc_co_u32_e64 v33, s[0:1], v31, v34, s[0:1]
	global_load_dword v38, v[13:14], off offset:64
	global_load_dword v36, v[15:16], off offset:64
	;; [unrolled: 1-line block ×4, first 2 shown]
	v_lshlrev_b64 v[15:16], 2, v[9:10]
	v_mov_b32_e32 v30, s19
	v_add_co_u32_e64 v15, s[0:1], s18, v15
	v_addc_co_u32_e64 v16, s[0:1], v30, v16, s[0:1]
	v_mov_b32_e32 v31, s21
	global_load_dword v39, v[15:16], off
	v_add_co_u32_e64 v15, s[0:1], s20, v32
	v_addc_co_u32_e64 v16, s[0:1], v33, v31, s[0:1]
	v_add_co_u32_e64 v40, s[0:1], s4, v15
	v_addc_co_u32_e64 v41, s[0:1], v16, v34, s[0:1]
	v_add_co_u32_e64 v42, s[0:1], s4, v40
	s_add_u32 s18, s18, s6
	v_addc_co_u32_e64 v43, s[0:1], v41, v34, s[0:1]
	s_addc_u32 s19, s19, s7
	v_mov_b32_e32 v30, s19
	v_add_co_u32_e64 v44, s[0:1], s18, v11
	v_addc_co_u32_e64 v45, s[0:1], v30, v12, s[0:1]
	global_load_dword v34, v[44:45], off
	global_load_dword v32, v[15:16], off offset:128
	global_load_dword v31, v[40:41], off offset:128
	global_load_dword v30, v[42:43], off offset:128
	global_load_dword v33, v[13:14], off offset:128
	ds_read_b128 v[13:16], v24
	v_add_u32_e32 v40, v22, v23
	s_waitcnt vmcnt(0) lgkmcnt(0)
	s_barrier
	v_fma_f32 v41, v25, v13, 0
	v_fmac_f32_e32 v41, v26, v14
	v_fmac_f32_e32 v41, v27, v15
	v_fmac_f32_e32 v41, v28, v16
	v_fma_f32 v13, v38, v13, 0
	v_fmac_f32_e32 v13, v36, v14
	v_fmac_f32_e32 v13, v35, v15
	;; [unrolled: 1-line block ×3, first 2 shown]
	ds_write2_b32 v40, v41, v13 offset1:16
	s_waitcnt lgkmcnt(0)
	s_barrier
	s_and_saveexec_b64 s[10:11], vcc
	s_cbranch_execz .LBB65_18
; %bb.15:                               ;   in Loop: Header=BB65_14 Depth=1
	v_lshlrev_b64 v[13:14], 2, v[3:4]
	s_mov_b64 s[12:13], 0
	v_add_co_u32_e64 v13, s[0:1], v7, v13
	v_addc_co_u32_e64 v14, s[0:1], v8, v14, s[0:1]
	global_load_dword v16, v[13:14], off
	ds_read2_b32 v[40:41], v21 offset1:32
	ds_read2_b32 v[42:43], v21 offset0:64 offset1:96
	ds_read2_b32 v[44:45], v21 offset0:128 offset1:160
	s_waitcnt lgkmcnt(2)
	v_add_f32_e32 v15, 0, v40
	v_add_f32_e32 v15, v15, v41
	ds_read2_b32 v[40:41], v21 offset0:192 offset1:224
	s_waitcnt lgkmcnt(2)
	v_add_f32_e32 v15, v15, v42
	v_add_f32_e32 v15, v15, v43
	s_waitcnt lgkmcnt(1)
	v_add_f32_e32 v15, v15, v44
	v_add_f32_e32 v15, v15, v45
	;; [unrolled: 3-line block ×3, first 2 shown]
	v_mul_f32_e32 v40, s28, v15
.LBB65_16:                              ;   Parent Loop BB65_14 Depth=1
                                        ; =>  This Inner Loop Header: Depth=2
	s_waitcnt vmcnt(0)
	v_add_f32_e32 v15, v16, v40
	global_atomic_cmpswap v15, v[13:14], v[15:16], off glc
	s_waitcnt vmcnt(0)
	v_cmp_eq_u32_e64 s[0:1], v15, v16
	s_or_b64 s[12:13], s[0:1], s[12:13]
	v_mov_b32_e32 v16, v15
	s_andn2_b64 exec, exec, s[12:13]
	s_cbranch_execnz .LBB65_16
; %bb.17:                               ;   in Loop: Header=BB65_14 Depth=1
	s_or_b64 exec, exec, s[12:13]
	v_mov_b32_e32 v13, s9
	v_add_co_u32_e64 v7, s[0:1], s8, v7
	v_addc_co_u32_e64 v8, s[0:1], v8, v13, s[0:1]
.LBB65_18:                              ;   in Loop: Header=BB65_14 Depth=1
	s_or_b64 exec, exec, s[10:11]
	s_add_u32 s16, s16, 0x80
	v_fmac_f32_e32 v18, v29, v25
	v_fmac_f32_e32 v20, v29, v26
	;; [unrolled: 1-line block ×4, first 2 shown]
	s_addc_u32 s17, s17, 0
	s_add_i32 s0, s23, 1
	v_fmac_f32_e32 v18, v39, v38
	v_fmac_f32_e32 v20, v39, v36
	;; [unrolled: 1-line block ×4, first 2 shown]
	s_cmp_eq_u32 s23, s22
	s_cbranch_scc1 .LBB65_22
; %bb.19:                               ;   in Loop: Header=BB65_14 Depth=1
	s_mov_b32 s23, s0
	v_mov_b32_e32 v29, v34
	v_mov_b32_e32 v25, v33
	;; [unrolled: 1-line block ×5, first 2 shown]
	s_branch .LBB65_14
.LBB65_20:
	v_mov_b32_e32 v2, 0
	v_mov_b32_e32 v19, v2
	;; [unrolled: 1-line block ×4, first 2 shown]
	s_branch .LBB65_26
.LBB65_21:
	v_mov_b32_e32 v7, s10
	v_mov_b32_e32 v8, s11
	s_waitcnt vmcnt(1)
	v_mov_b32_e32 v30, v28
	v_mov_b32_e32 v31, v27
	;; [unrolled: 1-line block ×7, first 2 shown]
	s_waitcnt vmcnt(0)
	v_mov_b32_e32 v34, v29
.LBB65_22:
	v_lshlrev_b64 v[13:14], 2, v[9:10]
	v_mov_b32_e32 v9, s17
	v_add_co_u32_e64 v5, s[0:1], s16, v5
	v_addc_co_u32_e64 v6, s[0:1], v9, v6, s[0:1]
	v_mov_b32_e32 v9, s5
	v_add_co_u32_e64 v15, s[0:1], s4, v5
	v_addc_co_u32_e64 v16, s[0:1], v6, v9, s[0:1]
	v_add_co_u32_e64 v25, s[0:1], s4, v15
	v_addc_co_u32_e64 v26, s[0:1], v16, v9, s[0:1]
	;; [unrolled: 2-line block ×3, first 2 shown]
	v_mov_b32_e32 v29, s19
	global_load_dword v12, v[5:6], off offset:64
	global_load_dword v10, v[15:16], off offset:64
	;; [unrolled: 1-line block ×4, first 2 shown]
	v_add_co_u32_e64 v5, s[0:1], s18, v13
	v_addc_co_u32_e64 v6, s[0:1], v29, v14, s[0:1]
	global_load_dword v13, v[5:6], off
	ds_read_b128 v[24:27], v24
	v_fmac_f32_e32 v18, v34, v33
	v_fmac_f32_e32 v20, v34, v32
	;; [unrolled: 1-line block ×4, first 2 shown]
	s_waitcnt lgkmcnt(0)
	v_fma_f32 v6, v33, v24, 0
	v_fmac_f32_e32 v6, v32, v25
	v_fmac_f32_e32 v6, v31, v26
	v_add_u32_e32 v5, v22, v23
	v_fmac_f32_e32 v6, v30, v27
	s_waitcnt vmcnt(0)
	s_barrier
	v_fma_f32 v14, v12, v24, 0
	v_fmac_f32_e32 v14, v10, v25
	v_fmac_f32_e32 v14, v9, v26
	;; [unrolled: 1-line block ×3, first 2 shown]
	ds_write2_b32 v5, v6, v14 offset1:16
	s_waitcnt lgkmcnt(0)
	s_barrier
	s_and_saveexec_b64 s[4:5], vcc
	s_cbranch_execz .LBB65_25
; %bb.23:
	v_lshlrev_b64 v[3:4], 2, v[3:4]
	s_mov_b64 s[6:7], 0
	v_add_co_u32_e64 v3, s[0:1], v7, v3
	v_addc_co_u32_e64 v4, s[0:1], v8, v4, s[0:1]
	global_load_dword v6, v[3:4], off
	ds_read2_b32 v[7:8], v21 offset1:32
	ds_read2_b32 v[14:15], v21 offset0:64 offset1:96
	ds_read2_b32 v[22:23], v21 offset0:128 offset1:160
	s_waitcnt lgkmcnt(2)
	v_add_f32_e32 v5, 0, v7
	v_add_f32_e32 v5, v5, v8
	ds_read2_b32 v[7:8], v21 offset0:192 offset1:224
	s_waitcnt lgkmcnt(2)
	v_add_f32_e32 v5, v5, v14
	v_add_f32_e32 v5, v5, v15
	s_waitcnt lgkmcnt(1)
	v_add_f32_e32 v5, v5, v22
	v_add_f32_e32 v5, v5, v23
	;; [unrolled: 3-line block ×3, first 2 shown]
	v_mul_f32_e32 v7, s28, v5
.LBB65_24:                              ; =>This Inner Loop Header: Depth=1
	s_waitcnt vmcnt(0)
	v_add_f32_e32 v5, v6, v7
	global_atomic_cmpswap v5, v[3:4], v[5:6], off glc
	s_waitcnt vmcnt(0)
	v_cmp_eq_u32_e64 s[0:1], v5, v6
	s_or_b64 s[6:7], s[0:1], s[6:7]
	v_mov_b32_e32 v6, v5
	s_andn2_b64 exec, exec, s[6:7]
	s_cbranch_execnz .LBB65_24
.LBB65_25:
	s_or_b64 exec, exec, s[4:5]
	v_fmac_f32_e32 v18, v13, v12
	v_fmac_f32_e32 v20, v13, v10
	;; [unrolled: 1-line block ×4, first 2 shown]
.LBB65_26:
	v_lshlrev_b32_e32 v3, 8, v17
	v_lshl_or_b32 v3, v1, 2, v3
	ds_write2_b32 v3, v18, v20 offset1:16
	ds_write2_b32 v3, v19, v2 offset0:32 offset1:48
	s_waitcnt lgkmcnt(0)
	s_barrier
	s_and_saveexec_b64 s[0:1], vcc
	s_cbranch_execz .LBB65_29
; %bb.27:
	s_mul_i32 s0, s2, s25
	s_mul_hi_u32 s1, s2, s14
	s_add_i32 s4, s1, s0
	v_mad_u64_u32 v[2:3], s[0:1], s2, v0, 0
	s_mul_i32 s5, s3, s14
	s_mul_i32 s0, s2, s14
	v_mad_u64_u32 v[3:4], s[2:3], s3, v0, v[3:4]
	s_add_i32 s1, s4, s5
	s_lshl_b64 s[0:1], s[0:1], 2
	s_add_u32 s0, s15, s0
	v_lshlrev_b64 v[2:3], 2, v[2:3]
	s_addc_u32 s1, s24, s1
	v_mov_b32_e32 v5, s1
	v_add_co_u32_e32 v2, vcc, s0, v2
	v_addc_co_u32_e32 v3, vcc, v5, v3, vcc
	global_load_dword v5, v[2:3], off
	v_add_u32_e32 v7, 1, v0
	v_add_u32_e32 v8, 2, v0
	;; [unrolled: 1-line block ×7, first 2 shown]
	v_lshlrev_b32_e32 v4, 6, v0
	v_and_b32_e32 v7, 15, v7
	v_and_b32_e32 v8, 15, v8
	;; [unrolled: 1-line block ×7, first 2 shown]
	v_lshl_or_b32 v6, v1, 2, v4
	v_lshl_or_b32 v7, v7, 2, v4
	v_lshl_or_b32 v8, v8, 2, v4
	v_lshl_or_b32 v9, v9, 2, v4
	v_lshl_or_b32 v10, v10, 2, v4
	v_lshl_or_b32 v11, v11, 2, v4
	v_lshl_or_b32 v12, v12, 2, v4
	v_lshl_or_b32 v13, v13, 2, v4
	ds_read_b32 v6, v6
	ds_read_b32 v7, v7
	;; [unrolled: 1-line block ×8, first 2 shown]
	s_waitcnt lgkmcnt(7)
	v_add_f32_e32 v6, 0, v6
	s_waitcnt lgkmcnt(6)
	v_add_f32_e32 v6, v6, v7
	;; [unrolled: 2-line block ×7, first 2 shown]
	v_add_u32_e32 v7, 9, v0
	v_add_u32_e32 v8, 10, v0
	;; [unrolled: 1-line block ×6, first 2 shown]
	v_add_u32_e32 v0, -1, v0
	v_xor_b32_e32 v1, 8, v1
	v_and_b32_e32 v7, 15, v7
	v_and_b32_e32 v8, 15, v8
	;; [unrolled: 1-line block ×6, first 2 shown]
	v_lshl_or_b32 v1, v1, 2, v4
	v_lshl_or_b32 v7, v7, 2, v4
	;; [unrolled: 1-line block ×6, first 2 shown]
	v_and_b32_e32 v12, 15, v12
	v_lshl_or_b32 v0, v0, 2, v4
	s_waitcnt lgkmcnt(0)
	v_add_f32_e32 v6, v6, v13
	v_lshl_or_b32 v12, v12, 2, v4
	ds_read_b32 v1, v1
	ds_read_b32 v4, v7
	;; [unrolled: 1-line block ×8, first 2 shown]
	s_waitcnt lgkmcnt(7)
	v_add_f32_e32 v1, v6, v1
	s_waitcnt lgkmcnt(6)
	v_add_f32_e32 v1, v1, v4
	;; [unrolled: 2-line block ×8, first 2 shown]
	v_mul_f32_e32 v0, s28, v0
	s_mov_b64 s[0:1], 0
.LBB65_28:                              ; =>This Inner Loop Header: Depth=1
	s_waitcnt vmcnt(0)
	v_add_f32_e32 v4, v5, v0
	global_atomic_cmpswap v1, v[2:3], v[4:5], off glc
	s_waitcnt vmcnt(0)
	v_cmp_eq_u32_e32 vcc, v1, v5
	s_or_b64 s[0:1], vcc, s[0:1]
	v_mov_b32_e32 v5, v1
	s_andn2_b64 exec, exec, s[0:1]
	s_cbranch_execnz .LBB65_28
.LBB65_29:
	s_endpgm
	.section	.rodata,"a",@progbits
	.p2align	6, 0x0
	.amdhsa_kernel _ZL54rocblas_symv_kernel_upper_double_buffered_non_diagonalILi32ELi4ELi4E24rocblas_internal_val_ptrIfEPKfPfEvbiT2_lT3_lllS6_lllT4_llli
		.amdhsa_group_segment_fixed_size 3200
		.amdhsa_private_segment_fixed_size 0
		.amdhsa_kernarg_size 384
		.amdhsa_user_sgpr_count 6
		.amdhsa_user_sgpr_private_segment_buffer 1
		.amdhsa_user_sgpr_dispatch_ptr 0
		.amdhsa_user_sgpr_queue_ptr 0
		.amdhsa_user_sgpr_kernarg_segment_ptr 1
		.amdhsa_user_sgpr_dispatch_id 0
		.amdhsa_user_sgpr_flat_scratch_init 0
		.amdhsa_user_sgpr_private_segment_size 0
		.amdhsa_uses_dynamic_stack 0
		.amdhsa_system_sgpr_private_segment_wavefront_offset 0
		.amdhsa_system_sgpr_workgroup_id_x 1
		.amdhsa_system_sgpr_workgroup_id_y 1
		.amdhsa_system_sgpr_workgroup_id_z 1
		.amdhsa_system_sgpr_workgroup_info 0
		.amdhsa_system_vgpr_workitem_id 1
		.amdhsa_next_free_vgpr 46
		.amdhsa_next_free_sgpr 61
		.amdhsa_reserve_vcc 1
		.amdhsa_reserve_flat_scratch 0
		.amdhsa_float_round_mode_32 0
		.amdhsa_float_round_mode_16_64 0
		.amdhsa_float_denorm_mode_32 3
		.amdhsa_float_denorm_mode_16_64 3
		.amdhsa_dx10_clamp 1
		.amdhsa_ieee_mode 1
		.amdhsa_fp16_overflow 0
		.amdhsa_exception_fp_ieee_invalid_op 0
		.amdhsa_exception_fp_denorm_src 0
		.amdhsa_exception_fp_ieee_div_zero 0
		.amdhsa_exception_fp_ieee_overflow 0
		.amdhsa_exception_fp_ieee_underflow 0
		.amdhsa_exception_fp_ieee_inexact 0
		.amdhsa_exception_int_div_zero 0
	.end_amdhsa_kernel
	.section	.text._ZL54rocblas_symv_kernel_upper_double_buffered_non_diagonalILi32ELi4ELi4E24rocblas_internal_val_ptrIfEPKfPfEvbiT2_lT3_lllS6_lllT4_llli,"axG",@progbits,_ZL54rocblas_symv_kernel_upper_double_buffered_non_diagonalILi32ELi4ELi4E24rocblas_internal_val_ptrIfEPKfPfEvbiT2_lT3_lllS6_lllT4_llli,comdat
.Lfunc_end65:
	.size	_ZL54rocblas_symv_kernel_upper_double_buffered_non_diagonalILi32ELi4ELi4E24rocblas_internal_val_ptrIfEPKfPfEvbiT2_lT3_lllS6_lllT4_llli, .Lfunc_end65-_ZL54rocblas_symv_kernel_upper_double_buffered_non_diagonalILi32ELi4ELi4E24rocblas_internal_val_ptrIfEPKfPfEvbiT2_lT3_lllS6_lllT4_llli
                                        ; -- End function
	.set _ZL54rocblas_symv_kernel_upper_double_buffered_non_diagonalILi32ELi4ELi4E24rocblas_internal_val_ptrIfEPKfPfEvbiT2_lT3_lllS6_lllT4_llli.num_vgpr, 46
	.set _ZL54rocblas_symv_kernel_upper_double_buffered_non_diagonalILi32ELi4ELi4E24rocblas_internal_val_ptrIfEPKfPfEvbiT2_lT3_lllS6_lllT4_llli.num_agpr, 0
	.set _ZL54rocblas_symv_kernel_upper_double_buffered_non_diagonalILi32ELi4ELi4E24rocblas_internal_val_ptrIfEPKfPfEvbiT2_lT3_lllS6_lllT4_llli.numbered_sgpr, 36
	.set _ZL54rocblas_symv_kernel_upper_double_buffered_non_diagonalILi32ELi4ELi4E24rocblas_internal_val_ptrIfEPKfPfEvbiT2_lT3_lllS6_lllT4_llli.num_named_barrier, 0
	.set _ZL54rocblas_symv_kernel_upper_double_buffered_non_diagonalILi32ELi4ELi4E24rocblas_internal_val_ptrIfEPKfPfEvbiT2_lT3_lllS6_lllT4_llli.private_seg_size, 0
	.set _ZL54rocblas_symv_kernel_upper_double_buffered_non_diagonalILi32ELi4ELi4E24rocblas_internal_val_ptrIfEPKfPfEvbiT2_lT3_lllS6_lllT4_llli.uses_vcc, 1
	.set _ZL54rocblas_symv_kernel_upper_double_buffered_non_diagonalILi32ELi4ELi4E24rocblas_internal_val_ptrIfEPKfPfEvbiT2_lT3_lllS6_lllT4_llli.uses_flat_scratch, 0
	.set _ZL54rocblas_symv_kernel_upper_double_buffered_non_diagonalILi32ELi4ELi4E24rocblas_internal_val_ptrIfEPKfPfEvbiT2_lT3_lllS6_lllT4_llli.has_dyn_sized_stack, 0
	.set _ZL54rocblas_symv_kernel_upper_double_buffered_non_diagonalILi32ELi4ELi4E24rocblas_internal_val_ptrIfEPKfPfEvbiT2_lT3_lllS6_lllT4_llli.has_recursion, 0
	.set _ZL54rocblas_symv_kernel_upper_double_buffered_non_diagonalILi32ELi4ELi4E24rocblas_internal_val_ptrIfEPKfPfEvbiT2_lT3_lllS6_lllT4_llli.has_indirect_call, 0
	.section	.AMDGPU.csdata,"",@progbits
; Kernel info:
; codeLenInByte = 2836
; TotalNumSgprs: 40
; NumVgprs: 46
; ScratchSize: 0
; MemoryBound: 0
; FloatMode: 240
; IeeeMode: 1
; LDSByteSize: 3200 bytes/workgroup (compile time only)
; SGPRBlocks: 8
; VGPRBlocks: 11
; NumSGPRsForWavesPerEU: 65
; NumVGPRsForWavesPerEU: 46
; Occupancy: 5
; WaveLimiterHint : 0
; COMPUTE_PGM_RSRC2:SCRATCH_EN: 0
; COMPUTE_PGM_RSRC2:USER_SGPR: 6
; COMPUTE_PGM_RSRC2:TRAP_HANDLER: 0
; COMPUTE_PGM_RSRC2:TGID_X_EN: 1
; COMPUTE_PGM_RSRC2:TGID_Y_EN: 1
; COMPUTE_PGM_RSRC2:TGID_Z_EN: 1
; COMPUTE_PGM_RSRC2:TIDIG_COMP_CNT: 1
	.section	.text._ZL58rocblas_symv_kernel_upper_double_buffered_diagonal_genericILi32ELi8E24rocblas_internal_val_ptrIfEPKfPfEvbiT1_lT2_lllS6_lllS5_lT3_lllii,"axG",@progbits,_ZL58rocblas_symv_kernel_upper_double_buffered_diagonal_genericILi32ELi8E24rocblas_internal_val_ptrIfEPKfPfEvbiT1_lT2_lllS6_lllS5_lT3_lllii,comdat
	.globl	_ZL58rocblas_symv_kernel_upper_double_buffered_diagonal_genericILi32ELi8E24rocblas_internal_val_ptrIfEPKfPfEvbiT1_lT2_lllS6_lllS5_lT3_lllii ; -- Begin function _ZL58rocblas_symv_kernel_upper_double_buffered_diagonal_genericILi32ELi8E24rocblas_internal_val_ptrIfEPKfPfEvbiT1_lT2_lllS6_lllS5_lT3_lllii
	.p2align	8
	.type	_ZL58rocblas_symv_kernel_upper_double_buffered_diagonal_genericILi32ELi8E24rocblas_internal_val_ptrIfEPKfPfEvbiT1_lT2_lllS6_lllS5_lT3_lllii,@function
_ZL58rocblas_symv_kernel_upper_double_buffered_diagonal_genericILi32ELi8E24rocblas_internal_val_ptrIfEPKfPfEvbiT1_lT2_lllS6_lllS5_lT3_lllii: ; @_ZL58rocblas_symv_kernel_upper_double_buffered_diagonal_genericILi32ELi8E24rocblas_internal_val_ptrIfEPKfPfEvbiT1_lT2_lllS6_lllS5_lT3_lllii
; %bb.0:
	s_load_dword s0, s[4:5], 0x0
	s_load_dwordx16 s[8:23], s[4:5], 0x8
	s_mov_b64 s[2:3], -1
                                        ; implicit-def: $sgpr33
	s_waitcnt lgkmcnt(0)
	s_bitcmp1_b32 s0, 0
	s_cselect_b64 s[0:1], -1, 0
	s_xor_b64 s[0:1], s[0:1], -1
	s_and_b64 vcc, exec, s[0:1]
	s_cbranch_vccnz .LBB66_13
; %bb.1:
	s_load_dwordx8 s[24:31], s[4:5], 0x48
	s_andn2_b64 vcc, exec, s[2:3]
	s_cbranch_vccz .LBB66_14
.LBB66_2:
	s_andn2_b64 vcc, exec, s[0:1]
	s_cbranch_vccnz .LBB66_4
.LBB66_3:
	s_waitcnt lgkmcnt(0)
	s_mul_i32 s0, s31, s7
	s_mul_hi_u32 s1, s30, s7
	s_add_i32 s1, s1, s0
	s_mul_i32 s0, s30, s7
	s_lshl_b64 s[0:1], s[0:1], 2
	s_add_u32 s0, s28, s0
	s_addc_u32 s1, s29, s1
	s_load_dword s28, s[0:1], 0x0
.LBB66_4:
	s_waitcnt lgkmcnt(0)
	v_cmp_eq_f32_e64 s[0:1], s33, 0
	v_cmp_eq_f32_e64 s[2:3], s28, 1.0
	s_and_b64 s[0:1], s[0:1], s[2:3]
	s_and_b64 vcc, exec, s[0:1]
	s_cbranch_vccnz .LBB66_12
; %bb.5:
	s_load_dwordx2 s[0:1], s[4:5], 0x80
	s_load_dwordx2 s[2:3], s[4:5], 0x68
	s_load_dwordx4 s[8:11], s[4:5], 0x70
	s_load_dword s37, s[4:5], 0x88
	s_waitcnt lgkmcnt(0)
	s_mul_i32 s1, s1, s7
	s_mul_hi_u32 s29, s0, s7
	s_add_i32 s1, s29, s1
	s_mul_i32 s0, s0, s7
	s_lshl_b64 s[0:1], s[0:1], 2
	s_add_u32 s2, s2, s0
	s_addc_u32 s3, s3, s1
	s_lshl_b64 s[0:1], s[8:9], 2
	s_add_u32 s2, s2, s0
	s_addc_u32 s3, s3, s1
	s_lshl_b32 s38, s6, 5
	s_ashr_i32 s39, s38, 31
	s_mul_i32 s0, s10, s39
	s_mul_hi_u32 s1, s10, s38
	s_add_i32 s0, s1, s0
	s_mul_i32 s1, s11, s38
	s_add_i32 s1, s0, s1
	s_mul_i32 s0, s10, s38
	s_lshl_b64 s[0:1], s[0:1], 2
	s_add_u32 s29, s2, s0
	s_addc_u32 s36, s3, s1
	v_cmp_neq_f32_e64 s[0:1], s33, 0
	s_and_b64 vcc, exec, s[0:1]
	v_cmp_eq_u32_e64 s[0:1], 0, v1
	s_cbranch_vccnz .LBB66_15
; %bb.6:
	s_and_saveexec_b64 s[2:3], s[0:1]
	s_cbranch_execz .LBB66_11
; %bb.7:
	v_cmp_gt_i32_e64 s[0:1], s37, v0
	v_cmp_le_i32_e32 vcc, s37, v0
	s_and_saveexec_b64 s[8:9], vcc
	s_cbranch_execz .LBB66_9
; %bb.8:
	s_load_dword s30, s[4:5], 0x90
	s_waitcnt lgkmcnt(0)
	s_add_i32 s30, s30, -1
	s_cmp_lt_u32 s6, s30
	s_cselect_b64 s[30:31], -1, 0
	s_andn2_b64 s[0:1], s[0:1], exec
	s_and_b64 s[30:31], s[30:31], exec
	s_or_b64 s[0:1], s[0:1], s[30:31]
.LBB66_9:
	s_or_b64 exec, exec, s[8:9]
	s_and_b64 exec, exec, s[0:1]
	s_cbranch_execz .LBB66_11
; %bb.10:
	v_mad_u64_u32 v[2:3], s[0:1], s10, v0, 0
	v_mad_u64_u32 v[3:4], s[0:1], s11, v0, v[3:4]
	v_mov_b32_e32 v4, s36
	v_lshlrev_b64 v[2:3], 2, v[2:3]
	v_add_co_u32_e32 v2, vcc, s29, v2
	v_addc_co_u32_e32 v3, vcc, v4, v3, vcc
	global_load_dword v4, v[2:3], off
	s_waitcnt vmcnt(0)
	v_mul_f32_e32 v4, s28, v4
	global_store_dword v[2:3], v4, off
.LBB66_11:
	s_or_b64 exec, exec, s[2:3]
	s_cbranch_execz .LBB66_16
.LBB66_12:
	s_endpgm
.LBB66_13:
	s_mul_i32 s2, s11, s7
	s_mul_hi_u32 s3, s10, s7
	s_add_i32 s3, s3, s2
	s_mul_i32 s2, s10, s7
	s_lshl_b64 s[2:3], s[2:3], 2
	s_add_u32 s2, s8, s2
	s_addc_u32 s3, s9, s3
	s_load_dword s33, s[2:3], 0x0
	s_load_dwordx8 s[24:31], s[4:5], 0x48
	s_cbranch_execnz .LBB66_2
.LBB66_14:
	s_waitcnt lgkmcnt(0)
	s_mov_b32 s33, s8
	s_andn2_b64 vcc, exec, s[0:1]
	s_cbranch_vccz .LBB66_3
	s_branch .LBB66_4
.LBB66_15:
.LBB66_16:
	v_mov_b32_e32 v6, 0
	v_cmp_ne_u32_e64 s[2:3], 0, v1
	v_cmp_eq_u32_e64 s[0:1], 0, v1
	s_and_saveexec_b64 s[8:9], s[0:1]
	s_cbranch_execz .LBB66_23
; %bb.17:
	v_cmp_gt_i32_e64 s[34:35], s37, v0
	v_cmp_le_i32_e32 vcc, s37, v0
	s_and_saveexec_b64 s[30:31], vcc
	s_cbranch_execz .LBB66_19
; %bb.18:
	s_load_dword s40, s[4:5], 0x90
	s_waitcnt lgkmcnt(0)
	s_add_i32 s40, s40, -1
	s_cmp_lt_u32 s6, s40
	s_cselect_b64 s[40:41], -1, 0
	s_andn2_b64 s[34:35], s[34:35], exec
	s_and_b64 s[40:41], s[40:41], exec
	s_or_b64 s[34:35], s[34:35], s[40:41]
.LBB66_19:
	s_or_b64 exec, exec, s[30:31]
	v_mov_b32_e32 v6, 0
	s_and_saveexec_b64 s[30:31], s[34:35]
	s_cbranch_execz .LBB66_22
; %bb.20:
	s_mul_i32 s27, s27, s7
	s_mul_hi_u32 s34, s26, s7
	s_add_i32 s27, s34, s27
	s_mul_i32 s26, s26, s7
	s_lshl_b64 s[26:27], s[26:27], 2
	s_add_u32 s26, s20, s26
	s_addc_u32 s27, s21, s27
	s_lshl_b64 s[20:21], s[22:23], 2
	s_add_u32 s26, s26, s20
	s_addc_u32 s27, s27, s21
	s_mul_i32 s20, s24, s39
	s_mul_hi_u32 s21, s24, s38
	s_add_i32 s22, s21, s20
	v_mad_u64_u32 v[2:3], s[20:21], s24, v0, 0
	s_mul_i32 s20, s25, s38
	s_add_i32 s21, s22, s20
	v_mad_u64_u32 v[3:4], s[22:23], s25, v0, v[3:4]
	s_mul_i32 s20, s24, s38
	s_lshl_b64 s[20:21], s[20:21], 2
	s_add_u32 s20, s26, s20
	v_lshlrev_b64 v[2:3], 2, v[2:3]
	s_addc_u32 s21, s27, s21
	v_mov_b32_e32 v4, s21
	v_add_co_u32_e32 v2, vcc, s20, v2
	v_addc_co_u32_e32 v3, vcc, v4, v3, vcc
	global_load_dword v2, v[2:3], off
	v_cmp_eq_f32_e64 s[20:21], s28, 0
	v_lshlrev_b32_e32 v3, 2, v0
	v_mov_b32_e32 v6, 0
	s_and_b64 vcc, exec, s[20:21]
	s_waitcnt vmcnt(0)
	ds_write_b32 v3, v2 offset:6144
	s_cbranch_vccnz .LBB66_22
; %bb.21:
	v_mad_u64_u32 v[2:3], s[20:21], s10, v0, 0
	v_mad_u64_u32 v[3:4], s[20:21], s11, v0, v[3:4]
	v_mov_b32_e32 v4, s36
	v_lshlrev_b64 v[2:3], 2, v[2:3]
	v_add_co_u32_e32 v2, vcc, s29, v2
	v_addc_co_u32_e32 v3, vcc, v4, v3, vcc
	global_load_dword v2, v[2:3], off
	s_waitcnt vmcnt(0)
	v_mul_f32_e32 v6, s28, v2
.LBB66_22:
	s_or_b64 exec, exec, s[30:31]
.LBB66_23:
	s_or_b64 exec, exec, s[8:9]
	s_mul_i32 s8, s19, s7
	s_mul_hi_u32 s9, s18, s7
	s_add_i32 s9, s9, s8
	s_mul_i32 s8, s18, s7
	s_lshl_b64 s[8:9], s[8:9], 2
	s_add_u32 s7, s12, s8
	s_addc_u32 s18, s13, s9
	s_lshl_b64 s[14:15], s[14:15], 2
	s_add_u32 s7, s7, s14
	s_addc_u32 s22, s18, s15
	s_add_u32 s20, s16, 1
	s_mul_i32 s18, s20, s39
	s_mul_hi_u32 s19, s20, s38
	s_addc_u32 s21, s17, 0
	s_add_i32 s23, s19, s18
	v_mad_u64_u32 v[2:3], s[18:19], s16, v1, 0
	s_mul_i32 s21, s21, s38
	s_add_i32 s19, s23, s21
	s_mul_i32 s18, s20, s38
	v_mad_u64_u32 v[3:4], s[20:21], s17, v1, v[3:4]
	s_lshl_b64 s[18:19], s[18:19], 2
	s_add_u32 s7, s7, s18
	v_lshlrev_b64 v[4:5], 2, v[2:3]
	s_addc_u32 s20, s22, s19
	v_add_co_u32_e32 v3, vcc, s7, v4
	s_load_dword s7, s[4:5], 0x90
	v_mov_b32_e32 v2, s20
	v_addc_co_u32_e32 v8, vcc, v2, v5, vcc
	v_lshlrev_b32_e32 v7, 2, v0
	v_add_co_u32_e32 v2, vcc, v3, v7
	v_addc_co_u32_e32 v3, vcc, 0, v8, vcc
	s_waitcnt lgkmcnt(0)
	s_add_i32 s7, s7, -1
	v_lshlrev_b32_e32 v8, 7, v1
	v_lshlrev_b32_e32 v9, 5, v1
	s_cmp_eq_u32 s6, s7
	s_mov_b64 s[4:5], -1
	v_add_u32_e32 v8, v7, v8
	s_cbranch_scc1 .LBB66_25
; %bb.24:
	s_lshl_b64 s[4:5], s[16:17], 5
	v_mov_b32_e32 v15, s5
	v_add_co_u32_e32 v10, vcc, s4, v2
	v_addc_co_u32_e32 v11, vcc, v3, v15, vcc
	v_add_co_u32_e32 v12, vcc, s4, v10
	v_addc_co_u32_e32 v13, vcc, v11, v15, vcc
	;; [unrolled: 2-line block ×3, first 2 shown]
	global_load_dword v16, v[2:3], off
	global_load_dword v17, v[10:11], off
	global_load_dword v18, v[12:13], off
	global_load_dword v19, v[14:15], off
	s_mov_b64 s[4:5], 0
	s_waitcnt vmcnt(2)
	ds_write2st64_b32 v8, v16, v17 offset1:4
	s_waitcnt vmcnt(0)
	ds_write2st64_b32 v8, v18, v19 offset0:8 offset1:12
.LBB66_25:
	s_andn2_b64 vcc, exec, s[4:5]
	v_add_u32_e32 v10, v9, v0
	s_cbranch_vccnz .LBB66_35
; %bb.26:
	v_cmp_gt_i32_e32 vcc, s37, v0
	v_mov_b32_e32 v11, 0
	s_nor_b64 s[4:5], s[2:3], vcc
	ds_write2st64_b32 v8, v11, v11 offset1:4
	ds_write2st64_b32 v8, v11, v11 offset0:8 offset1:12
	s_and_saveexec_b64 s[2:3], s[4:5]
; %bb.27:
	ds_write_b32 v7, v11 offset:6144
; %bb.28:
	s_or_b64 exec, exec, s[2:3]
	s_and_saveexec_b64 s[2:3], vcc
	s_cbranch_execz .LBB66_34
; %bb.29:
	s_cmp_lt_u32 s37, 8
	s_mov_b32 s20, 0
	s_cbranch_scc1 .LBB66_32
; %bb.30:
	s_lshr_b32 s20, s37, 3
	s_add_u32 s4, s18, s8
	s_addc_u32 s5, s19, s9
	s_add_u32 s4, s14, s4
	s_addc_u32 s5, s15, s5
	v_mov_b32_e32 v12, s5
	v_add_co_u32_e32 v4, vcc, s4, v4
	v_addc_co_u32_e32 v5, vcc, v12, v5, vcc
	v_add_co_u32_e32 v4, vcc, v4, v7
	v_addc_co_u32_e32 v5, vcc, 0, v5, vcc
	v_mov_b32_e32 v12, s13
	v_add_co_u32_e32 v4, vcc, s12, v4
	s_lshl_b64 s[4:5], s[16:17], 5
	v_lshl_add_u32 v11, v9, 2, v7
	v_addc_co_u32_e32 v5, vcc, v12, v5, vcc
	v_mov_b32_e32 v12, s5
	s_mov_b32 s5, s20
.LBB66_31:                              ; =>This Inner Loop Header: Depth=1
	global_load_dword v13, v[4:5], off
	s_add_i32 s5, s5, -1
	v_add_co_u32_e32 v4, vcc, s4, v4
	v_addc_co_u32_e32 v5, vcc, v5, v12, vcc
	s_cmp_lg_u32 s5, 0
	s_waitcnt vmcnt(0)
	ds_write_b32 v11, v13
	v_add_u32_e32 v11, 0x400, v11
	s_cbranch_scc1 .LBB66_31
.LBB66_32:
	s_and_b32 s4, s37, 7
	v_cmp_gt_u32_e32 vcc, s4, v1
	s_and_b64 exec, exec, vcc
	s_cbranch_execz .LBB66_34
; %bb.33:
	s_lshl_b32 s4, s20, 3
	s_mul_i32 s5, s17, s4
	s_mul_hi_u32 s8, s16, s4
	s_add_i32 s5, s8, s5
	s_mul_i32 s4, s16, s4
	s_lshl_b64 s[4:5], s[4:5], 2
	v_mov_b32_e32 v4, s5
	v_add_co_u32_e32 v2, vcc, s4, v2
	v_addc_co_u32_e32 v3, vcc, v3, v4, vcc
	global_load_dword v2, v[2:3], off
	v_lshlrev_b32_e32 v3, 2, v10
	v_lshl_add_u32 v3, s20, 10, v3
	s_waitcnt vmcnt(0)
	ds_write_b32 v3, v2
.LBB66_34:
	s_or_b64 exec, exec, s[2:3]
.LBB66_35:
	v_sub_u32_e32 v2, v0, v1
	v_sub_u32_e32 v3, 0, v2
	s_movk_i32 s2, 0x7c
	v_max_i32_e32 v3, v2, v3
	v_mad_u32_u24 v2, v0, s2, v7
	v_cmp_lt_u32_e32 vcc, 16, v3
	v_lshl_add_u32 v2, v1, 2, v2
	s_waitcnt vmcnt(0) lgkmcnt(0)
	s_barrier
	s_and_saveexec_b64 s[2:3], vcc
	s_cbranch_execnz .LBB66_44
; %bb.36:
	s_or_b64 exec, exec, s[2:3]
	v_cmp_lt_u32_e32 vcc, 24, v3
	s_and_saveexec_b64 s[2:3], vcc
	s_cbranch_execnz .LBB66_45
.LBB66_37:
	s_or_b64 exec, exec, s[2:3]
	v_cmp_ge_u32_e32 vcc, v0, v1
	s_and_saveexec_b64 s[2:3], vcc
	s_cbranch_execz .LBB66_39
.LBB66_38:
	ds_read_b32 v4, v2
	v_lshl_add_u32 v5, v9, 2, v7
	s_waitcnt lgkmcnt(0)
	ds_write_b32 v5, v4
.LBB66_39:
	s_or_b64 exec, exec, s[2:3]
	v_cmp_lt_u32_e32 vcc, 8, v3
	v_mov_b32_e32 v3, 0x400
	v_lshl_add_u32 v3, v1, 7, v3
	v_add_u32_e32 v3, v7, v3
	s_and_saveexec_b64 s[2:3], vcc
	s_cbranch_execz .LBB66_41
; %bb.40:
	ds_read_b32 v2, v2 offset:32
	s_waitcnt lgkmcnt(0)
	ds_write_b32 v3, v2
.LBB66_41:
	s_or_b64 exec, exec, s[2:3]
	v_lshlrev_b32_e32 v2, 2, v1
	v_add_u32_e32 v9, 0x1800, v2
	s_waitcnt lgkmcnt(0)
	s_barrier
	ds_read2_b32 v[4:5], v9 offset1:8
	ds_read_b32 v11, v8
	ds_read_b32 v3, v3
	v_lshl_add_u32 v1, v1, 7, v7
	ds_read2st64_b32 v[1:2], v1 offset0:8 offset1:12
	ds_read2_b32 v[8:9], v9 offset0:16 offset1:24
	s_waitcnt lgkmcnt(3)
	v_fma_f32 v4, v11, v4, 0
	s_waitcnt lgkmcnt(2)
	v_fmac_f32_e32 v4, v3, v5
	s_waitcnt lgkmcnt(0)
	v_fmac_f32_e32 v4, v1, v8
	v_fmac_f32_e32 v4, v2, v9
	v_lshlrev_b32_e32 v1, 2, v10
	ds_write_b32 v1, v4 offset:4096
	s_waitcnt lgkmcnt(0)
	s_barrier
	s_and_saveexec_b64 s[2:3], s[0:1]
	s_cbranch_execz .LBB66_12
; %bb.42:
	s_cmp_lt_u32 s6, s7
	v_cmp_gt_i32_e32 vcc, s37, v0
	s_cselect_b64 s[0:1], -1, 0
	s_or_b64 s[0:1], vcc, s[0:1]
	s_and_b64 exec, exec, s[0:1]
	s_cbranch_execz .LBB66_12
; %bb.43:
	v_add_u32_e32 v5, 0x1000, v7
	ds_read2_b32 v[1:2], v5 offset1:32
	ds_read2_b32 v[3:4], v5 offset0:64 offset1:96
	ds_read2_b32 v[7:8], v5 offset0:128 offset1:160
	;; [unrolled: 1-line block ×3, first 2 shown]
	v_cmp_neq_f32_e64 vcc, s28, 0
	s_waitcnt lgkmcnt(3)
	v_add_f32_e32 v1, 0, v1
	v_add_f32_e32 v1, v1, v2
	s_waitcnt lgkmcnt(2)
	v_add_f32_e32 v1, v1, v3
	v_add_f32_e32 v1, v1, v4
	;; [unrolled: 3-line block ×3, first 2 shown]
	v_mad_u64_u32 v[1:2], s[0:1], s10, v0, 0
	s_waitcnt lgkmcnt(0)
	v_add_f32_e32 v3, v3, v9
	v_add_f32_e32 v4, v3, v10
	v_mad_u64_u32 v[2:3], s[0:1], s11, v0, v[2:3]
	v_mul_f32_e32 v5, s33, v4
	v_fmac_f32_e32 v6, s33, v4
	v_lshlrev_b64 v[0:1], 2, v[1:2]
	v_cndmask_b32_e32 v3, v5, v6, vcc
	v_mov_b32_e32 v2, s36
	v_add_co_u32_e32 v0, vcc, s29, v0
	v_addc_co_u32_e32 v1, vcc, v2, v1, vcc
	global_store_dword v[0:1], v3, off
	s_endpgm
.LBB66_44:
	ds_read_b32 v4, v2 offset:64
	s_waitcnt lgkmcnt(0)
	ds_write_b32 v8, v4 offset:2048
	s_or_b64 exec, exec, s[2:3]
	v_cmp_lt_u32_e32 vcc, 24, v3
	s_and_saveexec_b64 s[2:3], vcc
	s_cbranch_execz .LBB66_37
.LBB66_45:
	ds_read_b32 v4, v2 offset:96
	s_waitcnt lgkmcnt(0)
	ds_write_b32 v8, v4 offset:3072
	s_or_b64 exec, exec, s[2:3]
	v_cmp_ge_u32_e32 vcc, v0, v1
	s_and_saveexec_b64 s[2:3], vcc
	s_cbranch_execnz .LBB66_38
	s_branch .LBB66_39
	.section	.rodata,"a",@progbits
	.p2align	6, 0x0
	.amdhsa_kernel _ZL58rocblas_symv_kernel_upper_double_buffered_diagonal_genericILi32ELi8E24rocblas_internal_val_ptrIfEPKfPfEvbiT1_lT2_lllS6_lllS5_lT3_lllii
		.amdhsa_group_segment_fixed_size 6272
		.amdhsa_private_segment_fixed_size 0
		.amdhsa_kernarg_size 400
		.amdhsa_user_sgpr_count 6
		.amdhsa_user_sgpr_private_segment_buffer 1
		.amdhsa_user_sgpr_dispatch_ptr 0
		.amdhsa_user_sgpr_queue_ptr 0
		.amdhsa_user_sgpr_kernarg_segment_ptr 1
		.amdhsa_user_sgpr_dispatch_id 0
		.amdhsa_user_sgpr_flat_scratch_init 0
		.amdhsa_user_sgpr_private_segment_size 0
		.amdhsa_uses_dynamic_stack 0
		.amdhsa_system_sgpr_private_segment_wavefront_offset 0
		.amdhsa_system_sgpr_workgroup_id_x 1
		.amdhsa_system_sgpr_workgroup_id_y 0
		.amdhsa_system_sgpr_workgroup_id_z 1
		.amdhsa_system_sgpr_workgroup_info 0
		.amdhsa_system_vgpr_workitem_id 1
		.amdhsa_next_free_vgpr 20
		.amdhsa_next_free_sgpr 42
		.amdhsa_reserve_vcc 1
		.amdhsa_reserve_flat_scratch 0
		.amdhsa_float_round_mode_32 0
		.amdhsa_float_round_mode_16_64 0
		.amdhsa_float_denorm_mode_32 3
		.amdhsa_float_denorm_mode_16_64 3
		.amdhsa_dx10_clamp 1
		.amdhsa_ieee_mode 1
		.amdhsa_fp16_overflow 0
		.amdhsa_exception_fp_ieee_invalid_op 0
		.amdhsa_exception_fp_denorm_src 0
		.amdhsa_exception_fp_ieee_div_zero 0
		.amdhsa_exception_fp_ieee_overflow 0
		.amdhsa_exception_fp_ieee_underflow 0
		.amdhsa_exception_fp_ieee_inexact 0
		.amdhsa_exception_int_div_zero 0
	.end_amdhsa_kernel
	.section	.text._ZL58rocblas_symv_kernel_upper_double_buffered_diagonal_genericILi32ELi8E24rocblas_internal_val_ptrIfEPKfPfEvbiT1_lT2_lllS6_lllS5_lT3_lllii,"axG",@progbits,_ZL58rocblas_symv_kernel_upper_double_buffered_diagonal_genericILi32ELi8E24rocblas_internal_val_ptrIfEPKfPfEvbiT1_lT2_lllS6_lllS5_lT3_lllii,comdat
.Lfunc_end66:
	.size	_ZL58rocblas_symv_kernel_upper_double_buffered_diagonal_genericILi32ELi8E24rocblas_internal_val_ptrIfEPKfPfEvbiT1_lT2_lllS6_lllS5_lT3_lllii, .Lfunc_end66-_ZL58rocblas_symv_kernel_upper_double_buffered_diagonal_genericILi32ELi8E24rocblas_internal_val_ptrIfEPKfPfEvbiT1_lT2_lllS6_lllS5_lT3_lllii
                                        ; -- End function
	.set _ZL58rocblas_symv_kernel_upper_double_buffered_diagonal_genericILi32ELi8E24rocblas_internal_val_ptrIfEPKfPfEvbiT1_lT2_lllS6_lllS5_lT3_lllii.num_vgpr, 20
	.set _ZL58rocblas_symv_kernel_upper_double_buffered_diagonal_genericILi32ELi8E24rocblas_internal_val_ptrIfEPKfPfEvbiT1_lT2_lllS6_lllS5_lT3_lllii.num_agpr, 0
	.set _ZL58rocblas_symv_kernel_upper_double_buffered_diagonal_genericILi32ELi8E24rocblas_internal_val_ptrIfEPKfPfEvbiT1_lT2_lllS6_lllS5_lT3_lllii.numbered_sgpr, 42
	.set _ZL58rocblas_symv_kernel_upper_double_buffered_diagonal_genericILi32ELi8E24rocblas_internal_val_ptrIfEPKfPfEvbiT1_lT2_lllS6_lllS5_lT3_lllii.num_named_barrier, 0
	.set _ZL58rocblas_symv_kernel_upper_double_buffered_diagonal_genericILi32ELi8E24rocblas_internal_val_ptrIfEPKfPfEvbiT1_lT2_lllS6_lllS5_lT3_lllii.private_seg_size, 0
	.set _ZL58rocblas_symv_kernel_upper_double_buffered_diagonal_genericILi32ELi8E24rocblas_internal_val_ptrIfEPKfPfEvbiT1_lT2_lllS6_lllS5_lT3_lllii.uses_vcc, 1
	.set _ZL58rocblas_symv_kernel_upper_double_buffered_diagonal_genericILi32ELi8E24rocblas_internal_val_ptrIfEPKfPfEvbiT1_lT2_lllS6_lllS5_lT3_lllii.uses_flat_scratch, 0
	.set _ZL58rocblas_symv_kernel_upper_double_buffered_diagonal_genericILi32ELi8E24rocblas_internal_val_ptrIfEPKfPfEvbiT1_lT2_lllS6_lllS5_lT3_lllii.has_dyn_sized_stack, 0
	.set _ZL58rocblas_symv_kernel_upper_double_buffered_diagonal_genericILi32ELi8E24rocblas_internal_val_ptrIfEPKfPfEvbiT1_lT2_lllS6_lllS5_lT3_lllii.has_recursion, 0
	.set _ZL58rocblas_symv_kernel_upper_double_buffered_diagonal_genericILi32ELi8E24rocblas_internal_val_ptrIfEPKfPfEvbiT1_lT2_lllS6_lllS5_lT3_lllii.has_indirect_call, 0
	.section	.AMDGPU.csdata,"",@progbits
; Kernel info:
; codeLenInByte = 1920
; TotalNumSgprs: 46
; NumVgprs: 20
; ScratchSize: 0
; MemoryBound: 0
; FloatMode: 240
; IeeeMode: 1
; LDSByteSize: 6272 bytes/workgroup (compile time only)
; SGPRBlocks: 5
; VGPRBlocks: 4
; NumSGPRsForWavesPerEU: 46
; NumVGPRsForWavesPerEU: 20
; Occupancy: 10
; WaveLimiterHint : 0
; COMPUTE_PGM_RSRC2:SCRATCH_EN: 0
; COMPUTE_PGM_RSRC2:USER_SGPR: 6
; COMPUTE_PGM_RSRC2:TRAP_HANDLER: 0
; COMPUTE_PGM_RSRC2:TGID_X_EN: 1
; COMPUTE_PGM_RSRC2:TGID_Y_EN: 0
; COMPUTE_PGM_RSRC2:TGID_Z_EN: 1
; COMPUTE_PGM_RSRC2:TIDIG_COMP_CNT: 1
	.section	.text._ZL62rocblas_symv_kernel_upper_double_buffered_non_diagonal_genericILi32ELi8ELi2ELi0E24rocblas_internal_val_ptrIfEPKfPfEvbiT3_lT4_lllS6_lllT5_lllii,"axG",@progbits,_ZL62rocblas_symv_kernel_upper_double_buffered_non_diagonal_genericILi32ELi8ELi2ELi0E24rocblas_internal_val_ptrIfEPKfPfEvbiT3_lT4_lllS6_lllT5_lllii,comdat
	.globl	_ZL62rocblas_symv_kernel_upper_double_buffered_non_diagonal_genericILi32ELi8ELi2ELi0E24rocblas_internal_val_ptrIfEPKfPfEvbiT3_lT4_lllS6_lllT5_lllii ; -- Begin function _ZL62rocblas_symv_kernel_upper_double_buffered_non_diagonal_genericILi32ELi8ELi2ELi0E24rocblas_internal_val_ptrIfEPKfPfEvbiT3_lT4_lllS6_lllT5_lllii
	.p2align	8
	.type	_ZL62rocblas_symv_kernel_upper_double_buffered_non_diagonal_genericILi32ELi8ELi2ELi0E24rocblas_internal_val_ptrIfEPKfPfEvbiT3_lT4_lllS6_lllT5_lllii,@function
_ZL62rocblas_symv_kernel_upper_double_buffered_non_diagonal_genericILi32ELi8ELi2ELi0E24rocblas_internal_val_ptrIfEPKfPfEvbiT3_lT4_lllS6_lllT5_lllii: ; @_ZL62rocblas_symv_kernel_upper_double_buffered_non_diagonal_genericILi32ELi8ELi2ELi0E24rocblas_internal_val_ptrIfEPKfPfEvbiT3_lT4_lllS6_lllT5_lllii
; %bb.0:
	s_load_dword s0, s[4:5], 0x0
	s_load_dwordx16 s[12:27], s[4:5], 0x8
	s_waitcnt lgkmcnt(0)
	s_bitcmp0_b32 s0, 0
	s_cbranch_scc0 .LBB67_2
; %bb.1:
	s_mul_i32 s0, s15, s8
	s_mul_hi_u32 s1, s14, s8
	s_add_i32 s1, s1, s0
	s_mul_i32 s0, s14, s8
	s_lshl_b64 s[0:1], s[0:1], 2
	s_add_u32 s0, s12, s0
	s_addc_u32 s1, s13, s1
	s_load_dword s33, s[0:1], 0x0
	s_cbranch_execz .LBB67_3
	s_branch .LBB67_4
.LBB67_2:
                                        ; implicit-def: $sgpr33
.LBB67_3:
	s_waitcnt lgkmcnt(0)
	s_mov_b32 s33, s12
.LBB67_4:
	s_waitcnt lgkmcnt(0)
	v_cmp_eq_f32_e64 s[0:1], s33, 0
	s_and_b64 vcc, exec, s[0:1]
	s_cbranch_vccnz .LBB67_47
; %bb.5:
	s_load_dword s2, s[4:5], 0x84
	s_add_u32 s0, s4, 0x80
	s_addc_u32 s1, s5, 0
	s_cmp_eq_u32 s6, 0
	s_waitcnt lgkmcnt(0)
	v_cvt_f32_u32_e32 v2, s2
	v_rcp_iflag_f32_e32 v2, v2
	v_mul_f32_e32 v2, 0x4f7ffffe, v2
	v_cvt_u32_f32_e32 v2, v2
	v_readfirstlane_b32 s3, v2
	s_cbranch_scc1 .LBB67_47
; %bb.6:
	s_sub_i32 s9, 0, s2
	s_mul_i32 s9, s9, s3
	s_mul_hi_u32 s9, s3, s9
	s_add_i32 s3, s3, s9
	s_mul_hi_u32 s3, s6, s3
	s_mul_i32 s9, s3, s2
	s_sub_i32 s9, s6, s9
	s_add_i32 s10, s3, 1
	s_sub_i32 s11, s9, s2
	s_cmp_ge_u32 s9, s2
	s_cselect_b32 s3, s10, s3
	s_cselect_b32 s9, s11, s9
	s_add_i32 s10, s3, 1
	s_cmp_ge_u32 s9, s2
	s_cselect_b32 s14, s10, s3
	s_add_i32 s3, s2, -1
	s_cmp_lg_u32 s7, s3
	s_mov_b32 s35, s14
	s_cbranch_scc1 .LBB67_8
; %bb.7:
	s_mul_i32 s2, s14, s2
	s_sub_i32 s2, s6, s2
	s_add_i32 s35, s2, s14
.LBB67_8:
	s_cmp_eq_u32 s35, 0
	s_cbranch_scc1 .LBB67_47
; %bb.9:
	s_load_dwordx4 s[28:31], s[4:5], 0x48
	s_load_dword s34, s[4:5], 0x78
	v_lshl_add_u32 v3, v1, 5, v0
	v_and_b32_e32 v2, 15, v0
	v_lshrrev_b32_e32 v8, 4, v3
	s_waitcnt lgkmcnt(0)
	s_mul_i32 s3, s31, s8
	s_mul_hi_u32 s9, s30, s8
	s_mul_i32 s2, s30, s8
	s_add_i32 s3, s9, s3
	s_lshl_b64 s[2:3], s[2:3], 2
	s_add_u32 s9, s24, s2
	s_addc_u32 s10, s25, s3
	s_lshl_b64 s[2:3], s[26:27], 2
	s_add_u32 s9, s9, s2
	s_addc_u32 s31, s10, s3
	s_lshl_b32 s26, s6, 5
	s_ashr_i32 s27, s26, 31
	s_mul_i32 s2, s28, s27
	s_mul_hi_u32 s3, s28, s26
	s_load_dword s30, s[0:1], 0x0
	s_add_i32 s2, s3, s2
	s_mul_i32 s3, s29, s26
	s_add_i32 s3, s2, s3
	s_mul_i32 s2, s28, s26
	s_lshl_b64 s[0:1], s[2:3], 2
	s_add_u32 s15, s9, s0
	s_addc_u32 s36, s31, s1
	s_waitcnt lgkmcnt(0)
	s_add_i32 s30, s30, -1
	s_cmp_lg_u32 s6, s30
	s_cselect_b64 s[2:3], -1, 0
	v_cmp_eq_u32_e64 s[0:1], 0, v1
	s_mov_b64 s[10:11], -1
	s_and_b64 vcc, exec, s[2:3]
	s_cbranch_vccnz .LBB67_15
; %bb.10:
	s_and_saveexec_b64 s[10:11], s[0:1]
	s_cbranch_execz .LBB67_14
; %bb.11:
	v_cmp_gt_i32_e32 vcc, s34, v0
	v_mov_b32_e32 v1, 0
	s_and_saveexec_b64 s[12:13], vcc
	s_cbranch_execz .LBB67_13
; %bb.12:
	v_mad_u64_u32 v[3:4], s[24:25], s28, v0, 0
	v_mov_b32_e32 v1, v4
	v_mad_u64_u32 v[4:5], s[24:25], s29, v0, v[1:2]
	v_mov_b32_e32 v1, s36
	v_lshlrev_b64 v[3:4], 2, v[3:4]
	v_add_co_u32_e32 v3, vcc, s15, v3
	v_addc_co_u32_e32 v4, vcc, v1, v4, vcc
	global_load_dword v1, v[3:4], off
.LBB67_13:
	s_or_b64 exec, exec, s[12:13]
	v_lshlrev_b32_e32 v3, 2, v0
	s_waitcnt vmcnt(0)
	ds_write_b32 v3, v1 offset:4096
.LBB67_14:
	s_or_b64 exec, exec, s[10:11]
	v_lshlrev_b32_e32 v1, 2, v2
	v_lshl_or_b32 v1, v8, 7, v1
	v_mov_b32_e32 v3, 0
	ds_write2_b32 v1, v3, v3 offset1:16
	v_add_u32_e32 v1, 0x800, v1
	s_mov_b64 s[10:11], 0
	ds_write2_b32 v1, v3, v3 offset1:16
.LBB67_15:
	s_load_dwordx2 s[24:25], s[4:5], 0x58
	s_and_b64 vcc, exec, s[10:11]
	s_cbranch_vccz .LBB67_19
; %bb.16:
	s_and_saveexec_b64 s[10:11], s[0:1]
	s_cbranch_execz .LBB67_18
; %bb.17:
	v_mad_u64_u32 v[3:4], s[12:13], s28, v0, 0
	v_mov_b32_e32 v1, v4
	v_mad_u64_u32 v[4:5], s[12:13], s29, v0, v[1:2]
	v_mov_b32_e32 v1, s36
	v_lshlrev_b64 v[3:4], 2, v[3:4]
	v_add_co_u32_e32 v3, vcc, s15, v3
	v_addc_co_u32_e32 v4, vcc, v1, v4, vcc
	global_load_dword v1, v[3:4], off
	v_lshlrev_b32_e32 v3, 2, v0
	s_waitcnt vmcnt(0)
	ds_write_b32 v3, v1 offset:4096
.LBB67_18:
	s_or_b64 exec, exec, s[10:11]
.LBB67_19:
	s_lshr_b32 s10, s34, 31
	s_add_i32 s10, s34, s10
	s_ashr_i32 s15, s10, 1
	s_mul_i32 s10, s23, s8
	s_mul_hi_u32 s11, s22, s8
	s_add_i32 s11, s11, s10
	s_mul_i32 s10, s22, s8
	s_lshl_b64 s[10:11], s[10:11], 2
	s_add_u32 s12, s16, s10
	s_addc_u32 s13, s17, s11
	s_lshl_b64 s[10:11], s[18:19], 2
	s_add_u32 s12, s12, s10
	s_addc_u32 s13, s13, s11
	s_mul_i32 s10, s20, s27
	s_mul_hi_u32 s11, s20, s26
	s_add_i32 s10, s11, s10
	s_mul_i32 s11, s21, s26
	s_add_i32 s11, s10, s11
	s_mul_i32 s10, s20, s26
	s_lshl_b64 s[10:11], s[10:11], 2
	s_add_u32 s16, s12, s10
	v_lshlrev_b32_e32 v9, 1, v8
	v_mov_b32_e32 v3, 0
	s_addc_u32 s17, s13, s11
	s_mul_i32 s7, s7, s14
	v_mad_u64_u32 v[4:5], s[12:13], s20, v9, v[2:3]
	s_lshl_b32 s10, s7, 5
	s_ashr_i32 s11, s10, 31
	s_lshl_b64 s[12:13], s[10:11], 2
	s_add_u32 s19, s16, s12
	v_mov_b32_e32 v1, v5
	s_addc_u32 s22, s17, s13
	v_mad_u64_u32 v[5:6], s[12:13], s21, v9, v[1:2]
	v_cmp_gt_i32_e32 vcc, s15, v8
	s_or_b64 s[2:3], s[2:3], vcc
	v_lshlrev_b64 v[4:5], 2, v[4:5]
	v_mov_b32_e32 v6, v3
	v_mov_b32_e32 v7, v3
	s_waitcnt lgkmcnt(0)
	s_barrier
	s_and_saveexec_b64 s[12:13], s[2:3]
	s_cbranch_execz .LBB67_21
; %bb.20:
	v_mov_b32_e32 v1, s22
	v_add_co_u32_e32 v10, vcc, s19, v4
	v_addc_co_u32_e32 v11, vcc, v1, v5, vcc
	s_lshl_b64 s[14:15], s[20:21], 2
	v_mov_b32_e32 v1, s15
	v_add_co_u32_e32 v12, vcc, s14, v10
	v_addc_co_u32_e32 v13, vcc, v11, v1, vcc
	global_load_dword v6, v[10:11], off
	global_load_dword v7, v[12:13], off
.LBB67_21:
	s_or_b64 exec, exec, s[12:13]
	s_load_dwordx2 s[16:17], s[4:5], 0x70
	s_load_dwordx4 s[12:15], s[4:5], 0x60
	v_lshlrev_b32_e32 v1, 7, v8
	s_waitcnt lgkmcnt(0)
	s_mul_i32 s5, s17, s8
	s_mul_hi_u32 s7, s16, s8
	s_mul_i32 s4, s16, s8
	s_add_i32 s5, s7, s5
	s_lshl_b64 s[4:5], s[4:5], 2
	s_add_u32 s7, s24, s4
	s_addc_u32 s8, s25, s5
	s_lshl_b64 s[4:5], s[12:13], 2
	s_add_u32 s18, s7, s4
	s_addc_u32 s7, s8, s5
	s_cmp_gt_i32 s35, 0
	s_cbranch_scc1 .LBB67_23
; %bb.22:
	v_lshlrev_b32_e32 v3, 7, v8
	v_mov_b32_e32 v23, 0
	v_mov_b32_e32 v22, 0
	s_cbranch_execz .LBB67_24
	s_branch .LBB67_43
.LBB67_23:
                                        ; implicit-def: $vgpr3
	v_mov_b32_e32 v23, 0
	v_mov_b32_e32 v22, 0
.LBB67_24:
	v_mad_u64_u32 v[10:11], s[4:5], s28, v2, 0
	s_mul_i32 s8, s28, s11
	v_or_b32_e32 v8, 16, v2
	v_mov_b32_e32 v3, v11
	v_mad_u64_u32 v[11:12], s[4:5], s29, v2, v[3:4]
	s_mul_hi_u32 s4, s28, s10
	s_mul_i32 s5, s29, s10
	s_add_i32 s4, s4, s8
	s_add_i32 s5, s4, s5
	s_mul_i32 s4, s28, s10
	s_lshl_b64 s[4:5], s[4:5], 2
	s_add_u32 s23, s9, s4
	v_lshlrev_b64 v[12:13], 2, v[10:11]
	s_addc_u32 s24, s31, s5
	v_mov_b32_e32 v3, s24
	v_add_co_u32_e32 v10, vcc, s23, v12
	v_addc_co_u32_e32 v11, vcc, v3, v13, vcc
	global_load_dword v28, v[10:11], off
	v_mad_u64_u32 v[14:15], s[8:9], s28, v8, 0
	s_mul_i32 s4, s14, s11
	s_mul_hi_u32 s5, s14, s10
	v_mov_b32_e32 v3, v15
	v_mad_u64_u32 v[16:17], s[8:9], s14, v0, 0
	s_add_i32 s4, s5, s4
	s_mul_i32 s5, s15, s10
	v_mad_u64_u32 v[10:11], s[8:9], s29, v8, v[3:4]
	s_add_i32 s5, s4, s5
	s_mul_i32 s4, s14, s10
	s_lshl_b64 s[4:5], s[4:5], 2
	s_add_u32 s10, s18, s4
	v_mov_b32_e32 v3, v17
	s_addc_u32 s11, s7, s5
	v_mov_b32_e32 v15, v10
	v_mad_u64_u32 v[10:11], s[4:5], s15, v0, v[3:4]
	v_mov_b32_e32 v3, 0x1000
	v_lshlrev_b32_e32 v18, 2, v2
	v_mov_b32_e32 v17, v10
	v_lshl_add_u32 v27, v9, 2, v3
	v_lshlrev_b64 v[14:15], 2, v[14:15]
	v_lshlrev_b64 v[8:9], 2, v[16:17]
	v_lshlrev_b32_e32 v24, 2, v0
	v_mov_b32_e32 v25, 0
	s_cmp_eq_u32 s35, 1
	v_add_u32_e32 v3, v18, v1
	s_cbranch_scc1 .LBB67_36
; %bb.25:
	v_mov_b32_e32 v10, s10
	s_lshl_b64 s[4:5], s[28:29], 7
	s_lshl_b64 s[8:9], s[14:15], 7
	s_add_i32 s25, s35, -2
	v_mov_b32_e32 v22, 0
	s_mov_b32 s28, 0
	v_mov_b32_e32 v11, s11
	s_lshl_b64 s[10:11], s[20:21], 2
	v_add_u32_e32 v29, 0x400, v24
	v_mov_b32_e32 v23, 0
	v_mov_b32_e32 v26, 0
	;; [unrolled: 1-line block ×3, first 2 shown]
.LBB67_26:                              ; =>This Loop Header: Depth=1
                                        ;     Child Loop BB67_32 Depth 2
	v_mov_b32_e32 v17, s24
	v_add_co_u32_e32 v16, vcc, s23, v14
	v_addc_co_u32_e32 v17, vcc, v17, v15, vcc
	global_load_dword v31, v[16:17], off
	s_and_saveexec_b64 s[12:13], s[2:3]
	s_cbranch_execz .LBB67_28
; %bb.27:                               ;   in Loop: Header=BB67_26 Depth=1
	v_mov_b32_e32 v17, s22
	v_add_co_u32_e32 v16, vcc, s19, v4
	v_addc_co_u32_e32 v17, vcc, v17, v5, vcc
	v_mov_b32_e32 v19, s11
	v_add_co_u32_e32 v18, vcc, s10, v16
	v_addc_co_u32_e32 v19, vcc, v17, v19, vcc
	global_load_dword v26, v[16:17], off offset:64
	global_load_dword v25, v[18:19], off offset:64
.LBB67_28:                              ;   in Loop: Header=BB67_26 Depth=1
	s_or_b64 exec, exec, s[12:13]
	ds_read_b64 v[18:19], v27
	s_waitcnt vmcnt(2)
	v_mov_b32_e32 v17, v7
	v_mov_b32_e32 v16, v6
	s_and_saveexec_b64 s[12:13], s[2:3]
	s_cbranch_execz .LBB67_30
; %bb.29:                               ;   in Loop: Header=BB67_26 Depth=1
	v_mov_b32_e32 v16, s22
	v_add_co_u32_e32 v20, vcc, s19, v4
	v_addc_co_u32_e32 v21, vcc, v16, v5, vcc
	v_mov_b32_e32 v16, s11
	v_add_co_u32_e32 v32, vcc, s10, v20
	v_addc_co_u32_e32 v33, vcc, v21, v16, vcc
	global_load_dword v16, v[20:21], off offset:128
	global_load_dword v17, v[32:33], off offset:128
.LBB67_30:                              ;   in Loop: Header=BB67_26 Depth=1
	s_or_b64 exec, exec, s[12:13]
	s_add_u32 s23, s23, s4
	s_addc_u32 s24, s24, s5
	v_mov_b32_e32 v21, s24
	v_add_co_u32_e32 v20, vcc, s23, v12
	v_addc_co_u32_e32 v21, vcc, v21, v13, vcc
	global_load_dword v30, v[20:21], off
	s_waitcnt lgkmcnt(0)
	v_fma_f32 v20, v6, v18, 0
	s_waitcnt vmcnt(2)
	v_fma_f32 v18, v26, v18, 0
	v_fmac_f32_e32 v20, v7, v19
	s_waitcnt vmcnt(1)
	v_fmac_f32_e32 v18, v25, v19
	s_waitcnt vmcnt(0)
	s_barrier
	ds_write2_b32 v3, v20, v18 offset1:16
	s_waitcnt lgkmcnt(0)
	s_barrier
	s_and_saveexec_b64 s[12:13], s[0:1]
	s_cbranch_execz .LBB67_34
; %bb.31:                               ;   in Loop: Header=BB67_26 Depth=1
	ds_read2_b32 v[18:19], v24 offset1:32
	s_mov_b64 s[16:17], 0
	s_waitcnt lgkmcnt(0)
	v_add_f32_e32 v18, 0, v18
	v_add_f32_e32 v20, v18, v19
	ds_read2_b32 v[18:19], v24 offset0:64 offset1:96
	s_waitcnt lgkmcnt(0)
	v_add_f32_e32 v18, v20, v18
	v_add_f32_e32 v20, v18, v19
	ds_read2_b32 v[18:19], v24 offset0:128 offset1:160
	;; [unrolled: 4-line block ×3, first 2 shown]
	s_waitcnt lgkmcnt(0)
	v_add_f32_e32 v18, v20, v18
	v_add_f32_e32 v20, v18, v19
	ds_read2_b32 v[18:19], v29 offset1:32
	s_waitcnt lgkmcnt(0)
	v_add_f32_e32 v18, v20, v18
	v_add_f32_e32 v20, v18, v19
	ds_read2_b32 v[18:19], v29 offset0:64 offset1:96
	s_waitcnt lgkmcnt(0)
	v_add_f32_e32 v18, v20, v18
	v_add_f32_e32 v20, v18, v19
	ds_read2_b32 v[18:19], v29 offset0:128 offset1:160
	;; [unrolled: 4-line block ×3, first 2 shown]
	s_waitcnt lgkmcnt(0)
	v_add_f32_e32 v18, v20, v18
	v_add_f32_e32 v20, v18, v19
	v_add_co_u32_e32 v18, vcc, v10, v8
	v_addc_co_u32_e32 v19, vcc, v11, v9, vcc
	global_load_dword v21, v[18:19], off
	v_mul_f32_e32 v32, s33, v20
.LBB67_32:                              ;   Parent Loop BB67_26 Depth=1
                                        ; =>  This Inner Loop Header: Depth=2
	s_waitcnt vmcnt(0)
	v_add_f32_e32 v20, v21, v32
	global_atomic_cmpswap v20, v[18:19], v[20:21], off glc
	s_waitcnt vmcnt(0)
	v_cmp_eq_u32_e32 vcc, v20, v21
	s_or_b64 s[16:17], vcc, s[16:17]
	v_mov_b32_e32 v21, v20
	s_andn2_b64 exec, exec, s[16:17]
	s_cbranch_execnz .LBB67_32
; %bb.33:                               ;   in Loop: Header=BB67_26 Depth=1
	s_or_b64 exec, exec, s[16:17]
	v_mov_b32_e32 v18, s9
	v_add_co_u32_e32 v10, vcc, s8, v10
	v_addc_co_u32_e32 v11, vcc, v11, v18, vcc
.LBB67_34:                              ;   in Loop: Header=BB67_26 Depth=1
	s_or_b64 exec, exec, s[12:13]
	s_add_u32 s19, s19, 0x80
	v_fmac_f32_e32 v22, v28, v6
	v_fmac_f32_e32 v23, v28, v7
	s_addc_u32 s22, s22, 0
	s_add_i32 s12, s28, 1
	v_fmac_f32_e32 v22, v31, v26
	v_fmac_f32_e32 v23, v31, v25
	s_cmp_eq_u32 s28, s25
	s_cbranch_scc1 .LBB67_37
; %bb.35:                               ;   in Loop: Header=BB67_26 Depth=1
	v_mov_b32_e32 v6, v16
	s_mov_b32 s28, s12
	v_mov_b32_e32 v28, v30
	v_mov_b32_e32 v7, v17
	s_branch .LBB67_26
.LBB67_36:
	v_mov_b32_e32 v10, s10
	s_waitcnt vmcnt(1)
	v_mov_b32_e32 v17, v7
	v_mov_b32_e32 v11, s11
	;; [unrolled: 1-line block ×6, first 2 shown]
	s_waitcnt vmcnt(0)
	v_mov_b32_e32 v30, v28
.LBB67_37:
	v_mov_b32_e32 v7, s24
	v_add_co_u32_e32 v6, vcc, s23, v14
	v_addc_co_u32_e32 v7, vcc, v7, v15, vcc
	global_load_dword v7, v[6:7], off
	s_and_saveexec_b64 s[4:5], s[2:3]
	s_cbranch_execz .LBB67_39
; %bb.38:
	v_mov_b32_e32 v6, s22
	v_add_co_u32_e32 v4, vcc, s19, v4
	v_addc_co_u32_e32 v5, vcc, v6, v5, vcc
	s_lshl_b64 s[2:3], s[20:21], 2
	v_mov_b32_e32 v6, s3
	v_add_co_u32_e32 v12, vcc, s2, v4
	v_addc_co_u32_e32 v13, vcc, v5, v6, vcc
	global_load_dword v26, v[4:5], off offset:64
	global_load_dword v25, v[12:13], off offset:64
.LBB67_39:
	s_or_b64 exec, exec, s[4:5]
	ds_read_b64 v[4:5], v27
	v_fmac_f32_e32 v22, v30, v16
	v_fmac_f32_e32 v23, v30, v17
	s_waitcnt vmcnt(0) lgkmcnt(0)
	s_barrier
	v_fma_f32 v6, v16, v4, 0
	v_fma_f32 v4, v26, v4, 0
	v_fmac_f32_e32 v6, v17, v5
	v_fmac_f32_e32 v4, v25, v5
	ds_write2_b32 v3, v6, v4 offset1:16
	s_waitcnt lgkmcnt(0)
	s_barrier
	s_and_saveexec_b64 s[2:3], s[0:1]
	s_cbranch_execz .LBB67_42
; %bb.40:
	v_add_co_u32_e32 v3, vcc, v10, v8
	v_addc_co_u32_e32 v4, vcc, v11, v9, vcc
	global_load_dword v6, v[3:4], off
	ds_read2_b32 v[8:9], v24 offset1:32
	ds_read2_b32 v[10:11], v24 offset0:64 offset1:96
	ds_read2_b32 v[12:13], v24 offset0:128 offset1:160
	v_add_u32_e32 v14, 0x400, v24
	s_mov_b64 s[4:5], 0
	s_waitcnt lgkmcnt(2)
	v_add_f32_e32 v5, 0, v8
	v_add_f32_e32 v5, v5, v9
	ds_read2_b32 v[8:9], v24 offset0:192 offset1:224
	s_waitcnt lgkmcnt(2)
	v_add_f32_e32 v5, v5, v10
	v_add_f32_e32 v5, v5, v11
	s_waitcnt lgkmcnt(1)
	v_add_f32_e32 v5, v5, v12
	ds_read2_b32 v[10:11], v14 offset1:32
	v_add_f32_e32 v5, v5, v13
	s_waitcnt lgkmcnt(1)
	v_add_f32_e32 v5, v5, v8
	v_add_f32_e32 v5, v5, v9
	ds_read2_b32 v[8:9], v14 offset0:64 offset1:96
	ds_read2_b32 v[12:13], v14 offset0:128 offset1:160
	s_waitcnt lgkmcnt(2)
	v_add_f32_e32 v5, v5, v10
	v_add_f32_e32 v5, v5, v11
	ds_read2_b32 v[10:11], v14 offset0:192 offset1:224
	s_waitcnt lgkmcnt(2)
	v_add_f32_e32 v5, v5, v8
	v_add_f32_e32 v5, v5, v9
	s_waitcnt lgkmcnt(1)
	v_add_f32_e32 v5, v5, v12
	v_add_f32_e32 v5, v5, v13
	;; [unrolled: 3-line block ×3, first 2 shown]
	v_mul_f32_e32 v8, s33, v5
.LBB67_41:                              ; =>This Inner Loop Header: Depth=1
	s_waitcnt vmcnt(0)
	v_add_f32_e32 v5, v6, v8
	global_atomic_cmpswap v5, v[3:4], v[5:6], off glc
	s_waitcnt vmcnt(0)
	v_cmp_eq_u32_e32 vcc, v5, v6
	s_or_b64 s[4:5], vcc, s[4:5]
	v_mov_b32_e32 v6, v5
	s_andn2_b64 exec, exec, s[4:5]
	s_cbranch_execnz .LBB67_41
.LBB67_42:
	s_or_b64 exec, exec, s[2:3]
	v_fmac_f32_e32 v22, v7, v26
	v_fmac_f32_e32 v23, v7, v25
	v_mov_b32_e32 v3, v1
.LBB67_43:
	v_lshl_add_u32 v1, v2, 2, v3
	v_add_u32_e32 v1, 0x800, v1
	ds_write2_b32 v1, v22, v23 offset1:16
	s_waitcnt vmcnt(0) lgkmcnt(0)
	s_barrier
	s_and_saveexec_b64 s[2:3], s[0:1]
	s_cbranch_execz .LBB67_47
; %bb.44:
	s_cmp_lt_u32 s6, s30
	v_cmp_gt_i32_e32 vcc, s34, v0
	s_cselect_b64 s[0:1], -1, 0
	s_or_b64 s[0:1], vcc, s[0:1]
	s_and_b64 exec, exec, s[0:1]
	s_cbranch_execz .LBB67_47
; %bb.45:
	v_mad_u64_u32 v[3:4], s[2:3], s14, v0, 0
	s_mul_i32 s0, s14, s27
	s_mul_hi_u32 s1, s14, s26
	v_mov_b32_e32 v1, v4
	v_mad_u64_u32 v[4:5], s[2:3], s15, v0, v[1:2]
	s_add_i32 s0, s1, s0
	s_mul_i32 s1, s15, s26
	s_add_i32 s1, s0, s1
	s_mul_i32 s0, s14, s26
	s_lshl_b64 s[0:1], s[0:1], 2
	s_add_u32 s0, s18, s0
	v_lshlrev_b64 v[3:4], 2, v[3:4]
	s_addc_u32 s1, s7, s1
	v_mov_b32_e32 v1, 0x800
	v_lshl_add_u32 v5, v0, 6, v1
	v_mov_b32_e32 v1, s1
	v_add_co_u32_e32 v3, vcc, s0, v3
	v_addc_co_u32_e32 v4, vcc, v1, v4, vcc
	global_load_dword v1, v[3:4], off
	v_add_u32_e32 v7, 1, v0
	v_add_u32_e32 v8, 2, v0
	;; [unrolled: 1-line block ×7, first 2 shown]
	v_and_b32_e32 v7, 15, v7
	v_and_b32_e32 v8, 15, v8
	;; [unrolled: 1-line block ×7, first 2 shown]
	v_lshl_or_b32 v6, v2, 2, v5
	v_lshl_or_b32 v7, v7, 2, v5
	;; [unrolled: 1-line block ×8, first 2 shown]
	ds_read_b32 v6, v6
	ds_read_b32 v7, v7
	;; [unrolled: 1-line block ×8, first 2 shown]
	s_waitcnt lgkmcnt(7)
	v_add_f32_e32 v6, 0, v6
	s_waitcnt lgkmcnt(6)
	v_add_f32_e32 v6, v6, v7
	;; [unrolled: 2-line block ×7, first 2 shown]
	v_add_u32_e32 v7, 9, v0
	v_add_u32_e32 v8, 10, v0
	;; [unrolled: 1-line block ×6, first 2 shown]
	v_add_u32_e32 v0, -1, v0
	v_xor_b32_e32 v2, 8, v2
	v_and_b32_e32 v7, 15, v7
	v_and_b32_e32 v8, 15, v8
	;; [unrolled: 1-line block ×6, first 2 shown]
	v_lshl_or_b32 v2, v2, 2, v5
	v_lshl_or_b32 v7, v7, 2, v5
	;; [unrolled: 1-line block ×6, first 2 shown]
	v_and_b32_e32 v12, 15, v12
	v_lshl_or_b32 v0, v0, 2, v5
	s_waitcnt lgkmcnt(0)
	v_add_f32_e32 v6, v6, v13
	v_lshl_or_b32 v12, v12, 2, v5
	ds_read_b32 v2, v2
	ds_read_b32 v5, v7
	;; [unrolled: 1-line block ×8, first 2 shown]
	s_waitcnt lgkmcnt(7)
	v_add_f32_e32 v2, v6, v2
	s_waitcnt lgkmcnt(6)
	v_add_f32_e32 v2, v2, v5
	;; [unrolled: 2-line block ×8, first 2 shown]
	v_mul_f32_e32 v2, s33, v0
	s_mov_b64 s[0:1], 0
.LBB67_46:                              ; =>This Inner Loop Header: Depth=1
	s_waitcnt vmcnt(0)
	v_add_f32_e32 v0, v1, v2
	global_atomic_cmpswap v0, v[3:4], v[0:1], off glc
	s_waitcnt vmcnt(0)
	v_cmp_eq_u32_e32 vcc, v0, v1
	s_or_b64 s[0:1], vcc, s[0:1]
	v_mov_b32_e32 v1, v0
	s_andn2_b64 exec, exec, s[0:1]
	s_cbranch_execnz .LBB67_46
.LBB67_47:
	s_endpgm
	.section	.rodata,"a",@progbits
	.p2align	6, 0x0
	.amdhsa_kernel _ZL62rocblas_symv_kernel_upper_double_buffered_non_diagonal_genericILi32ELi8ELi2ELi0E24rocblas_internal_val_ptrIfEPKfPfEvbiT3_lT4_lllS6_lllT5_lllii
		.amdhsa_group_segment_fixed_size 4224
		.amdhsa_private_segment_fixed_size 0
		.amdhsa_kernarg_size 384
		.amdhsa_user_sgpr_count 6
		.amdhsa_user_sgpr_private_segment_buffer 1
		.amdhsa_user_sgpr_dispatch_ptr 0
		.amdhsa_user_sgpr_queue_ptr 0
		.amdhsa_user_sgpr_kernarg_segment_ptr 1
		.amdhsa_user_sgpr_dispatch_id 0
		.amdhsa_user_sgpr_flat_scratch_init 0
		.amdhsa_user_sgpr_private_segment_size 0
		.amdhsa_uses_dynamic_stack 0
		.amdhsa_system_sgpr_private_segment_wavefront_offset 0
		.amdhsa_system_sgpr_workgroup_id_x 1
		.amdhsa_system_sgpr_workgroup_id_y 1
		.amdhsa_system_sgpr_workgroup_id_z 1
		.amdhsa_system_sgpr_workgroup_info 0
		.amdhsa_system_vgpr_workitem_id 1
		.amdhsa_next_free_vgpr 34
		.amdhsa_next_free_sgpr 37
		.amdhsa_reserve_vcc 1
		.amdhsa_reserve_flat_scratch 0
		.amdhsa_float_round_mode_32 0
		.amdhsa_float_round_mode_16_64 0
		.amdhsa_float_denorm_mode_32 3
		.amdhsa_float_denorm_mode_16_64 3
		.amdhsa_dx10_clamp 1
		.amdhsa_ieee_mode 1
		.amdhsa_fp16_overflow 0
		.amdhsa_exception_fp_ieee_invalid_op 0
		.amdhsa_exception_fp_denorm_src 0
		.amdhsa_exception_fp_ieee_div_zero 0
		.amdhsa_exception_fp_ieee_overflow 0
		.amdhsa_exception_fp_ieee_underflow 0
		.amdhsa_exception_fp_ieee_inexact 0
		.amdhsa_exception_int_div_zero 0
	.end_amdhsa_kernel
	.section	.text._ZL62rocblas_symv_kernel_upper_double_buffered_non_diagonal_genericILi32ELi8ELi2ELi0E24rocblas_internal_val_ptrIfEPKfPfEvbiT3_lT4_lllS6_lllT5_lllii,"axG",@progbits,_ZL62rocblas_symv_kernel_upper_double_buffered_non_diagonal_genericILi32ELi8ELi2ELi0E24rocblas_internal_val_ptrIfEPKfPfEvbiT3_lT4_lllS6_lllT5_lllii,comdat
.Lfunc_end67:
	.size	_ZL62rocblas_symv_kernel_upper_double_buffered_non_diagonal_genericILi32ELi8ELi2ELi0E24rocblas_internal_val_ptrIfEPKfPfEvbiT3_lT4_lllS6_lllT5_lllii, .Lfunc_end67-_ZL62rocblas_symv_kernel_upper_double_buffered_non_diagonal_genericILi32ELi8ELi2ELi0E24rocblas_internal_val_ptrIfEPKfPfEvbiT3_lT4_lllS6_lllT5_lllii
                                        ; -- End function
	.set _ZL62rocblas_symv_kernel_upper_double_buffered_non_diagonal_genericILi32ELi8ELi2ELi0E24rocblas_internal_val_ptrIfEPKfPfEvbiT3_lT4_lllS6_lllT5_lllii.num_vgpr, 34
	.set _ZL62rocblas_symv_kernel_upper_double_buffered_non_diagonal_genericILi32ELi8ELi2ELi0E24rocblas_internal_val_ptrIfEPKfPfEvbiT3_lT4_lllS6_lllT5_lllii.num_agpr, 0
	.set _ZL62rocblas_symv_kernel_upper_double_buffered_non_diagonal_genericILi32ELi8ELi2ELi0E24rocblas_internal_val_ptrIfEPKfPfEvbiT3_lT4_lllS6_lllT5_lllii.numbered_sgpr, 37
	.set _ZL62rocblas_symv_kernel_upper_double_buffered_non_diagonal_genericILi32ELi8ELi2ELi0E24rocblas_internal_val_ptrIfEPKfPfEvbiT3_lT4_lllS6_lllT5_lllii.num_named_barrier, 0
	.set _ZL62rocblas_symv_kernel_upper_double_buffered_non_diagonal_genericILi32ELi8ELi2ELi0E24rocblas_internal_val_ptrIfEPKfPfEvbiT3_lT4_lllS6_lllT5_lllii.private_seg_size, 0
	.set _ZL62rocblas_symv_kernel_upper_double_buffered_non_diagonal_genericILi32ELi8ELi2ELi0E24rocblas_internal_val_ptrIfEPKfPfEvbiT3_lT4_lllS6_lllT5_lllii.uses_vcc, 1
	.set _ZL62rocblas_symv_kernel_upper_double_buffered_non_diagonal_genericILi32ELi8ELi2ELi0E24rocblas_internal_val_ptrIfEPKfPfEvbiT3_lT4_lllS6_lllT5_lllii.uses_flat_scratch, 0
	.set _ZL62rocblas_symv_kernel_upper_double_buffered_non_diagonal_genericILi32ELi8ELi2ELi0E24rocblas_internal_val_ptrIfEPKfPfEvbiT3_lT4_lllS6_lllT5_lllii.has_dyn_sized_stack, 0
	.set _ZL62rocblas_symv_kernel_upper_double_buffered_non_diagonal_genericILi32ELi8ELi2ELi0E24rocblas_internal_val_ptrIfEPKfPfEvbiT3_lT4_lllS6_lllT5_lllii.has_recursion, 0
	.set _ZL62rocblas_symv_kernel_upper_double_buffered_non_diagonal_genericILi32ELi8ELi2ELi0E24rocblas_internal_val_ptrIfEPKfPfEvbiT3_lT4_lllS6_lllT5_lllii.has_indirect_call, 0
	.section	.AMDGPU.csdata,"",@progbits
; Kernel info:
; codeLenInByte = 2952
; TotalNumSgprs: 41
; NumVgprs: 34
; ScratchSize: 0
; MemoryBound: 0
; FloatMode: 240
; IeeeMode: 1
; LDSByteSize: 4224 bytes/workgroup (compile time only)
; SGPRBlocks: 5
; VGPRBlocks: 8
; NumSGPRsForWavesPerEU: 41
; NumVGPRsForWavesPerEU: 34
; Occupancy: 7
; WaveLimiterHint : 0
; COMPUTE_PGM_RSRC2:SCRATCH_EN: 0
; COMPUTE_PGM_RSRC2:USER_SGPR: 6
; COMPUTE_PGM_RSRC2:TRAP_HANDLER: 0
; COMPUTE_PGM_RSRC2:TGID_X_EN: 1
; COMPUTE_PGM_RSRC2:TGID_Y_EN: 1
; COMPUTE_PGM_RSRC2:TGID_Z_EN: 1
; COMPUTE_PGM_RSRC2:TIDIG_COMP_CNT: 1
	.section	.text._ZL62rocblas_symv_kernel_upper_double_buffered_non_diagonal_genericILi32ELi8ELi2ELi1E24rocblas_internal_val_ptrIfEPKfPfEvbiT3_lT4_lllS6_lllT5_lllii,"axG",@progbits,_ZL62rocblas_symv_kernel_upper_double_buffered_non_diagonal_genericILi32ELi8ELi2ELi1E24rocblas_internal_val_ptrIfEPKfPfEvbiT3_lT4_lllS6_lllT5_lllii,comdat
	.globl	_ZL62rocblas_symv_kernel_upper_double_buffered_non_diagonal_genericILi32ELi8ELi2ELi1E24rocblas_internal_val_ptrIfEPKfPfEvbiT3_lT4_lllS6_lllT5_lllii ; -- Begin function _ZL62rocblas_symv_kernel_upper_double_buffered_non_diagonal_genericILi32ELi8ELi2ELi1E24rocblas_internal_val_ptrIfEPKfPfEvbiT3_lT4_lllS6_lllT5_lllii
	.p2align	8
	.type	_ZL62rocblas_symv_kernel_upper_double_buffered_non_diagonal_genericILi32ELi8ELi2ELi1E24rocblas_internal_val_ptrIfEPKfPfEvbiT3_lT4_lllS6_lllT5_lllii,@function
_ZL62rocblas_symv_kernel_upper_double_buffered_non_diagonal_genericILi32ELi8ELi2ELi1E24rocblas_internal_val_ptrIfEPKfPfEvbiT3_lT4_lllS6_lllT5_lllii: ; @_ZL62rocblas_symv_kernel_upper_double_buffered_non_diagonal_genericILi32ELi8ELi2ELi1E24rocblas_internal_val_ptrIfEPKfPfEvbiT3_lT4_lllS6_lllT5_lllii
; %bb.0:
	s_load_dword s0, s[4:5], 0x0
	s_load_dwordx16 s[12:27], s[4:5], 0x8
	s_waitcnt lgkmcnt(0)
	s_bitcmp0_b32 s0, 0
	s_cbranch_scc0 .LBB68_2
; %bb.1:
	s_mul_i32 s0, s15, s8
	s_mul_hi_u32 s1, s14, s8
	s_add_i32 s1, s1, s0
	s_mul_i32 s0, s14, s8
	s_lshl_b64 s[0:1], s[0:1], 2
	s_add_u32 s0, s12, s0
	s_addc_u32 s1, s13, s1
	s_load_dword s33, s[0:1], 0x0
	s_cbranch_execz .LBB68_3
	s_branch .LBB68_4
.LBB68_2:
                                        ; implicit-def: $sgpr33
.LBB68_3:
	s_waitcnt lgkmcnt(0)
	s_mov_b32 s33, s12
.LBB68_4:
	s_waitcnt lgkmcnt(0)
	v_cmp_eq_f32_e64 s[0:1], s33, 0
	s_and_b64 vcc, exec, s[0:1]
	s_cbranch_vccnz .LBB68_79
; %bb.5:
	s_load_dword s2, s[4:5], 0x84
	s_add_u32 s0, s4, 0x80
	s_addc_u32 s1, s5, 0
	s_cmp_eq_u32 s6, 0
	s_waitcnt lgkmcnt(0)
	v_cvt_f32_u32_e32 v2, s2
	v_rcp_iflag_f32_e32 v2, v2
	v_mul_f32_e32 v2, 0x4f7ffffe, v2
	v_cvt_u32_f32_e32 v2, v2
	v_readfirstlane_b32 s3, v2
	s_cbranch_scc1 .LBB68_79
; %bb.6:
	s_sub_i32 s9, 0, s2
	s_mul_i32 s9, s9, s3
	s_mul_hi_u32 s9, s3, s9
	s_add_i32 s3, s3, s9
	s_mul_hi_u32 s3, s6, s3
	s_mul_i32 s9, s3, s2
	s_sub_i32 s9, s6, s9
	s_add_i32 s10, s3, 1
	s_sub_i32 s11, s9, s2
	s_cmp_ge_u32 s9, s2
	s_cselect_b32 s3, s10, s3
	s_cselect_b32 s9, s11, s9
	s_add_i32 s10, s3, 1
	s_cmp_ge_u32 s9, s2
	s_cselect_b32 s14, s10, s3
	s_add_i32 s3, s2, -1
	s_cmp_lg_u32 s7, s3
	s_mov_b32 s37, s14
	s_cbranch_scc1 .LBB68_8
; %bb.7:
	s_mul_i32 s2, s14, s2
	s_sub_i32 s2, s6, s2
	s_add_i32 s37, s2, s14
.LBB68_8:
	s_cmp_eq_u32 s37, 0
	s_cbranch_scc1 .LBB68_79
; %bb.9:
	s_load_dwordx4 s[28:31], s[4:5], 0x48
	v_lshl_add_u32 v2, v1, 5, v0
	s_waitcnt lgkmcnt(0)
	s_mul_i32 s3, s31, s8
	s_mul_hi_u32 s9, s30, s8
	s_mul_i32 s2, s30, s8
	s_add_i32 s3, s9, s3
	s_lshl_b64 s[2:3], s[2:3], 2
	s_add_u32 s9, s24, s2
	s_addc_u32 s10, s25, s3
	s_lshl_b64 s[2:3], s[26:27], 2
	s_add_u32 s9, s9, s2
	s_addc_u32 s36, s10, s3
	s_lshl_b32 s26, s6, 5
	s_ashr_i32 s27, s26, 31
	s_mul_i32 s2, s28, s27
	s_mul_hi_u32 s3, s28, s26
	s_load_dword s30, s[0:1], 0x0
	s_add_i32 s2, s3, s2
	s_mul_i32 s3, s29, s26
	s_add_i32 s3, s2, s3
	s_mul_i32 s2, s28, s26
	s_lshl_b64 s[0:1], s[2:3], 2
	s_add_u32 s15, s9, s0
	s_addc_u32 s24, s36, s1
	s_waitcnt lgkmcnt(0)
	s_add_i32 s30, s30, -1
	s_cmp_lg_u32 s6, s30
	s_cselect_b64 s[10:11], -1, 0
	v_cmp_eq_u32_e64 s[0:1], 0, v1
	s_mov_b64 s[2:3], -1
	s_and_b64 vcc, exec, s[10:11]
	s_cbranch_vccz .LBB68_13
; %bb.10:
	s_and_saveexec_b64 s[2:3], s[0:1]
	s_cbranch_execz .LBB68_12
; %bb.11:
	v_mad_u64_u32 v[3:4], s[12:13], s28, v0, 0
	v_mov_b32_e32 v1, v4
	v_mad_u64_u32 v[4:5], s[12:13], s29, v0, v[1:2]
	v_mov_b32_e32 v1, s24
	v_lshlrev_b64 v[3:4], 2, v[3:4]
	v_add_co_u32_e32 v3, vcc, s15, v3
	v_addc_co_u32_e32 v4, vcc, v1, v4, vcc
	global_load_dword v1, v[3:4], off
	v_lshlrev_b32_e32 v3, 2, v0
	s_waitcnt vmcnt(0)
	ds_write_b32 v3, v1 offset:4096
.LBB68_12:
	s_or_b64 exec, exec, s[2:3]
	s_mov_b64 s[2:3], 0
.LBB68_13:
	s_load_dword s31, s[4:5], 0x78
	v_and_b32_e32 v1, 15, v0
	s_andn2_b64 vcc, exec, s[2:3]
	v_lshrrev_b32_e32 v6, 4, v2
	s_cbranch_vccnz .LBB68_19
; %bb.14:
	s_and_saveexec_b64 s[2:3], s[0:1]
	s_cbranch_execz .LBB68_18
; %bb.15:
	s_waitcnt lgkmcnt(0)
	v_cmp_gt_i32_e32 vcc, s31, v0
	v_mov_b32_e32 v2, 0
	s_and_saveexec_b64 s[12:13], vcc
	s_cbranch_execz .LBB68_17
; %bb.16:
	v_mad_u64_u32 v[2:3], s[34:35], s28, v0, 0
	v_mad_u64_u32 v[3:4], s[34:35], s29, v0, v[3:4]
	v_mov_b32_e32 v4, s24
	v_lshlrev_b64 v[2:3], 2, v[2:3]
	v_add_co_u32_e32 v2, vcc, s15, v2
	v_addc_co_u32_e32 v3, vcc, v4, v3, vcc
	global_load_dword v2, v[2:3], off
.LBB68_17:
	s_or_b64 exec, exec, s[12:13]
	v_lshlrev_b32_e32 v3, 2, v0
	s_waitcnt vmcnt(0)
	ds_write_b32 v3, v2 offset:4096
.LBB68_18:
	s_or_b64 exec, exec, s[2:3]
	v_lshlrev_b32_e32 v2, 2, v1
	v_lshl_or_b32 v2, v6, 7, v2
	v_mov_b32_e32 v3, 0
	ds_write2_b32 v2, v3, v3 offset1:16
	v_add_u32_e32 v2, 0x800, v2
	ds_write2_b32 v2, v3, v3 offset1:16
.LBB68_19:
	s_waitcnt lgkmcnt(0)
	s_lshr_b32 s2, s31, 31
	s_add_i32 s2, s31, s2
	s_ashr_i32 s38, s2, 1
	s_mul_i32 s2, s23, s8
	s_mul_hi_u32 s3, s22, s8
	s_add_i32 s3, s3, s2
	s_mul_i32 s2, s22, s8
	s_lshl_b64 s[2:3], s[2:3], 2
	s_add_u32 s12, s16, s2
	s_addc_u32 s13, s17, s3
	s_lshl_b64 s[2:3], s[18:19], 2
	s_add_u32 s12, s12, s2
	s_addc_u32 s13, s13, s3
	s_mul_i32 s2, s20, s27
	s_mul_hi_u32 s3, s20, s26
	s_add_i32 s2, s3, s2
	s_mul_i32 s3, s21, s26
	s_add_i32 s3, s2, s3
	s_mul_i32 s2, s20, s26
	s_lshl_b64 s[2:3], s[2:3], 2
	s_add_u32 s12, s12, s2
	s_mul_i32 s7, s7, s14
	s_addc_u32 s13, s13, s3
	s_lshl_b32 s16, s7, 5
	s_ashr_i32 s17, s16, 31
	s_lshl_b64 s[2:3], s[16:17], 2
	s_add_u32 s34, s12, s2
	v_lshlrev_b32_e32 v7, 1, v6
	v_mov_b32_e32 v2, 0
	s_addc_u32 s35, s13, s3
	v_mad_u64_u32 v[2:3], s[2:3], s20, v7, v[1:2]
	s_load_dwordx2 s[24:25], s[4:5], 0x58
	s_andn2_b64 vcc, exec, s[10:11]
	v_mad_u64_u32 v[3:4], s[2:3], s21, v7, v[3:4]
	v_cndmask_b32_e64 v4, 0, 1, s[10:11]
	v_cmp_ne_u32_e64 s[2:3], 1, v4
	s_waitcnt lgkmcnt(0)
	s_barrier
	s_cbranch_vccnz .LBB68_21
; %bb.20:
	v_lshlrev_b64 v[4:5], 2, v[2:3]
	v_mov_b32_e32 v8, s35
	v_add_co_u32_e32 v4, vcc, s34, v4
	v_addc_co_u32_e32 v5, vcc, v8, v5, vcc
	s_lshl_b64 s[10:11], s[20:21], 2
	v_mov_b32_e32 v8, s11
	v_add_co_u32_e32 v10, vcc, s10, v4
	v_addc_co_u32_e32 v11, vcc, v5, v8, vcc
	global_load_dword v8, v[4:5], off
	global_load_dword v9, v[10:11], off
	v_cmp_le_i32_e64 s[10:11], s38, v6
	s_cbranch_execz .LBB68_22
	s_branch .LBB68_29
.LBB68_21:
                                        ; implicit-def: $vgpr8_vgpr9
	v_cmp_le_i32_e64 s[10:11], s38, v6
.LBB68_22:
                                        ; implicit-def: $vgpr8_vgpr9
	s_and_saveexec_b64 s[12:13], s[10:11]
	s_xor_b64 s[10:11], exec, s[12:13]
	s_cbranch_execz .LBB68_26
; %bb.23:
	s_waitcnt vmcnt(1)
	v_mov_b32_e32 v8, 0
	v_cmp_eq_u32_e32 vcc, s38, v6
	s_waitcnt vmcnt(0)
	v_mov_b32_e32 v9, v8
	s_and_saveexec_b64 s[12:13], vcc
	s_cbranch_execz .LBB68_25
; %bb.24:
	v_lshlrev_b64 v[4:5], 2, v[2:3]
	v_mov_b32_e32 v9, s35
	v_add_co_u32_e32 v4, vcc, s34, v4
	v_addc_co_u32_e32 v5, vcc, v9, v5, vcc
	global_load_dword v4, v[4:5], off
	v_mov_b32_e32 v5, v8
	s_waitcnt vmcnt(0)
	v_mov_b32_e32 v9, v5
	v_mov_b32_e32 v8, v4
.LBB68_25:
	s_or_b64 exec, exec, s[12:13]
.LBB68_26:
	s_andn2_saveexec_b64 s[10:11], s[10:11]
	s_cbranch_execz .LBB68_28
; %bb.27:
	v_lshlrev_b64 v[4:5], 2, v[2:3]
	s_waitcnt vmcnt(1)
	v_mov_b32_e32 v8, s35
	v_add_co_u32_e32 v4, vcc, s34, v4
	v_addc_co_u32_e32 v5, vcc, v8, v5, vcc
	s_lshl_b64 s[12:13], s[20:21], 2
	v_mov_b32_e32 v8, s13
	v_add_co_u32_e32 v10, vcc, s12, v4
	v_addc_co_u32_e32 v11, vcc, v5, v8, vcc
	global_load_dword v8, v[4:5], off
	global_load_dword v9, v[10:11], off
.LBB68_28:
	s_or_b64 exec, exec, s[10:11]
.LBB68_29:
	s_load_dwordx2 s[10:11], s[4:5], 0x70
	s_load_dwordx4 s[12:15], s[4:5], 0x60
	v_lshlrev_b32_e32 v22, 7, v6
	s_waitcnt lgkmcnt(0)
	s_mul_i32 s5, s11, s8
	s_mul_hi_u32 s7, s10, s8
	s_mul_i32 s4, s10, s8
	s_add_i32 s5, s7, s5
	s_lshl_b64 s[4:5], s[4:5], 2
	s_add_u32 s7, s24, s4
	s_addc_u32 s8, s25, s5
	s_lshl_b64 s[4:5], s[12:13], 2
	s_add_u32 s24, s7, s4
	s_addc_u32 s7, s8, s5
	s_cmp_gt_i32 s37, 0
	s_cbranch_scc1 .LBB68_31
; %bb.30:
	v_lshlrev_b32_e32 v4, 7, v6
	v_mov_b32_e32 v24, 0
	v_mov_b32_e32 v23, 0
	s_cbranch_execz .LBB68_32
	s_branch .LBB68_75
.LBB68_31:
                                        ; implicit-def: $vgpr4
	v_mov_b32_e32 v24, 0
	v_mov_b32_e32 v23, 0
.LBB68_32:
	v_mad_u64_u32 v[4:5], s[4:5], s28, v1, 0
	s_mul_i32 s8, s28, s17
	v_lshlrev_b32_e32 v26, 2, v1
	v_mad_u64_u32 v[10:11], s[4:5], s29, v1, v[5:6]
	s_mul_hi_u32 s4, s28, s16
	s_mul_i32 s5, s29, s16
	s_add_i32 s4, s4, s8
	s_add_i32 s5, s4, s5
	s_mul_i32 s4, s28, s16
	v_mov_b32_e32 v5, v10
	s_lshl_b64 s[4:5], s[4:5], 2
	s_add_u32 s25, s9, s4
	v_lshlrev_b64 v[10:11], 2, v[4:5]
	s_addc_u32 s36, s36, s5
	v_mov_b32_e32 v5, s36
	v_add_co_u32_e32 v4, vcc, s25, v10
	v_addc_co_u32_e32 v5, vcc, v5, v11, vcc
	global_load_dword v28, v[4:5], off
	v_or_b32_e32 v5, 16, v1
	s_mul_i32 s4, s14, s17
	s_mul_hi_u32 s5, s14, s16
	v_mad_u64_u32 v[12:13], s[8:9], s28, v5, 0
	s_add_i32 s4, s5, s4
	s_mul_i32 s5, s15, s16
	s_add_i32 s5, s4, s5
	s_mul_i32 s4, s14, s16
	s_lshl_b64 s[4:5], s[4:5], 2
	s_add_u32 s16, s24, s4
	v_mov_b32_e32 v4, v13
	s_addc_u32 s17, s7, s5
	v_mad_u64_u32 v[13:14], s[4:5], s29, v5, v[4:5]
	v_mad_u64_u32 v[4:5], s[4:5], s14, v0, 0
	v_cmp_le_i32_e64 s[8:9], s38, v6
	v_cmp_eq_u32_e64 s[4:5], s38, v6
	v_mad_u64_u32 v[5:6], s[10:11], s15, v0, v[5:6]
	v_mov_b32_e32 v6, 0x1000
	v_lshlrev_b64 v[12:13], 2, v[12:13]
	v_lshl_add_u32 v27, v7, 2, v6
	v_lshlrev_b32_e32 v25, 2, v0
	v_mov_b32_e32 v29, 0
	s_cmp_eq_u32 s37, 1
	s_cbranch_scc1 .LBB68_60
; %bb.33:
	v_mov_b32_e32 v6, s16
	v_lshlrev_b64 v[14:15], 2, v[2:3]
	s_lshl_b64 s[10:11], s[28:29], 7
	s_lshl_b64 s[12:13], s[14:15], 7
	s_add_i32 s28, s37, -2
	v_mov_b32_e32 v23, 0
	s_mov_b32 s29, 0
	v_mov_b32_e32 v7, s17
	s_lshl_b64 s[16:17], s[20:21], 2
	v_mov_b32_e32 v24, 0
	v_mov_b32_e32 v17, 0
	;; [unrolled: 1-line block ×3, first 2 shown]
.LBB68_34:                              ; =>This Loop Header: Depth=1
                                        ;     Child Loop BB68_56 Depth 2
	v_mov_b32_e32 v19, s36
	v_add_co_u32_e32 v18, vcc, s25, v12
	v_addc_co_u32_e32 v19, vcc, v19, v13, vcc
	global_load_dword v31, v[18:19], off
	s_and_b64 vcc, exec, s[2:3]
	s_mov_b64 s[18:19], -1
                                        ; implicit-def: $vgpr29
                                        ; implicit-def: $vgpr30
	s_cbranch_vccnz .LBB68_38
; %bb.35:                               ;   in Loop: Header=BB68_34 Depth=1
	v_mov_b32_e32 v19, s35
	v_add_co_u32_e32 v18, vcc, s34, v14
	v_addc_co_u32_e32 v19, vcc, v19, v15, vcc
	v_mov_b32_e32 v21, s17
	v_add_co_u32_e32 v20, vcc, s16, v18
	v_addc_co_u32_e32 v21, vcc, v19, v21, vcc
	global_load_dword v30, v[18:19], off offset:64
	global_load_dword v29, v[20:21], off offset:64
	s_cbranch_execz .LBB68_39
.LBB68_36:                              ;   in Loop: Header=BB68_34 Depth=1
	ds_read_b64 v[18:19], v27
	s_and_b64 vcc, exec, s[2:3]
	s_mov_b64 s[18:19], -1
                                        ; implicit-def: $vgpr16_vgpr17
	s_cbranch_vccnz .LBB68_46
.LBB68_37:                              ;   in Loop: Header=BB68_34 Depth=1
	v_mov_b32_e32 v16, s35
	v_add_co_u32_e32 v20, vcc, s34, v14
	v_addc_co_u32_e32 v21, vcc, v16, v15, vcc
	v_mov_b32_e32 v16, s17
	v_add_co_u32_e32 v32, vcc, s16, v20
	v_addc_co_u32_e32 v33, vcc, v21, v16, vcc
	global_load_dword v16, v[20:21], off offset:128
	global_load_dword v17, v[32:33], off offset:128
	s_cbranch_execnz .LBB68_54
	s_branch .LBB68_47
.LBB68_38:                              ;   in Loop: Header=BB68_34 Depth=1
	s_andn2_b64 vcc, exec, s[18:19]
	s_cbranch_vccnz .LBB68_36
.LBB68_39:                              ;   in Loop: Header=BB68_34 Depth=1
	s_and_saveexec_b64 s[18:19], s[8:9]
	s_xor_b64 s[18:19], exec, s[18:19]
	s_cbranch_execz .LBB68_43
; %bb.40:                               ;   in Loop: Header=BB68_34 Depth=1
	s_and_saveexec_b64 s[22:23], s[4:5]
	s_cbranch_execz .LBB68_42
; %bb.41:                               ;   in Loop: Header=BB68_34 Depth=1
	v_mov_b32_e32 v18, s35
	v_add_co_u32_e32 v17, vcc, s34, v14
	v_addc_co_u32_e32 v18, vcc, v18, v15, vcc
	global_load_dword v17, v[17:18], off offset:64
.LBB68_42:                              ;   in Loop: Header=BB68_34 Depth=1
	s_or_b64 exec, exec, s[22:23]
.LBB68_43:                              ;   in Loop: Header=BB68_34 Depth=1
	s_andn2_saveexec_b64 s[18:19], s[18:19]
	s_cbranch_execz .LBB68_45
; %bb.44:                               ;   in Loop: Header=BB68_34 Depth=1
	v_mov_b32_e32 v16, s35
	v_add_co_u32_e32 v18, vcc, s34, v14
	v_addc_co_u32_e32 v19, vcc, v16, v15, vcc
	v_mov_b32_e32 v16, s17
	v_add_co_u32_e32 v20, vcc, s16, v18
	v_addc_co_u32_e32 v21, vcc, v19, v16, vcc
	global_load_dword v17, v[18:19], off offset:64
	global_load_dword v16, v[20:21], off offset:64
.LBB68_45:                              ;   in Loop: Header=BB68_34 Depth=1
	s_or_b64 exec, exec, s[18:19]
	s_waitcnt vmcnt(0)
	v_mov_b32_e32 v30, v17
	v_mov_b32_e32 v29, v16
	ds_read_b64 v[18:19], v27
	s_and_b64 vcc, exec, s[2:3]
	s_mov_b64 s[18:19], -1
                                        ; implicit-def: $vgpr16_vgpr17
	s_cbranch_vccz .LBB68_37
.LBB68_46:                              ;   in Loop: Header=BB68_34 Depth=1
	s_andn2_b64 vcc, exec, s[18:19]
	s_cbranch_vccnz .LBB68_54
.LBB68_47:                              ;   in Loop: Header=BB68_34 Depth=1
                                        ; implicit-def: $vgpr16_vgpr17
	s_and_saveexec_b64 s[18:19], s[8:9]
	s_xor_b64 s[18:19], exec, s[18:19]
	s_cbranch_execz .LBB68_51
; %bb.48:                               ;   in Loop: Header=BB68_34 Depth=1
	s_waitcnt vmcnt(0)
	v_mov_b32_e32 v17, v9
	v_mov_b32_e32 v16, v8
	s_and_saveexec_b64 s[22:23], s[4:5]
	s_cbranch_execz .LBB68_50
; %bb.49:                               ;   in Loop: Header=BB68_34 Depth=1
	v_mov_b32_e32 v17, s35
	v_add_co_u32_e32 v16, vcc, s34, v14
	v_addc_co_u32_e32 v17, vcc, v17, v15, vcc
	global_load_dword v16, v[16:17], off offset:128
	v_mov_b32_e32 v17, v9
.LBB68_50:                              ;   in Loop: Header=BB68_34 Depth=1
	s_or_b64 exec, exec, s[22:23]
.LBB68_51:                              ;   in Loop: Header=BB68_34 Depth=1
	s_andn2_saveexec_b64 s[18:19], s[18:19]
	s_cbranch_execz .LBB68_53
; %bb.52:                               ;   in Loop: Header=BB68_34 Depth=1
	s_waitcnt vmcnt(0)
	v_mov_b32_e32 v16, s35
	v_add_co_u32_e32 v20, vcc, s34, v14
	v_addc_co_u32_e32 v21, vcc, v16, v15, vcc
	v_mov_b32_e32 v16, s17
	v_add_co_u32_e32 v32, vcc, s16, v20
	v_addc_co_u32_e32 v33, vcc, v21, v16, vcc
	global_load_dword v16, v[20:21], off offset:128
	global_load_dword v17, v[32:33], off offset:128
.LBB68_53:                              ;   in Loop: Header=BB68_34 Depth=1
	s_or_b64 exec, exec, s[18:19]
.LBB68_54:                              ;   in Loop: Header=BB68_34 Depth=1
	s_add_u32 s25, s25, s10
	s_addc_u32 s36, s36, s11
	v_mov_b32_e32 v21, s36
	v_add_co_u32_e32 v20, vcc, s25, v10
	v_addc_co_u32_e32 v21, vcc, v21, v11, vcc
	global_load_dword v32, v[20:21], off
	s_waitcnt vmcnt(4) lgkmcnt(0)
	v_fma_f32 v20, v8, v18, 0
	s_waitcnt vmcnt(2)
	v_fma_f32 v18, v30, v18, 0
	v_fmac_f32_e32 v20, v9, v19
	s_waitcnt vmcnt(1)
	v_fmac_f32_e32 v18, v29, v19
	v_add_u32_e32 v19, v26, v22
	s_waitcnt vmcnt(0)
	s_barrier
	ds_write2_b32 v19, v20, v18 offset1:16
	s_waitcnt lgkmcnt(0)
	s_barrier
	s_and_saveexec_b64 s[18:19], s[0:1]
	s_cbranch_execz .LBB68_58
; %bb.55:                               ;   in Loop: Header=BB68_34 Depth=1
	ds_read2_b32 v[18:19], v25 offset1:32
	v_add_u32_e32 v21, 0x400, v25
	s_mov_b64 s[22:23], 0
	s_waitcnt lgkmcnt(0)
	v_add_f32_e32 v18, 0, v18
	v_add_f32_e32 v20, v18, v19
	ds_read2_b32 v[18:19], v25 offset0:64 offset1:96
	s_waitcnt lgkmcnt(0)
	v_add_f32_e32 v18, v20, v18
	v_add_f32_e32 v20, v18, v19
	ds_read2_b32 v[18:19], v25 offset0:128 offset1:160
	;; [unrolled: 4-line block ×3, first 2 shown]
	s_waitcnt lgkmcnt(0)
	v_add_f32_e32 v18, v20, v18
	v_add_f32_e32 v20, v18, v19
	ds_read2_b32 v[18:19], v21 offset1:32
	s_waitcnt lgkmcnt(0)
	v_add_f32_e32 v18, v20, v18
	v_add_f32_e32 v20, v18, v19
	ds_read2_b32 v[18:19], v21 offset0:64 offset1:96
	s_waitcnt lgkmcnt(0)
	v_add_f32_e32 v18, v20, v18
	v_add_f32_e32 v20, v18, v19
	ds_read2_b32 v[18:19], v21 offset0:128 offset1:160
	;; [unrolled: 4-line block ×3, first 2 shown]
	s_waitcnt lgkmcnt(0)
	v_add_f32_e32 v18, v20, v18
	v_add_f32_e32 v20, v18, v19
	v_lshlrev_b64 v[18:19], 2, v[4:5]
	v_mul_f32_e32 v33, s33, v20
	v_add_co_u32_e32 v18, vcc, v6, v18
	v_addc_co_u32_e32 v19, vcc, v7, v19, vcc
	global_load_dword v21, v[18:19], off
.LBB68_56:                              ;   Parent Loop BB68_34 Depth=1
                                        ; =>  This Inner Loop Header: Depth=2
	s_waitcnt vmcnt(0)
	v_add_f32_e32 v20, v21, v33
	global_atomic_cmpswap v20, v[18:19], v[20:21], off glc
	s_waitcnt vmcnt(0)
	v_cmp_eq_u32_e32 vcc, v20, v21
	s_or_b64 s[22:23], vcc, s[22:23]
	v_mov_b32_e32 v21, v20
	s_andn2_b64 exec, exec, s[22:23]
	s_cbranch_execnz .LBB68_56
; %bb.57:                               ;   in Loop: Header=BB68_34 Depth=1
	s_or_b64 exec, exec, s[22:23]
	v_mov_b32_e32 v18, s13
	v_add_co_u32_e32 v6, vcc, s12, v6
	v_addc_co_u32_e32 v7, vcc, v7, v18, vcc
.LBB68_58:                              ;   in Loop: Header=BB68_34 Depth=1
	s_or_b64 exec, exec, s[18:19]
	s_add_u32 s34, s34, 0x80
	v_fmac_f32_e32 v23, v28, v8
	v_fmac_f32_e32 v24, v28, v9
	s_addc_u32 s35, s35, 0
	s_add_i32 s18, s29, 1
	v_fmac_f32_e32 v23, v31, v30
	v_fmac_f32_e32 v24, v31, v29
	s_cmp_eq_u32 s29, s28
	s_cbranch_scc1 .LBB68_61
; %bb.59:                               ;   in Loop: Header=BB68_34 Depth=1
	v_mov_b32_e32 v8, v16
	s_mov_b32 s29, s18
	v_mov_b32_e32 v28, v32
	v_mov_b32_e32 v9, v17
	;; [unrolled: 1-line block ×4, first 2 shown]
	s_branch .LBB68_34
.LBB68_60:
	v_mov_b32_e32 v6, s16
	s_waitcnt vmcnt(1)
	v_mov_b32_e32 v17, v9
	v_mov_b32_e32 v7, s17
	;; [unrolled: 1-line block ×6, first 2 shown]
	s_waitcnt vmcnt(0)
	v_mov_b32_e32 v32, v28
.LBB68_61:
	v_mov_b32_e32 v9, s36
	v_add_co_u32_e32 v8, vcc, s25, v12
	v_addc_co_u32_e32 v9, vcc, v9, v13, vcc
	global_load_dword v8, v[8:9], off
	s_and_b64 vcc, exec, s[2:3]
	s_cbranch_vccnz .LBB68_63
; %bb.62:
	v_lshlrev_b64 v[9:10], 2, v[2:3]
	v_mov_b32_e32 v12, s35
	v_add_co_u32_e32 v11, vcc, s34, v9
	v_addc_co_u32_e32 v12, vcc, v12, v10, vcc
	s_lshl_b64 s[2:3], s[20:21], 2
	v_mov_b32_e32 v9, s3
	v_add_co_u32_e32 v13, vcc, s2, v11
	v_addc_co_u32_e32 v14, vcc, v12, v9, vcc
	global_load_dword v9, v[11:12], off offset:64
	global_load_dword v10, v[13:14], off offset:64
	s_cbranch_execz .LBB68_64
	s_branch .LBB68_71
.LBB68_63:
                                        ; implicit-def: $vgpr10
                                        ; implicit-def: $vgpr9
.LBB68_64:
	s_and_saveexec_b64 s[2:3], s[8:9]
	s_xor_b64 s[2:3], exec, s[2:3]
	s_cbranch_execz .LBB68_68
; %bb.65:
	s_and_saveexec_b64 s[8:9], s[4:5]
	s_cbranch_execz .LBB68_67
; %bb.66:
	v_lshlrev_b64 v[2:3], 2, v[2:3]
	s_waitcnt vmcnt(1)
	v_mov_b32_e32 v9, s35
	v_add_co_u32_e32 v2, vcc, s34, v2
	v_addc_co_u32_e32 v3, vcc, v9, v3, vcc
	global_load_dword v30, v[2:3], off offset:64
.LBB68_67:
	s_or_b64 exec, exec, s[8:9]
                                        ; implicit-def: $vgpr2_vgpr3
.LBB68_68:
	s_andn2_saveexec_b64 s[2:3], s[2:3]
	s_cbranch_execz .LBB68_70
; %bb.69:
	v_lshlrev_b64 v[2:3], 2, v[2:3]
	s_waitcnt vmcnt(1)
	v_mov_b32_e32 v9, s35
	v_add_co_u32_e32 v2, vcc, s34, v2
	v_addc_co_u32_e32 v3, vcc, v9, v3, vcc
	s_lshl_b64 s[4:5], s[20:21], 2
	s_waitcnt vmcnt(0)
	v_mov_b32_e32 v10, s5
	v_add_co_u32_e32 v9, vcc, s4, v2
	v_addc_co_u32_e32 v10, vcc, v3, v10, vcc
	global_load_dword v30, v[2:3], off offset:64
	global_load_dword v29, v[9:10], off offset:64
.LBB68_70:
	s_or_b64 exec, exec, s[2:3]
	s_waitcnt vmcnt(0)
	v_mov_b32_e32 v9, v30
	v_mov_b32_e32 v10, v29
.LBB68_71:
	ds_read_b64 v[2:3], v27
	v_fmac_f32_e32 v23, v32, v16
	v_fmac_f32_e32 v24, v32, v17
	s_waitcnt vmcnt(0) lgkmcnt(0)
	s_barrier
	v_fma_f32 v11, v16, v2, 0
	v_fma_f32 v2, v9, v2, 0
	v_fmac_f32_e32 v11, v17, v3
	v_fmac_f32_e32 v2, v10, v3
	v_add_u32_e32 v3, v26, v22
	ds_write2_b32 v3, v11, v2 offset1:16
	s_waitcnt lgkmcnt(0)
	s_barrier
	s_and_saveexec_b64 s[2:3], s[0:1]
	s_cbranch_execz .LBB68_74
; %bb.72:
	v_lshlrev_b64 v[2:3], 2, v[4:5]
	v_add_u32_e32 v15, 0x400, v25
	v_add_co_u32_e32 v2, vcc, v6, v2
	v_addc_co_u32_e32 v3, vcc, v7, v3, vcc
	global_load_dword v5, v[2:3], off
	ds_read2_b32 v[6:7], v25 offset1:32
	ds_read2_b32 v[11:12], v25 offset0:64 offset1:96
	ds_read2_b32 v[13:14], v25 offset0:128 offset1:160
	s_mov_b64 s[4:5], 0
	s_waitcnt lgkmcnt(2)
	v_add_f32_e32 v4, 0, v6
	v_add_f32_e32 v4, v4, v7
	ds_read2_b32 v[6:7], v25 offset0:192 offset1:224
	s_waitcnt lgkmcnt(2)
	v_add_f32_e32 v4, v4, v11
	v_add_f32_e32 v4, v4, v12
	s_waitcnt lgkmcnt(1)
	v_add_f32_e32 v4, v4, v13
	ds_read2_b32 v[11:12], v15 offset1:32
	v_add_f32_e32 v4, v4, v14
	s_waitcnt lgkmcnt(1)
	v_add_f32_e32 v4, v4, v6
	v_add_f32_e32 v4, v4, v7
	ds_read2_b32 v[6:7], v15 offset0:64 offset1:96
	ds_read2_b32 v[13:14], v15 offset0:128 offset1:160
	s_waitcnt lgkmcnt(2)
	v_add_f32_e32 v4, v4, v11
	v_add_f32_e32 v4, v4, v12
	ds_read2_b32 v[11:12], v15 offset0:192 offset1:224
	s_waitcnt lgkmcnt(2)
	v_add_f32_e32 v4, v4, v6
	v_add_f32_e32 v4, v4, v7
	s_waitcnt lgkmcnt(1)
	v_add_f32_e32 v4, v4, v13
	v_add_f32_e32 v4, v4, v14
	;; [unrolled: 3-line block ×3, first 2 shown]
	v_mul_f32_e32 v6, s33, v4
.LBB68_73:                              ; =>This Inner Loop Header: Depth=1
	s_waitcnt vmcnt(0)
	v_add_f32_e32 v4, v5, v6
	global_atomic_cmpswap v4, v[2:3], v[4:5], off glc
	s_waitcnt vmcnt(0)
	v_cmp_eq_u32_e32 vcc, v4, v5
	s_or_b64 s[4:5], vcc, s[4:5]
	v_mov_b32_e32 v5, v4
	s_andn2_b64 exec, exec, s[4:5]
	s_cbranch_execnz .LBB68_73
.LBB68_74:
	s_or_b64 exec, exec, s[2:3]
	v_fmac_f32_e32 v23, v8, v9
	v_fmac_f32_e32 v24, v8, v10
	v_mov_b32_e32 v4, v22
.LBB68_75:
	v_lshl_add_u32 v2, v1, 2, v4
	v_add_u32_e32 v2, 0x800, v2
	ds_write2_b32 v2, v23, v24 offset1:16
	s_waitcnt vmcnt(0) lgkmcnt(0)
	s_barrier
	s_and_saveexec_b64 s[2:3], s[0:1]
	s_cbranch_execz .LBB68_79
; %bb.76:
	s_cmp_lt_u32 s6, s30
	v_cmp_gt_i32_e32 vcc, s31, v0
	s_cselect_b64 s[0:1], -1, 0
	s_or_b64 s[0:1], vcc, s[0:1]
	s_and_b64 exec, exec, s[0:1]
	s_cbranch_execz .LBB68_79
; %bb.77:
	v_mad_u64_u32 v[2:3], s[2:3], s14, v0, 0
	s_mul_i32 s0, s14, s27
	s_mul_hi_u32 s1, s14, s26
	v_mad_u64_u32 v[3:4], s[2:3], s15, v0, v[3:4]
	s_add_i32 s0, s1, s0
	s_mul_i32 s1, s15, s26
	s_add_i32 s1, s0, s1
	s_mul_i32 s0, s14, s26
	s_lshl_b64 s[0:1], s[0:1], 2
	s_add_u32 s0, s24, s0
	v_lshlrev_b64 v[2:3], 2, v[2:3]
	s_addc_u32 s1, s7, s1
	v_mov_b32_e32 v5, s1
	v_add_co_u32_e32 v2, vcc, s0, v2
	v_addc_co_u32_e32 v3, vcc, v5, v3, vcc
	global_load_dword v5, v[2:3], off
	v_mov_b32_e32 v4, 0x800
	v_add_u32_e32 v7, 1, v0
	v_add_u32_e32 v8, 2, v0
	;; [unrolled: 1-line block ×7, first 2 shown]
	v_lshl_add_u32 v4, v0, 6, v4
	v_and_b32_e32 v7, 15, v7
	v_and_b32_e32 v8, 15, v8
	v_and_b32_e32 v9, 15, v9
	v_and_b32_e32 v10, 15, v10
	v_and_b32_e32 v11, 15, v11
	v_and_b32_e32 v12, 15, v12
	v_and_b32_e32 v13, 15, v13
	v_lshl_or_b32 v6, v1, 2, v4
	v_lshl_or_b32 v7, v7, 2, v4
	;; [unrolled: 1-line block ×8, first 2 shown]
	ds_read_b32 v6, v6
	ds_read_b32 v7, v7
	;; [unrolled: 1-line block ×8, first 2 shown]
	s_waitcnt lgkmcnt(7)
	v_add_f32_e32 v6, 0, v6
	s_waitcnt lgkmcnt(6)
	v_add_f32_e32 v6, v6, v7
	;; [unrolled: 2-line block ×7, first 2 shown]
	v_add_u32_e32 v7, 9, v0
	v_add_u32_e32 v8, 10, v0
	;; [unrolled: 1-line block ×6, first 2 shown]
	v_add_u32_e32 v0, -1, v0
	v_xor_b32_e32 v1, 8, v1
	v_and_b32_e32 v7, 15, v7
	v_and_b32_e32 v8, 15, v8
	;; [unrolled: 1-line block ×6, first 2 shown]
	v_lshl_or_b32 v1, v1, 2, v4
	v_lshl_or_b32 v7, v7, 2, v4
	v_lshl_or_b32 v8, v8, 2, v4
	v_lshl_or_b32 v9, v9, 2, v4
	v_lshl_or_b32 v10, v10, 2, v4
	v_lshl_or_b32 v11, v11, 2, v4
	v_and_b32_e32 v12, 15, v12
	v_lshl_or_b32 v0, v0, 2, v4
	s_waitcnt lgkmcnt(0)
	v_add_f32_e32 v6, v6, v13
	v_lshl_or_b32 v12, v12, 2, v4
	ds_read_b32 v1, v1
	ds_read_b32 v4, v7
	;; [unrolled: 1-line block ×8, first 2 shown]
	s_waitcnt lgkmcnt(7)
	v_add_f32_e32 v1, v6, v1
	s_waitcnt lgkmcnt(6)
	v_add_f32_e32 v1, v1, v4
	s_waitcnt lgkmcnt(5)
	v_add_f32_e32 v1, v1, v7
	s_waitcnt lgkmcnt(4)
	v_add_f32_e32 v1, v1, v8
	s_waitcnt lgkmcnt(3)
	v_add_f32_e32 v1, v1, v9
	s_waitcnt lgkmcnt(2)
	v_add_f32_e32 v1, v1, v10
	s_waitcnt lgkmcnt(1)
	v_add_f32_e32 v1, v1, v11
	s_waitcnt lgkmcnt(0)
	v_add_f32_e32 v0, v1, v0
	v_mul_f32_e32 v0, s33, v0
	s_mov_b64 s[0:1], 0
.LBB68_78:                              ; =>This Inner Loop Header: Depth=1
	s_waitcnt vmcnt(0)
	v_add_f32_e32 v4, v5, v0
	global_atomic_cmpswap v1, v[2:3], v[4:5], off glc
	s_waitcnt vmcnt(0)
	v_cmp_eq_u32_e32 vcc, v1, v5
	s_or_b64 s[0:1], vcc, s[0:1]
	v_mov_b32_e32 v5, v1
	s_andn2_b64 exec, exec, s[0:1]
	s_cbranch_execnz .LBB68_78
.LBB68_79:
	s_endpgm
	.section	.rodata,"a",@progbits
	.p2align	6, 0x0
	.amdhsa_kernel _ZL62rocblas_symv_kernel_upper_double_buffered_non_diagonal_genericILi32ELi8ELi2ELi1E24rocblas_internal_val_ptrIfEPKfPfEvbiT3_lT4_lllS6_lllT5_lllii
		.amdhsa_group_segment_fixed_size 4224
		.amdhsa_private_segment_fixed_size 0
		.amdhsa_kernarg_size 384
		.amdhsa_user_sgpr_count 6
		.amdhsa_user_sgpr_private_segment_buffer 1
		.amdhsa_user_sgpr_dispatch_ptr 0
		.amdhsa_user_sgpr_queue_ptr 0
		.amdhsa_user_sgpr_kernarg_segment_ptr 1
		.amdhsa_user_sgpr_dispatch_id 0
		.amdhsa_user_sgpr_flat_scratch_init 0
		.amdhsa_user_sgpr_private_segment_size 0
		.amdhsa_uses_dynamic_stack 0
		.amdhsa_system_sgpr_private_segment_wavefront_offset 0
		.amdhsa_system_sgpr_workgroup_id_x 1
		.amdhsa_system_sgpr_workgroup_id_y 1
		.amdhsa_system_sgpr_workgroup_id_z 1
		.amdhsa_system_sgpr_workgroup_info 0
		.amdhsa_system_vgpr_workitem_id 1
		.amdhsa_next_free_vgpr 34
		.amdhsa_next_free_sgpr 39
		.amdhsa_reserve_vcc 1
		.amdhsa_reserve_flat_scratch 0
		.amdhsa_float_round_mode_32 0
		.amdhsa_float_round_mode_16_64 0
		.amdhsa_float_denorm_mode_32 3
		.amdhsa_float_denorm_mode_16_64 3
		.amdhsa_dx10_clamp 1
		.amdhsa_ieee_mode 1
		.amdhsa_fp16_overflow 0
		.amdhsa_exception_fp_ieee_invalid_op 0
		.amdhsa_exception_fp_denorm_src 0
		.amdhsa_exception_fp_ieee_div_zero 0
		.amdhsa_exception_fp_ieee_overflow 0
		.amdhsa_exception_fp_ieee_underflow 0
		.amdhsa_exception_fp_ieee_inexact 0
		.amdhsa_exception_int_div_zero 0
	.end_amdhsa_kernel
	.section	.text._ZL62rocblas_symv_kernel_upper_double_buffered_non_diagonal_genericILi32ELi8ELi2ELi1E24rocblas_internal_val_ptrIfEPKfPfEvbiT3_lT4_lllS6_lllT5_lllii,"axG",@progbits,_ZL62rocblas_symv_kernel_upper_double_buffered_non_diagonal_genericILi32ELi8ELi2ELi1E24rocblas_internal_val_ptrIfEPKfPfEvbiT3_lT4_lllS6_lllT5_lllii,comdat
.Lfunc_end68:
	.size	_ZL62rocblas_symv_kernel_upper_double_buffered_non_diagonal_genericILi32ELi8ELi2ELi1E24rocblas_internal_val_ptrIfEPKfPfEvbiT3_lT4_lllS6_lllT5_lllii, .Lfunc_end68-_ZL62rocblas_symv_kernel_upper_double_buffered_non_diagonal_genericILi32ELi8ELi2ELi1E24rocblas_internal_val_ptrIfEPKfPfEvbiT3_lT4_lllS6_lllT5_lllii
                                        ; -- End function
	.set _ZL62rocblas_symv_kernel_upper_double_buffered_non_diagonal_genericILi32ELi8ELi2ELi1E24rocblas_internal_val_ptrIfEPKfPfEvbiT3_lT4_lllS6_lllT5_lllii.num_vgpr, 34
	.set _ZL62rocblas_symv_kernel_upper_double_buffered_non_diagonal_genericILi32ELi8ELi2ELi1E24rocblas_internal_val_ptrIfEPKfPfEvbiT3_lT4_lllS6_lllT5_lllii.num_agpr, 0
	.set _ZL62rocblas_symv_kernel_upper_double_buffered_non_diagonal_genericILi32ELi8ELi2ELi1E24rocblas_internal_val_ptrIfEPKfPfEvbiT3_lT4_lllS6_lllT5_lllii.numbered_sgpr, 39
	.set _ZL62rocblas_symv_kernel_upper_double_buffered_non_diagonal_genericILi32ELi8ELi2ELi1E24rocblas_internal_val_ptrIfEPKfPfEvbiT3_lT4_lllS6_lllT5_lllii.num_named_barrier, 0
	.set _ZL62rocblas_symv_kernel_upper_double_buffered_non_diagonal_genericILi32ELi8ELi2ELi1E24rocblas_internal_val_ptrIfEPKfPfEvbiT3_lT4_lllS6_lllT5_lllii.private_seg_size, 0
	.set _ZL62rocblas_symv_kernel_upper_double_buffered_non_diagonal_genericILi32ELi8ELi2ELi1E24rocblas_internal_val_ptrIfEPKfPfEvbiT3_lT4_lllS6_lllT5_lllii.uses_vcc, 1
	.set _ZL62rocblas_symv_kernel_upper_double_buffered_non_diagonal_genericILi32ELi8ELi2ELi1E24rocblas_internal_val_ptrIfEPKfPfEvbiT3_lT4_lllS6_lllT5_lllii.uses_flat_scratch, 0
	.set _ZL62rocblas_symv_kernel_upper_double_buffered_non_diagonal_genericILi32ELi8ELi2ELi1E24rocblas_internal_val_ptrIfEPKfPfEvbiT3_lT4_lllS6_lllT5_lllii.has_dyn_sized_stack, 0
	.set _ZL62rocblas_symv_kernel_upper_double_buffered_non_diagonal_genericILi32ELi8ELi2ELi1E24rocblas_internal_val_ptrIfEPKfPfEvbiT3_lT4_lllS6_lllT5_lllii.has_recursion, 0
	.set _ZL62rocblas_symv_kernel_upper_double_buffered_non_diagonal_genericILi32ELi8ELi2ELi1E24rocblas_internal_val_ptrIfEPKfPfEvbiT3_lT4_lllS6_lllT5_lllii.has_indirect_call, 0
	.section	.AMDGPU.csdata,"",@progbits
; Kernel info:
; codeLenInByte = 3568
; TotalNumSgprs: 43
; NumVgprs: 34
; ScratchSize: 0
; MemoryBound: 0
; FloatMode: 240
; IeeeMode: 1
; LDSByteSize: 4224 bytes/workgroup (compile time only)
; SGPRBlocks: 5
; VGPRBlocks: 8
; NumSGPRsForWavesPerEU: 43
; NumVGPRsForWavesPerEU: 34
; Occupancy: 7
; WaveLimiterHint : 0
; COMPUTE_PGM_RSRC2:SCRATCH_EN: 0
; COMPUTE_PGM_RSRC2:USER_SGPR: 6
; COMPUTE_PGM_RSRC2:TRAP_HANDLER: 0
; COMPUTE_PGM_RSRC2:TGID_X_EN: 1
; COMPUTE_PGM_RSRC2:TGID_Y_EN: 1
; COMPUTE_PGM_RSRC2:TGID_Z_EN: 1
; COMPUTE_PGM_RSRC2:TIDIG_COMP_CNT: 1
	.section	.text._ZL26rocblas_hemvn_kernel_upperILb0ELi64ELi4ELi33ELi32ELi16ElPKfS1_PfEviT6_lT7_lT5_lS4_lS5_lS3_lT8_i,"axG",@progbits,_ZL26rocblas_hemvn_kernel_upperILb0ELi64ELi4ELi33ELi32ELi16ElPKfS1_PfEviT6_lT7_lT5_lS4_lS5_lS3_lT8_i,comdat
	.globl	_ZL26rocblas_hemvn_kernel_upperILb0ELi64ELi4ELi33ELi32ELi16ElPKfS1_PfEviT6_lT7_lT5_lS4_lS5_lS3_lT8_i ; -- Begin function _ZL26rocblas_hemvn_kernel_upperILb0ELi64ELi4ELi33ELi32ELi16ElPKfS1_PfEviT6_lT7_lT5_lS4_lS5_lS3_lT8_i
	.p2align	8
	.type	_ZL26rocblas_hemvn_kernel_upperILb0ELi64ELi4ELi33ELi32ELi16ElPKfS1_PfEviT6_lT7_lT5_lS4_lS5_lS3_lT8_i,@function
_ZL26rocblas_hemvn_kernel_upperILb0ELi64ELi4ELi33ELi32ELi16ElPKfS1_PfEviT6_lT7_lT5_lS4_lS5_lS3_lT8_i: ; @_ZL26rocblas_hemvn_kernel_upperILb0ELi64ELi4ELi33ELi32ELi16ElPKfS1_PfEviT6_lT7_lT5_lS4_lS5_lS3_lT8_i
; %bb.0:
	s_load_dwordx2 s[2:3], s[4:5], 0x84
	s_add_u32 s0, s4, 0x78
	s_addc_u32 s1, s5, 0
	s_waitcnt lgkmcnt(0)
	s_lshr_b32 s8, s2, 16
	s_and_b32 s2, s2, 0xffff
	s_and_b32 s3, s3, 0xffff
	s_mul_i32 s2, s8, s2
	s_mul_i32 s2, s2, s3
	s_cmpk_lg_i32 s2, 0x100
	s_cbranch_scc1 .LBB69_128
; %bb.1:
	s_load_dwordx16 s[8:23], s[4:5], 0x8
	s_load_dwordx8 s[24:31], s[4:5], 0x48
	s_waitcnt lgkmcnt(0)
	s_mul_i32 s3, s11, s7
	s_mul_hi_u32 s11, s10, s7
	s_mul_i32 s2, s10, s7
	s_add_i32 s3, s11, s3
	s_lshl_b64 s[2:3], s[2:3], 2
	s_add_u32 s2, s8, s2
	s_addc_u32 s3, s9, s3
	s_mul_i32 s10, s31, s7
	s_load_dword s8, s[2:3], 0x0
	s_mul_hi_u32 s2, s30, s7
	s_add_i32 s3, s2, s10
	s_mul_i32 s2, s30, s7
	s_lshl_b64 s[2:3], s[2:3], 2
	s_add_u32 s2, s28, s2
	s_addc_u32 s3, s29, s3
	s_load_dword s9, s[2:3], 0x0
	s_waitcnt lgkmcnt(0)
	v_cmp_eq_f32_e64 s[2:3], s8, 0
	v_cmp_eq_f32_e64 s[8:9], s9, 1.0
	s_and_b64 s[8:9], s[2:3], s[8:9]
	s_and_b64 vcc, exec, s[8:9]
	s_cbranch_vccnz .LBB69_128
; %bb.2:
	s_and_b64 vcc, exec, s[2:3]
	s_cbranch_vccnz .LBB69_128
; %bb.3:
	s_load_dword s33, s[0:1], 0x0
	s_load_dwordx2 s[28:29], s[4:5], 0x68
	s_load_dword s39, s[4:5], 0x0
	s_mul_i32 s0, s27, s7
	s_mul_hi_u32 s1, s26, s7
	s_add_i32 s1, s1, s0
	s_mul_i32 s0, s26, s7
	s_lshl_b64 s[0:1], s[0:1], 2
	s_add_u32 s2, s20, s0
	s_addc_u32 s3, s21, s1
	s_lshl_b64 s[0:1], s[22:23], 2
	s_add_u32 s2, s2, s0
	s_addc_u32 s3, s3, s1
	s_lshl_b32 s22, s6, 6
	s_waitcnt lgkmcnt(0)
	s_ashr_i32 s40, s39, 31
	s_lshr_b32 s0, s40, 26
	v_add_u32_e32 v18, s22, v0
	s_add_i32 s0, s39, s0
	v_ashrrev_i32_e32 v19, 31, v18
	s_and_b32 s5, s0, 0xffffffc0
	v_mul_lo_u32 v4, s24, v19
	v_mul_lo_u32 v5, s25, v18
	v_mad_u64_u32 v[2:3], s[0:1], s24, v18, 0
	s_add_i32 s4, s33, -1
	s_sub_i32 s38, s39, s5
	v_add3_u32 v3, v3, v4, v5
	v_lshlrev_b64 v[2:3], 2, v[2:3]
	s_cmp_eq_u32 s6, s4
	v_mov_b32_e32 v4, s3
	v_add_co_u32_e32 v6, vcc, s2, v2
	s_cselect_b32 s20, s38, 0
	v_addc_co_u32_e32 v7, vcc, v4, v3, vcc
	v_cmp_eq_u32_e64 s[0:1], 0, v1
	s_and_saveexec_b64 s[2:3], s[0:1]
	s_cbranch_execz .LBB69_7
; %bb.4:
	s_cmp_eq_u32 s20, 0
	s_cselect_b64 s[4:5], -1, 0
	v_cmp_gt_i32_e32 vcc, s20, v0
	s_or_b64 s[8:9], s[4:5], vcc
	v_mov_b32_e32 v2, 0
	s_and_saveexec_b64 s[4:5], s[8:9]
	s_cbranch_execz .LBB69_6
; %bb.5:
	global_load_dword v2, v[6:7], off
.LBB69_6:
	s_or_b64 exec, exec, s[4:5]
	v_lshlrev_b32_e32 v3, 2, v0
	s_waitcnt vmcnt(0)
	ds_write_b32 v3, v2 offset:4544
.LBB69_7:
	s_or_b64 exec, exec, s[2:3]
	v_lshl_add_u32 v14, v1, 6, v0
	s_mul_i32 s2, s19, s7
	s_mul_hi_u32 s3, s18, s7
	v_and_b32_e32 v2, 31, v0
	v_lshrrev_b32_e32 v15, 5, v14
	s_add_i32 s3, s3, s2
	s_mul_i32 s2, s18, s7
	v_mov_b32_e32 v3, 0
	s_lshl_b64 s[2:3], s[2:3], 2
	v_mad_u64_u32 v[4:5], s[4:5], s16, v15, v[2:3]
	s_add_u32 s8, s12, s2
	s_addc_u32 s9, s13, s3
	s_lshl_b64 s[2:3], s[14:15], 2
	s_add_u32 s4, s8, s2
	s_addc_u32 s5, s9, s3
	v_mad_u64_u32 v[8:9], s[2:3], s17, v15, v[5:6]
	s_ashr_i32 s23, s22, 31
	s_lshl_b64 s[2:3], s[22:23], 2
	v_mov_b32_e32 v5, v8
	s_add_u32 s2, s4, s2
	v_lshlrev_b64 v[8:9], 2, v[4:5]
	s_addc_u32 s3, s5, s3
	v_mov_b32_e32 v4, s3
	v_add_co_u32_e32 v5, vcc, s2, v8
	s_mul_hi_u32 s2, s16, s22
	s_mul_i32 s3, s16, s23
	s_add_i32 s2, s2, s3
	s_mul_i32 s3, s17, s22
	s_add_i32 s3, s2, s3
	s_mul_i32 s2, s16, s22
	s_lshl_b64 s[2:3], s[2:3], 2
	v_addc_co_u32_e32 v4, vcc, v4, v9, vcc
	s_cmp_eq_u32 s20, 0
	v_mov_b32_e32 v11, s3
	v_add_co_u32_e32 v10, vcc, s2, v5
	s_cselect_b64 s[18:19], -1, 0
	s_cmp_lg_u32 s20, 0
	v_addc_co_u32_e32 v11, vcc, v4, v11, vcc
	s_cselect_b64 s[26:27], -1, 0
	s_and_b64 vcc, exec, s[26:27]
	v_cmp_gt_i32_e64 s[2:3], s20, v2
	v_lshlrev_b32_e32 v16, 2, v2
	s_cbranch_vccz .LBB69_17
; %bb.8:
	v_sub_co_u32_e32 v4, vcc, v10, v16
	s_ashr_i32 s21, s20, 31
	v_subbrev_co_u32_e32 v5, vcc, 0, v11, vcc
	s_lshl_b64 s[4:5], s[20:21], 2
	v_mov_b32_e32 v12, s5
	v_add_co_u32_e32 v4, vcc, s4, v4
	v_addc_co_u32_e32 v5, vcc, v5, v12, vcc
	v_add_co_u32_e32 v4, vcc, -4, v4
	v_addc_co_u32_e32 v5, vcc, -1, v5, vcc
	v_cndmask_b32_e64 v5, v5, v11, s[2:3]
	v_cndmask_b32_e64 v4, v4, v10, s[2:3]
	v_cmp_gt_i32_e32 vcc, s20, v15
	s_and_saveexec_b64 s[8:9], vcc
	s_cbranch_execz .LBB69_10
; %bb.9:
	global_load_dword v3, v[4:5], off
.LBB69_10:
	s_or_b64 exec, exec, s[8:9]
	v_lshlrev_b32_e32 v13, 2, v2
	s_movk_i32 s8, 0x84
	v_mad_u32_u24 v12, v15, s8, v13
	s_waitcnt vmcnt(0)
	ds_write_b32 v12, v3
	v_add_u32_e32 v3, 8, v15
	v_mul_u32_u24_e32 v17, 0x84, v15
	v_cmp_gt_i32_e32 vcc, s20, v3
	v_mov_b32_e32 v12, 0
	v_mov_b32_e32 v20, 0
	s_and_saveexec_b64 s[8:9], vcc
	s_cbranch_execz .LBB69_12
; %bb.11:
	s_lshl_b64 s[10:11], s[16:17], 5
	v_mov_b32_e32 v3, s11
	v_add_co_u32_e32 v20, vcc, s10, v4
	v_addc_co_u32_e32 v21, vcc, v5, v3, vcc
	global_load_dword v20, v[20:21], off
.LBB69_12:
	s_or_b64 exec, exec, s[8:9]
	v_add_u32_e32 v3, v17, v13
	v_add_u32_e32 v13, 16, v15
	v_cmp_gt_i32_e32 vcc, s20, v13
	s_waitcnt vmcnt(0)
	ds_write_b32 v3, v20 offset:1056
	s_and_saveexec_b64 s[8:9], vcc
	s_cbranch_execz .LBB69_14
; %bb.13:
	s_lshl_b64 s[10:11], s[16:17], 6
	v_mov_b32_e32 v13, s11
	v_add_co_u32_e32 v12, vcc, s10, v4
	v_addc_co_u32_e32 v13, vcc, v5, v13, vcc
	global_load_dword v12, v[12:13], off
.LBB69_14:
	s_or_b64 exec, exec, s[8:9]
	s_waitcnt vmcnt(0)
	ds_write_b32 v3, v12 offset:2112
	v_add_u32_e32 v12, 24, v15
	v_cmp_gt_i32_e32 vcc, s20, v12
	v_mov_b32_e32 v12, 0
	s_and_saveexec_b64 s[8:9], vcc
	s_cbranch_execz .LBB69_16
; %bb.15:
	v_mov_b32_e32 v12, 0x60
	v_mad_u64_u32 v[12:13], s[10:11], s16, v12, v[4:5]
	s_mul_i32 s10, s17, 0x60
	v_add_u32_e32 v13, s10, v13
	global_load_dword v12, v[12:13], off
.LBB69_16:
	s_or_b64 exec, exec, s[8:9]
	s_waitcnt vmcnt(0)
	ds_write_b32 v3, v12 offset:3168
	v_add_co_u32_e32 v3, vcc, v4, v16
	v_addc_co_u32_e32 v4, vcc, 0, v5, vcc
	v_mov_b32_e32 v5, s5
	v_subrev_co_u32_e32 v3, vcc, s4, v3
	v_subb_co_u32_e32 v4, vcc, v4, v5, vcc
	v_add_co_u32_e32 v3, vcc, 4, v3
	v_addc_co_u32_e32 v4, vcc, 0, v4, vcc
	v_cndmask_b32_e64 v4, v4, v11, s[2:3]
	v_cndmask_b32_e64 v3, v3, v10, s[2:3]
	s_branch .LBB69_19
.LBB69_17:
                                        ; implicit-def: $vgpr3_vgpr4
	s_cbranch_execz .LBB69_19
; %bb.18:
	s_lshl_b64 s[2:3], s[16:17], 5
	v_mov_b32_e32 v5, s3
	v_add_co_u32_e32 v3, vcc, s2, v10
	v_addc_co_u32_e32 v4, vcc, v11, v5, vcc
	v_add_co_u32_e32 v12, vcc, s2, v3
	v_addc_co_u32_e32 v13, vcc, v4, v5, vcc
	v_add_co_u32_e32 v20, vcc, s2, v12
	v_addc_co_u32_e32 v21, vcc, v13, v5, vcc
	global_load_dword v5, v[10:11], off
	global_load_dword v17, v[3:4], off
	;; [unrolled: 1-line block ×4, first 2 shown]
	v_mul_u32_u24_e32 v3, 0x84, v15
	v_lshl_add_u32 v3, v2, 2, v3
	s_waitcnt vmcnt(3)
	ds_write_b32 v3, v5
	s_waitcnt vmcnt(2)
	ds_write_b32 v3, v17 offset:1056
	s_waitcnt vmcnt(1)
	ds_write_b32 v3, v22 offset:2112
	;; [unrolled: 2-line block ×3, first 2 shown]
	v_mov_b32_e32 v3, v10
	v_mov_b32_e32 v4, v11
.LBB69_19:
	v_lshlrev_b32_e32 v17, 2, v2
	v_lshlrev_b32_e32 v5, 2, v15
	v_lshl_or_b32 v10, v2, 7, v17
	v_cmp_gt_u32_e64 s[4:5], v5, v2
	v_lshl_add_u32 v10, v5, 2, v10
	s_waitcnt lgkmcnt(0)
	s_barrier
	s_and_saveexec_b64 s[2:3], s[4:5]
	s_cbranch_execz .LBB69_21
; %bb.20:
	s_movk_i32 s8, 0x210
	v_mad_u32_u24 v11, v15, s8, v17
	ds_read_b32 v11, v11
	s_waitcnt lgkmcnt(0)
	ds_write_b32 v10, v11
.LBB69_21:
	s_or_b64 exec, exec, s[2:3]
	v_or_b32_e32 v23, 1, v5
	v_cmp_ge_u32_e64 s[14:15], v5, v2
	s_and_saveexec_b64 s[2:3], s[14:15]
	s_cbranch_execz .LBB69_23
; %bb.22:
	s_movk_i32 s8, 0x84
	v_mad_u32_u24 v11, v23, s8, v17
	ds_read_b32 v11, v11
	s_waitcnt lgkmcnt(0)
	ds_write_b32 v10, v11 offset:4
.LBB69_23:
	s_or_b64 exec, exec, s[2:3]
	v_or_b32_e32 v11, 2, v5
	v_cmp_gt_u32_e64 s[8:9], v11, v2
	s_and_saveexec_b64 s[2:3], s[8:9]
	s_cbranch_execz .LBB69_25
; %bb.24:
	s_movk_i32 s10, 0x84
	v_mad_u32_u24 v11, v11, s10, v17
	ds_read_b32 v11, v11
	s_waitcnt lgkmcnt(0)
	ds_write_b32 v10, v11 offset:8
.LBB69_25:
	s_or_b64 exec, exec, s[2:3]
	v_or_b32_e32 v12, 3, v5
	v_cmp_gt_u32_e64 s[10:11], v12, v2
	v_cmp_le_u32_e32 vcc, v12, v2
                                        ; implicit-def: $vgpr11
	s_and_saveexec_b64 s[2:3], vcc
	s_xor_b64 s[2:3], exec, s[2:3]
; %bb.26:
	v_mul_u32_u24_e32 v11, 0x84, v12
                                        ; implicit-def: $vgpr12
                                        ; implicit-def: $vgpr10
; %bb.27:
	s_andn2_saveexec_b64 s[2:3], s[2:3]
	s_cbranch_execz .LBB69_29
; %bb.28:
	s_movk_i32 s12, 0x84
	v_mad_u32_u24 v11, v12, s12, v17
	ds_read_b32 v13, v11
	v_mul_u32_u24_e32 v11, 0x84, v12
	s_waitcnt lgkmcnt(0)
	ds_write_b32 v10, v13 offset:12
.LBB69_29:
	s_or_b64 exec, exec, s[2:3]
	s_movk_i32 s2, 0x210
	v_mad_u32_u24 v10, v15, s2, v17
	v_lshlrev_b32_e32 v25, 2, v5
	s_movk_i32 s2, 0x84
	s_waitcnt lgkmcnt(0)
	s_barrier
	ds_read_b32 v10, v10
	ds_read_b128 v[26:29], v25 offset:4544
	v_mad_u32_u24 v12, v23, s2, v17
	ds_read2_b32 v[12:13], v12 offset1:33
	v_add_u32_e32 v22, v17, v11
	ds_read_b32 v11, v22
	s_waitcnt lgkmcnt(2)
	v_fma_f32 v10, v10, v26, 0
	v_mov_b32_e32 v30, 0
	s_waitcnt lgkmcnt(1)
	v_fmac_f32_e32 v10, v12, v27
	v_fmac_f32_e32 v10, v13, v28
	s_waitcnt lgkmcnt(0)
	v_fmac_f32_e32 v10, v11, v29
	v_mul_u32_u24_e32 v11, 33, v2
	v_lshlrev_b32_e32 v20, 2, v11
	v_lshl_add_u32 v21, v15, 2, v20
	v_cmp_gt_u32_e64 s[2:3], 32, v14
	s_barrier
	ds_write_b32 v21, v10
	s_waitcnt lgkmcnt(0)
	s_barrier
	s_and_saveexec_b64 s[12:13], s[2:3]
	s_cbranch_execz .LBB69_31
; %bb.30:
	ds_read2_b32 v[10:11], v20 offset1:1
	s_waitcnt lgkmcnt(0)
	v_add_f32_e32 v12, v10, v11
	ds_read2_b32 v[10:11], v20 offset0:2 offset1:3
	s_waitcnt lgkmcnt(0)
	v_add_f32_e32 v10, v12, v10
	v_add_f32_e32 v12, v10, v11
	ds_read2_b32 v[10:11], v20 offset0:4 offset1:5
	s_waitcnt lgkmcnt(0)
	v_add_f32_e32 v10, v12, v10
	;; [unrolled: 4-line block ×3, first 2 shown]
	v_add_f32_e32 v30, v10, v11
.LBB69_31:
	s_or_b64 exec, exec, s[12:13]
	s_lshl_b64 s[12:13], s[16:17], 7
	v_mov_b32_e32 v10, s13
	v_add_co_u32_e32 v12, vcc, s12, v3
	v_addc_co_u32_e32 v13, vcc, v4, v10, vcc
	v_add_co_u32_e32 v10, vcc, 0x80, v12
	v_addc_co_u32_e32 v11, vcc, 0, v13, vcc
	s_lshl_b64 s[30:31], s[16:17], 5
	s_and_b64 vcc, exec, s[26:27]
	s_barrier
	s_cbranch_vccz .LBB69_41
; %bb.32:
	v_sub_co_u32_e32 v4, vcc, v12, v16
	s_ashr_i32 s21, s20, 31
	v_subbrev_co_u32_e32 v26, vcc, 0, v13, vcc
	s_lshl_b64 s[34:35], s[20:21], 2
	v_mov_b32_e32 v27, s35
	v_add_co_u32_e32 v4, vcc, s34, v4
	v_addc_co_u32_e32 v26, vcc, v26, v27, vcc
	v_or_b32_e32 v3, 32, v2
	v_add_co_u32_e32 v27, vcc, -4, v4
	v_addc_co_u32_e32 v4, vcc, -1, v26, vcc
	v_cmp_gt_i32_e64 s[12:13], s20, v3
	s_sub_i32 s21, s20, 32
	v_mov_b32_e32 v24, 0
	v_cndmask_b32_e64 v4, v4, v11, s[12:13]
	v_cndmask_b32_e64 v3, v27, v10, s[12:13]
	v_cmp_gt_i32_e32 vcc, s21, v15
	v_mov_b32_e32 v27, 0
	s_and_saveexec_b64 s[36:37], vcc
	s_cbranch_execz .LBB69_34
; %bb.33:
	global_load_dword v27, v[3:4], off
.LBB69_34:
	s_or_b64 exec, exec, s[36:37]
	s_movk_i32 s36, 0x84
	v_mad_u32_u24 v28, v15, s36, v17
	s_waitcnt vmcnt(0)
	ds_write_b32 v28, v27
	v_add_u32_e32 v27, 8, v15
	v_mul_u32_u24_e32 v26, 0x84, v15
	v_cmp_gt_i32_e32 vcc, s21, v27
	s_and_saveexec_b64 s[36:37], vcc
	s_cbranch_execz .LBB69_36
; %bb.35:
	v_mov_b32_e32 v24, s31
	v_add_co_u32_e32 v27, vcc, s30, v3
	v_addc_co_u32_e32 v28, vcc, v4, v24, vcc
	global_load_dword v24, v[27:28], off
.LBB69_36:
	s_or_b64 exec, exec, s[36:37]
	v_add_u32_e32 v26, v26, v17
	s_waitcnt vmcnt(0)
	ds_write_b32 v26, v24 offset:1056
	v_add_u32_e32 v24, 16, v15
	v_cmp_gt_i32_e32 vcc, s21, v24
	v_mov_b32_e32 v24, 0
	v_mov_b32_e32 v27, 0
	s_and_saveexec_b64 s[36:37], vcc
	s_cbranch_execz .LBB69_38
; %bb.37:
	s_lshl_b64 s[42:43], s[16:17], 6
	v_mov_b32_e32 v28, s43
	v_add_co_u32_e32 v27, vcc, s42, v3
	v_addc_co_u32_e32 v28, vcc, v4, v28, vcc
	global_load_dword v27, v[27:28], off
.LBB69_38:
	s_or_b64 exec, exec, s[36:37]
	s_waitcnt vmcnt(0)
	ds_write_b32 v26, v27 offset:2112
	v_add_u32_e32 v27, 24, v15
	v_cmp_gt_i32_e32 vcc, s21, v27
	s_and_saveexec_b64 s[36:37], vcc
	s_cbranch_execz .LBB69_40
; %bb.39:
	v_mov_b32_e32 v24, 0x60
	v_mad_u64_u32 v[27:28], s[42:43], s16, v24, v[3:4]
	s_mul_i32 s21, s17, 0x60
	v_add_u32_e32 v28, s21, v28
	global_load_dword v24, v[27:28], off
.LBB69_40:
	s_or_b64 exec, exec, s[36:37]
	v_add_co_u32_e32 v3, vcc, v3, v16
	v_addc_co_u32_e32 v4, vcc, 0, v4, vcc
	s_waitcnt vmcnt(0)
	ds_write_b32 v26, v24 offset:3168
	v_mov_b32_e32 v24, s35
	v_subrev_co_u32_e32 v3, vcc, s34, v3
	v_subb_co_u32_e32 v4, vcc, v4, v24, vcc
	v_add_co_u32_e32 v3, vcc, 0x84, v3
	v_addc_co_u32_e32 v4, vcc, 0, v4, vcc
	v_cndmask_b32_e64 v4, v4, v11, s[12:13]
	v_cndmask_b32_e64 v3, v3, v10, s[12:13]
	v_mul_u32_u24_e32 v24, 0x210, v15
	s_branch .LBB69_43
.LBB69_41:
                                        ; implicit-def: $vgpr3_vgpr4
	v_mul_u32_u24_e32 v24, 0x210, v15
	s_cbranch_execz .LBB69_43
; %bb.42:
	global_load_dword v3, v[12:13], off offset:128
	s_movk_i32 s12, 0x84
	v_mad_u32_u24 v26, v15, s12, v17
	s_waitcnt vmcnt(0)
	ds_write_b32 v26, v3
	v_add_co_u32_e32 v3, vcc, s30, v12
	v_mov_b32_e32 v12, s31
	v_addc_co_u32_e32 v4, vcc, v13, v12, vcc
	global_load_dword v13, v[3:4], off offset:128
	v_add_co_u32_e32 v3, vcc, s30, v3
	v_addc_co_u32_e32 v4, vcc, v4, v12, vcc
	s_waitcnt vmcnt(0)
	ds_write_b32 v26, v13 offset:1056
	global_load_dword v13, v[3:4], off offset:128
	v_add_co_u32_e32 v3, vcc, s30, v3
	v_addc_co_u32_e32 v4, vcc, v4, v12, vcc
	global_load_dword v3, v[3:4], off offset:128
	s_waitcnt vmcnt(1)
	ds_write_b32 v26, v13 offset:2112
	s_waitcnt vmcnt(0)
	ds_write_b32 v26, v3 offset:3168
	v_mov_b32_e32 v3, v10
	v_mov_b32_e32 v4, v11
.LBB69_43:
	v_mul_u32_u24_e32 v11, 0x84, v23
	v_add_u32_e32 v23, v17, v24
	v_lshl_add_u32 v10, v5, 2, v20
	s_waitcnt lgkmcnt(0)
	s_barrier
	s_and_saveexec_b64 s[12:13], s[4:5]
	s_cbranch_execnz .LBB69_60
; %bb.44:
	s_or_b64 exec, exec, s[12:13]
	v_add_u32_e32 v24, v17, v11
	s_and_saveexec_b64 s[4:5], s[14:15]
	s_cbranch_execnz .LBB69_61
.LBB69_45:
	s_or_b64 exec, exec, s[4:5]
	s_and_saveexec_b64 s[4:5], s[8:9]
	s_cbranch_execnz .LBB69_62
.LBB69_46:
	s_or_b64 exec, exec, s[4:5]
	v_add_u32_e32 v25, 0x11c0, v25
	s_and_saveexec_b64 s[4:5], s[10:11]
	s_cbranch_execz .LBB69_48
.LBB69_47:
	ds_read_b32 v11, v22
	s_waitcnt lgkmcnt(0)
	ds_write_b32 v10, v11 offset:12
.LBB69_48:
	s_or_b64 exec, exec, s[4:5]
	s_waitcnt lgkmcnt(0)
	s_barrier
	ds_read_b32 v28, v23
	ds_read_b128 v[10:13], v25 offset:128
	ds_read2_b32 v[26:27], v24 offset1:33
	ds_read_b32 v29, v22
	v_cmp_eq_u32_e64 s[4:5], 1, v15
	s_waitcnt lgkmcnt(0)
	v_fma_f32 v10, v28, v10, 0
	v_fmac_f32_e32 v10, v26, v11
	v_fmac_f32_e32 v10, v27, v12
	;; [unrolled: 1-line block ×3, first 2 shown]
	s_barrier
	ds_write_b32 v21, v10
	s_waitcnt lgkmcnt(0)
	s_barrier
	s_and_saveexec_b64 s[8:9], s[4:5]
	s_cbranch_execz .LBB69_50
; %bb.49:
	ds_read2_b32 v[10:11], v20 offset1:1
	ds_read2_b32 v[12:13], v20 offset0:2 offset1:3
	ds_read2_b32 v[26:27], v20 offset0:4 offset1:5
	ds_read2_b32 v[28:29], v20 offset0:6 offset1:7
	s_waitcnt lgkmcnt(3)
	v_add_f32_e32 v10, v10, v11
	s_waitcnt lgkmcnt(2)
	v_add_f32_e32 v10, v10, v12
	v_add_f32_e32 v10, v10, v13
	s_waitcnt lgkmcnt(1)
	v_add_f32_e32 v10, v10, v26
	;; [unrolled: 3-line block ×3, first 2 shown]
	v_add_f32_e32 v30, v10, v29
.LBB69_50:
	s_or_b64 exec, exec, s[8:9]
	v_add_co_u32_e32 v12, vcc, 0xffffff80, v3
	v_addc_co_u32_e32 v13, vcc, -1, v4, vcc
	s_and_b64 vcc, exec, s[26:27]
	s_barrier
	s_cbranch_vccz .LBB69_63
; %bb.51:
	v_sub_co_u32_e32 v10, vcc, v3, v16
	s_ashr_i32 s21, s20, 31
	v_subbrev_co_u32_e32 v11, vcc, 0, v4, vcc
	s_lshl_b64 s[10:11], s[20:21], 2
	v_mov_b32_e32 v27, s11
	v_add_co_u32_e32 v10, vcc, s10, v10
	v_addc_co_u32_e32 v11, vcc, v11, v27, vcc
	v_add_co_u32_e32 v10, vcc, 0xffffff7c, v10
	v_addc_co_u32_e32 v11, vcc, -1, v11, vcc
	v_cmp_gt_i32_e32 vcc, s20, v2
	s_sub_i32 s14, s20, 32
	v_mov_b32_e32 v26, 0
	v_cndmask_b32_e32 v11, v11, v13, vcc
	v_cndmask_b32_e32 v10, v10, v12, vcc
	v_cmp_gt_i32_e64 s[8:9], s14, v15
	v_mov_b32_e32 v2, 0
	s_and_saveexec_b64 s[12:13], s[8:9]
	s_cbranch_execz .LBB69_53
; %bb.52:
	global_load_dword v2, v[10:11], off
.LBB69_53:
	s_or_b64 exec, exec, s[12:13]
	s_movk_i32 s8, 0x84
	v_mad_u32_u24 v28, v15, s8, v17
	s_waitcnt vmcnt(0)
	ds_write_b32 v28, v2
	v_add_u32_e32 v2, 8, v15
	v_mul_u32_u24_e32 v27, 0x84, v15
	v_cmp_gt_i32_e64 s[8:9], s14, v2
	s_and_saveexec_b64 s[12:13], s[8:9]
	s_cbranch_execz .LBB69_55
; %bb.54:
	v_mov_b32_e32 v26, s31
	v_add_co_u32_e64 v28, s[8:9], s30, v10
	v_addc_co_u32_e64 v29, s[8:9], v11, v26, s[8:9]
	global_load_dword v26, v[28:29], off
.LBB69_55:
	s_or_b64 exec, exec, s[12:13]
	v_add_u32_e32 v28, v27, v17
	s_waitcnt vmcnt(0)
	ds_write_b32 v28, v26 offset:1056
	v_add_u32_e32 v26, 16, v15
	v_cmp_gt_i32_e64 s[8:9], s14, v26
	v_mov_b32_e32 v29, 0
	v_mov_b32_e32 v27, 0
	s_and_saveexec_b64 s[12:13], s[8:9]
	s_cbranch_execz .LBB69_57
; %bb.56:
	s_lshl_b64 s[8:9], s[16:17], 6
	v_mov_b32_e32 v27, s9
	v_add_co_u32_e64 v31, s[8:9], s8, v10
	v_addc_co_u32_e64 v32, s[8:9], v11, v27, s[8:9]
	global_load_dword v27, v[31:32], off
.LBB69_57:
	s_or_b64 exec, exec, s[12:13]
	s_waitcnt vmcnt(0)
	ds_write_b32 v28, v27 offset:2112
	v_add_u32_e32 v27, 24, v15
	v_cmp_gt_i32_e64 s[8:9], s14, v27
	s_and_saveexec_b64 s[12:13], s[8:9]
	s_cbranch_execz .LBB69_59
; %bb.58:
	v_mov_b32_e32 v29, 0x60
	v_mad_u64_u32 v[31:32], s[8:9], s16, v29, v[10:11]
	s_mul_i32 s8, s17, 0x60
	v_add_u32_e32 v32, s8, v32
	global_load_dword v29, v[31:32], off
.LBB69_59:
	s_or_b64 exec, exec, s[12:13]
	v_add_co_u32_e64 v10, s[8:9], v10, v16
	v_addc_co_u32_e64 v11, s[8:9], 0, v11, s[8:9]
	v_mov_b32_e32 v16, s11
	v_subrev_co_u32_e64 v10, s[8:9], s10, v10
	v_subb_co_u32_e64 v11, s[8:9], v11, v16, s[8:9]
	v_add_co_u32_e64 v10, s[8:9], 4, v10
	v_addc_co_u32_e64 v11, s[8:9], 0, v11, s[8:9]
	s_waitcnt vmcnt(0)
	ds_write_b32 v28, v29 offset:3168
	v_cndmask_b32_e32 v11, v11, v13, vcc
	v_cndmask_b32_e32 v10, v10, v12, vcc
	s_branch .LBB69_65
.LBB69_60:
	ds_read_b32 v12, v23
	s_waitcnt lgkmcnt(0)
	ds_write_b32 v10, v12
	s_or_b64 exec, exec, s[12:13]
	v_add_u32_e32 v24, v17, v11
	s_and_saveexec_b64 s[4:5], s[14:15]
	s_cbranch_execz .LBB69_45
.LBB69_61:
	ds_read_b32 v11, v24
	s_waitcnt lgkmcnt(0)
	ds_write_b32 v10, v11 offset:4
	s_or_b64 exec, exec, s[4:5]
	s_and_saveexec_b64 s[4:5], s[8:9]
	s_cbranch_execz .LBB69_46
.LBB69_62:
	ds_read_b32 v11, v24 offset:132
	s_waitcnt lgkmcnt(0)
	ds_write_b32 v10, v11 offset:8
	s_or_b64 exec, exec, s[4:5]
	v_add_u32_e32 v25, 0x11c0, v25
	s_and_saveexec_b64 s[4:5], s[10:11]
	s_cbranch_execnz .LBB69_47
	s_branch .LBB69_48
.LBB69_63:
                                        ; implicit-def: $vgpr10_vgpr11
                                        ; implicit-def: $vgpr2
                                        ; implicit-def: $vgpr26
                                        ; implicit-def: $vgpr27
	s_cbranch_execz .LBB69_65
; %bb.64:
	v_mov_b32_e32 v2, s31
	v_add_co_u32_e32 v10, vcc, s30, v3
	v_addc_co_u32_e32 v11, vcc, v4, v2, vcc
	v_add_co_u32_e32 v26, vcc, s30, v10
	v_addc_co_u32_e32 v27, vcc, v11, v2, vcc
	;; [unrolled: 2-line block ×3, first 2 shown]
	global_load_dword v16, v[3:4], off offset:-128
	global_load_dword v31, v[10:11], off offset:-128
	;; [unrolled: 1-line block ×4, first 2 shown]
	s_movk_i32 s8, 0x84
	v_mov_b32_e32 v10, v12
	v_add_u32_e32 v2, 8, v15
	v_add_u32_e32 v26, 16, v15
	;; [unrolled: 1-line block ×3, first 2 shown]
	v_mad_u32_u24 v3, v15, s8, v17
	v_mov_b32_e32 v11, v13
	s_waitcnt vmcnt(3)
	ds_write_b32 v3, v16
	s_waitcnt vmcnt(2)
	ds_write_b32 v3, v31 offset:1056
	s_waitcnt vmcnt(1)
	ds_write_b32 v3, v32 offset:2112
	;; [unrolled: 2-line block ×3, first 2 shown]
.LBB69_65:
	v_add_u32_e32 v3, v20, v5
	s_waitcnt lgkmcnt(0)
	s_barrier
	ds_read_b32 v17, v3
	ds_read_b32 v28, v5 offset:4544
	v_lshlrev_b32_e32 v2, 2, v2
	v_lshlrev_b32_e32 v4, 2, v26
	;; [unrolled: 1-line block ×3, first 2 shown]
	v_add_u32_e32 v3, v20, v2
	v_add_u32_e32 v5, v20, v4
	;; [unrolled: 1-line block ×3, first 2 shown]
	ds_read_b32 v26, v3
	ds_read_b32 v27, v5
	;; [unrolled: 1-line block ×4, first 2 shown]
	ds_read_b32 v23, v12 offset:4544
	ds_read_b32 v31, v4 offset:4544
	;; [unrolled: 1-line block ×3, first 2 shown]
	ds_read2_b32 v[12:13], v24 offset1:33
	ds_read_b128 v[2:5], v25 offset:128
	ds_read_b32 v16, v22
	s_waitcnt lgkmcnt(10)
	v_fma_f32 v17, v17, v28, 0
	s_waitcnt lgkmcnt(3)
	v_fmac_f32_e32 v17, v26, v32
	v_fmac_f32_e32 v17, v27, v31
	;; [unrolled: 1-line block ×3, first 2 shown]
	s_waitcnt lgkmcnt(0)
	s_barrier
	ds_write_b32 v21, v17
	s_waitcnt lgkmcnt(0)
	s_barrier
	s_and_saveexec_b64 s[8:9], s[4:5]
	s_cbranch_execz .LBB69_67
; %bb.66:
	ds_read2_b32 v[22:23], v20 offset1:1
	ds_read2_b32 v[24:25], v20 offset0:2 offset1:3
	ds_read2_b32 v[26:27], v20 offset0:4 offset1:5
	;; [unrolled: 1-line block ×3, first 2 shown]
	s_waitcnt lgkmcnt(3)
	v_add_f32_e32 v17, v30, v22
	v_add_f32_e32 v17, v17, v23
	s_waitcnt lgkmcnt(2)
	v_add_f32_e32 v17, v17, v24
	v_add_f32_e32 v17, v17, v25
	;; [unrolled: 3-line block ×4, first 2 shown]
.LBB69_67:
	s_or_b64 exec, exec, s[8:9]
	v_fma_f32 v2, v15, v2, 0
	v_fmac_f32_e32 v2, v12, v3
	v_fmac_f32_e32 v2, v13, v4
	;; [unrolled: 1-line block ×3, first 2 shown]
	s_barrier
	ds_write_b32 v21, v2
	s_waitcnt lgkmcnt(0)
	s_barrier
	s_and_saveexec_b64 s[4:5], s[2:3]
	s_cbranch_execz .LBB69_69
; %bb.68:
	ds_read2_b32 v[2:3], v20 offset1:1
	ds_read2_b32 v[4:5], v20 offset0:2 offset1:3
	ds_read2_b32 v[12:13], v20 offset0:4 offset1:5
	;; [unrolled: 1-line block ×3, first 2 shown]
	s_waitcnt lgkmcnt(3)
	v_add_f32_e32 v2, v30, v2
	v_add_f32_e32 v2, v2, v3
	s_waitcnt lgkmcnt(2)
	v_add_f32_e32 v2, v2, v4
	v_add_f32_e32 v2, v2, v5
	;; [unrolled: 3-line block ×4, first 2 shown]
.LBB69_69:
	s_or_b64 exec, exec, s[4:5]
	s_mul_hi_u32 s2, s39, s7
	s_mul_i32 s40, s40, s7
	s_add_i32 s2, s2, s40
	s_mul_i32 s4, s39, s7
	s_mul_i32 s2, s2, s33
	s_mul_hi_u32 s3, s4, s33
	s_add_i32 s3, s3, s2
	s_mul_i32 s2, s4, s33
	s_lshl_b64 s[2:3], s[2:3], 2
	s_add_u32 s4, s28, s2
	s_addc_u32 s5, s29, s3
	s_mul_hi_i32 s3, s39, s6
	s_mul_i32 s2, s39, s6
	s_lshl_b64 s[2:3], s[2:3], 2
	s_add_u32 s7, s4, s2
	s_addc_u32 s14, s5, s3
	s_add_i32 s2, s6, 1
	s_cmp_ge_u32 s2, s33
	v_lshlrev_b32_e32 v31, 2, v0
	s_barrier
	s_cbranch_scc1 .LBB69_126
; %bb.70:
	v_lshlrev_b32_e32 v15, 4, v1
	v_add_u32_e32 v4, 0x80, v15
	v_mad_u64_u32 v[2:3], s[2:3], s16, v4, 0
	v_add_u32_e32 v12, 0x88, v15
	s_movk_i32 s4, 0x430
	v_mad_u64_u32 v[3:4], s[2:3], s17, v4, v[3:4]
	v_mad_u64_u32 v[4:5], s[2:3], s16, v12, 0
	v_sub_co_u32_e32 v16, vcc, v2, v8
	v_mov_b32_e32 v2, v5
	v_subb_co_u32_e32 v17, vcc, v3, v9, vcc
	v_mad_u64_u32 v[2:3], s[2:3], s17, v12, v[2:3]
	v_add_u32_e32 v3, 0x8c, v15
	v_mad_u64_u32 v[12:13], s[2:3], s16, v3, 0
	v_sub_co_u32_e32 v20, vcc, v4, v8
	v_subb_co_u32_e32 v21, vcc, v2, v9, vcc
	v_mov_b32_e32 v2, v13
	v_mad_u64_u32 v[2:3], s[2:3], s17, v3, v[2:3]
	v_add_u32_e32 v5, 0x84, v15
	v_mad_u64_u32 v[3:4], s[2:3], s16, v5, 0
	v_sub_co_u32_e32 v22, vcc, v12, v8
	v_subb_co_u32_e32 v23, vcc, v2, v9, vcc
	v_mov_b32_e32 v2, v4
	v_mad_u64_u32 v[4:5], s[2:3], s17, v5, v[2:3]
	v_add_u32_e32 v5, 0xc0, v15
	v_mad_u64_u32 v[12:13], s[2:3], s16, v5, 0
	v_sub_co_u32_e32 v24, vcc, v3, v8
	v_mov_b32_e32 v2, v13
	v_mad_u64_u32 v[2:3], s[2:3], s17, v5, v[2:3]
	v_add_u32_e32 v5, 0xc4, v15
	v_subb_co_u32_e32 v25, vcc, v4, v9, vcc
	v_mad_u64_u32 v[3:4], s[2:3], s16, v5, 0
	v_sub_co_u32_e32 v26, vcc, v12, v8
	v_subb_co_u32_e32 v27, vcc, v2, v9, vcc
	v_mov_b32_e32 v2, v4
	v_mad_u64_u32 v[4:5], s[2:3], s17, v5, v[2:3]
	v_add_u32_e32 v5, 0xc8, v15
	v_mad_u64_u32 v[12:13], s[2:3], s16, v5, 0
	v_sub_co_u32_e32 v28, vcc, v3, v8
	v_mov_b32_e32 v2, v13
	v_mad_u64_u32 v[2:3], s[2:3], s17, v5, v[2:3]
	v_add_u32_e32 v5, 0xcc, v15
	v_subb_co_u32_e32 v29, vcc, v4, v9, vcc
	;; [unrolled: 12-line block ×6, first 2 shown]
	v_mad_u64_u32 v[3:4], s[2:3], s16, v5, 0
	v_sub_co_u32_e32 v12, vcc, v12, v8
	v_subb_co_u32_e32 v13, vcc, v2, v9, vcc
	v_mov_b32_e32 v2, v4
	v_mad_u64_u32 v[4:5], s[2:3], s17, v5, v[2:3]
	s_mul_i32 s2, s24, s23
	s_mul_hi_u32 s3, s24, s22
	s_add_i32 s2, s3, s2
	s_mul_i32 s3, s25, s22
	v_sub_co_u32_e32 v2, vcc, v3, v8
	s_add_i32 s3, s2, s3
	s_mul_i32 s2, s24, s22
	v_subb_co_u32_e32 v3, vcc, v4, v9, vcc
	s_lshl_b64 s[2:3], s[2:3], 2
	v_mov_b32_e32 v4, s3
	v_subrev_co_u32_e32 v32, vcc, s2, v6
	v_subb_co_u32_e32 v33, vcc, v7, v4, vcc
	v_add_co_u32_e32 v34, vcc, v10, v16
	v_addc_co_u32_e32 v35, vcc, v11, v17, vcc
	v_add_co_u32_e32 v36, vcc, v10, v20
	v_addc_co_u32_e32 v37, vcc, v11, v21, vcc
	;; [unrolled: 2-line block ×15, first 2 shown]
	v_add_co_u32_e32 v64, vcc, v10, v2
	v_lshrrev_b32_e32 v2, 2, v14
	v_addc_co_u32_e32 v65, vcc, v11, v3, vcc
	s_movk_i32 s2, 0x10c
	v_and_b32_e32 v2, 0x1ffc, v2
	v_and_b32_e32 v3, 15, v0
	v_mad_u32_u24 v66, v3, s2, v2
	v_and_b32_e32 v2, 48, v0
	v_lshlrev_b32_e32 v2, 2, v2
	v_mad_u32_u24 v67, v3, s2, v2
	v_or_b32_e32 v2, 60, v31
	v_mad_u32_u24 v68, v3, s2, v2
	v_mul_u32_u24_e32 v2, 0x10c, v3
	v_and_b32_e32 v3, 0x7ff0, v14
	v_lshlrev_b32_e32 v71, 2, v1
	v_cmp_gt_u32_e64 s[2:3], 64, v14
	v_add_u32_e32 v69, v2, v3
	s_add_i32 s15, s33, -2
	v_add_u32_e32 v70, 0x10c0, v15
	s_add_i32 s21, s22, 64
	s_lshl_b64 s[8:9], s[16:17], 8
	v_add_u32_e32 v72, 0x10c0, v31
	v_add_u32_e32 v73, 0x11c0, v31
	v_mad_u32_u24 v74, v1, s4, v31
	v_or_b32_e32 v75, 1, v71
	v_or_b32_e32 v76, 2, v71
	;; [unrolled: 1-line block ×3, first 2 shown]
	v_add_u32_e32 v78, 16, v71
	v_add_u32_e32 v79, 17, v71
	;; [unrolled: 1-line block ×12, first 2 shown]
	s_cmp_eq_u32 s15, s6
	s_cselect_b32 s16, s38, 0
	s_and_saveexec_b64 s[4:5], s[0:1]
	s_cbranch_execz .LBB69_74
.LBB69_71:
	s_cmp_eq_u32 s16, 0
	s_cselect_b64 s[10:11], -1, 0
	v_cmp_gt_i32_e32 vcc, s16, v0
	s_or_b64 s[12:13], s[10:11], vcc
	v_mov_b32_e32 v2, 0
	s_and_saveexec_b64 s[10:11], s[12:13]
	s_cbranch_execz .LBB69_73
; %bb.72:
	s_ashr_i32 s12, s21, 31
	s_mul_hi_u32 s13, s24, s21
	s_mul_i32 s12, s24, s12
	s_add_i32 s12, s13, s12
	s_mul_i32 s13, s25, s21
	s_add_i32 s13, s12, s13
	s_mul_i32 s12, s24, s21
	s_lshl_b64 s[12:13], s[12:13], 2
	v_mov_b32_e32 v3, s13
	v_add_co_u32_e32 v2, vcc, s12, v32
	v_addc_co_u32_e32 v3, vcc, v33, v3, vcc
	global_load_dword v2, v[2:3], off
.LBB69_73:
	s_or_b64 exec, exec, s[10:11]
	s_waitcnt vmcnt(0)
	ds_write_b32 v72, v2
.LBB69_74:                              ; =>This Inner Loop Header: Depth=1
	s_or_b64 exec, exec, s[4:5]
	s_cmp_eq_u32 s16, 0
	v_add_co_u32_e32 v2, vcc, v34, v31
	s_cselect_b64 s[10:11], -1, 0
	s_cmp_lg_u32 s16, 0
	v_addc_co_u32_e32 v3, vcc, 0, v35, vcc
	s_cselect_b64 s[12:13], -1, 0
	s_mov_b64 s[4:5], -1
	s_and_b64 vcc, exec, s[12:13]
	s_waitcnt lgkmcnt(0)
	s_barrier
                                        ; implicit-def: $vgpr93
                                        ; implicit-def: $vgpr92
                                        ; implicit-def: $vgpr91
                                        ; implicit-def: $vgpr90
	s_cbranch_vccz .LBB69_84
; %bb.75:                               ;   in Loop: Header=BB69_74 Depth=1
	v_cmp_gt_i32_e32 vcc, s16, v71
	v_mov_b32_e32 v91, 0
	v_mov_b32_e32 v90, 0
	s_and_saveexec_b64 s[4:5], vcc
	s_cbranch_execz .LBB69_77
; %bb.76:                               ;   in Loop: Header=BB69_74 Depth=1
	global_load_dword v90, v[2:3], off
.LBB69_77:                              ;   in Loop: Header=BB69_74 Depth=1
	s_or_b64 exec, exec, s[4:5]
	v_cmp_gt_i32_e32 vcc, s16, v75
	s_and_saveexec_b64 s[4:5], vcc
	s_cbranch_execz .LBB69_79
; %bb.78:                               ;   in Loop: Header=BB69_74 Depth=1
	v_add_co_u32_e32 v4, vcc, v40, v31
	v_addc_co_u32_e32 v5, vcc, 0, v41, vcc
	global_load_dword v91, v[4:5], off
.LBB69_79:                              ;   in Loop: Header=BB69_74 Depth=1
	s_or_b64 exec, exec, s[4:5]
	v_cmp_gt_i32_e32 vcc, s16, v76
	v_mov_b32_e32 v93, 0
	v_mov_b32_e32 v92, 0
	s_and_saveexec_b64 s[4:5], vcc
	s_cbranch_execz .LBB69_81
; %bb.80:                               ;   in Loop: Header=BB69_74 Depth=1
	v_add_co_u32_e32 v4, vcc, v36, v31
	v_addc_co_u32_e32 v5, vcc, 0, v37, vcc
	global_load_dword v92, v[4:5], off
.LBB69_81:                              ;   in Loop: Header=BB69_74 Depth=1
	s_or_b64 exec, exec, s[4:5]
	v_cmp_gt_i32_e32 vcc, s16, v77
	s_and_saveexec_b64 s[4:5], vcc
	s_cbranch_execz .LBB69_83
; %bb.82:                               ;   in Loop: Header=BB69_74 Depth=1
	v_add_co_u32_e32 v4, vcc, v38, v31
	v_addc_co_u32_e32 v5, vcc, 0, v39, vcc
	global_load_dword v93, v[4:5], off
.LBB69_83:                              ;   in Loop: Header=BB69_74 Depth=1
	s_or_b64 exec, exec, s[4:5]
	s_mov_b64 s[4:5], 0
.LBB69_84:                              ;   in Loop: Header=BB69_74 Depth=1
	s_and_b64 vcc, exec, s[4:5]
	s_cbranch_vccz .LBB69_86
; %bb.85:                               ;   in Loop: Header=BB69_74 Depth=1
	global_load_dword v90, v[2:3], off
	v_add_co_u32_e32 v2, vcc, v40, v31
	v_addc_co_u32_e32 v3, vcc, 0, v41, vcc
	global_load_dword v91, v[2:3], off
	v_add_co_u32_e32 v2, vcc, v36, v31
	v_addc_co_u32_e32 v3, vcc, 0, v37, vcc
	;; [unrolled: 3-line block ×3, first 2 shown]
	global_load_dword v93, v[2:3], off
.LBB69_86:                              ;   in Loop: Header=BB69_74 Depth=1
	ds_read_b32 v6, v73
	ds_read_b128 v[2:5], v70
                                        ; implicit-def: $vgpr97
                                        ; implicit-def: $vgpr96
                                        ; implicit-def: $vgpr95
                                        ; implicit-def: $vgpr94
	s_waitcnt vmcnt(0) lgkmcnt(1)
	v_mul_f32_e32 v7, v90, v6
	v_mul_f32_e32 v8, v91, v6
	v_mul_f32_e32 v9, v92, v6
	v_mul_f32_e32 v6, v93, v6
	ds_write2_b32 v74, v7, v8 offset1:67
	ds_write2_b32 v74, v9, v6 offset0:134 offset1:201
	s_waitcnt lgkmcnt(0)
	s_barrier
	ds_read2_b32 v[22:23], v69 offset1:1
	ds_read2_b32 v[20:21], v69 offset0:2 offset1:3
	v_add_co_u32_e32 v6, vcc, v42, v31
	v_addc_co_u32_e32 v7, vcc, 0, v43, vcc
	v_cndmask_b32_e64 v8, 0, 1, s[12:13]
	v_cmp_ne_u32_e64 s[4:5], 1, v8
	s_andn2_b64 vcc, exec, s[12:13]
	s_mov_b64 s[12:13], -1
	s_waitcnt lgkmcnt(0)
	s_barrier
	s_cbranch_vccnz .LBB69_96
; %bb.87:                               ;   in Loop: Header=BB69_74 Depth=1
	v_cmp_gt_i32_e32 vcc, s16, v78
	v_mov_b32_e32 v95, 0
	v_mov_b32_e32 v94, 0
	s_and_saveexec_b64 s[12:13], vcc
	s_cbranch_execz .LBB69_89
; %bb.88:                               ;   in Loop: Header=BB69_74 Depth=1
	global_load_dword v94, v[6:7], off
.LBB69_89:                              ;   in Loop: Header=BB69_74 Depth=1
	s_or_b64 exec, exec, s[12:13]
	v_cmp_gt_i32_e32 vcc, s16, v79
	s_and_saveexec_b64 s[12:13], vcc
	s_cbranch_execz .LBB69_91
; %bb.90:                               ;   in Loop: Header=BB69_74 Depth=1
	v_add_co_u32_e32 v8, vcc, v44, v31
	v_addc_co_u32_e32 v9, vcc, 0, v45, vcc
	global_load_dword v95, v[8:9], off
.LBB69_91:                              ;   in Loop: Header=BB69_74 Depth=1
	s_or_b64 exec, exec, s[12:13]
	v_cmp_gt_i32_e32 vcc, s16, v80
	v_mov_b32_e32 v97, 0
	v_mov_b32_e32 v96, 0
	s_and_saveexec_b64 s[12:13], vcc
	s_cbranch_execz .LBB69_93
; %bb.92:                               ;   in Loop: Header=BB69_74 Depth=1
	v_add_co_u32_e32 v8, vcc, v46, v31
	v_addc_co_u32_e32 v9, vcc, 0, v47, vcc
	global_load_dword v96, v[8:9], off
.LBB69_93:                              ;   in Loop: Header=BB69_74 Depth=1
	s_or_b64 exec, exec, s[12:13]
	v_cmp_gt_i32_e32 vcc, s16, v81
	s_and_saveexec_b64 s[12:13], vcc
	s_cbranch_execz .LBB69_95
; %bb.94:                               ;   in Loop: Header=BB69_74 Depth=1
	v_add_co_u32_e32 v8, vcc, v48, v31
	v_addc_co_u32_e32 v9, vcc, 0, v49, vcc
	global_load_dword v97, v[8:9], off
.LBB69_95:                              ;   in Loop: Header=BB69_74 Depth=1
	s_or_b64 exec, exec, s[12:13]
	s_mov_b64 s[12:13], 0
.LBB69_96:                              ;   in Loop: Header=BB69_74 Depth=1
	s_and_b64 vcc, exec, s[12:13]
	s_cbranch_vccz .LBB69_98
; %bb.97:                               ;   in Loop: Header=BB69_74 Depth=1
	global_load_dword v94, v[6:7], off
	v_add_co_u32_e32 v6, vcc, v44, v31
	v_addc_co_u32_e32 v7, vcc, 0, v45, vcc
	global_load_dword v95, v[6:7], off
	v_add_co_u32_e32 v6, vcc, v46, v31
	v_addc_co_u32_e32 v7, vcc, 0, v47, vcc
	;; [unrolled: 3-line block ×3, first 2 shown]
	global_load_dword v97, v[6:7], off
.LBB69_98:                              ;   in Loop: Header=BB69_74 Depth=1
	ds_read_b32 v10, v73
	ds_read_b128 v[6:9], v70 offset:64
	s_mov_b64 s[12:13], -1
                                        ; implicit-def: $vgpr101
                                        ; implicit-def: $vgpr100
                                        ; implicit-def: $vgpr99
                                        ; implicit-def: $vgpr98
	s_waitcnt vmcnt(0) lgkmcnt(1)
	v_mul_f32_e32 v11, v94, v10
	v_mul_f32_e32 v12, v95, v10
	;; [unrolled: 1-line block ×4, first 2 shown]
	ds_write2_b32 v74, v11, v12 offset1:67
	ds_write2_b32 v74, v13, v10 offset0:134 offset1:201
	s_waitcnt lgkmcnt(0)
	s_barrier
	ds_read2_b32 v[16:17], v69 offset1:1
	ds_read2_b32 v[14:15], v69 offset0:2 offset1:3
	v_add_co_u32_e32 v10, vcc, v50, v31
	v_addc_co_u32_e32 v11, vcc, 0, v51, vcc
	s_and_b64 vcc, exec, s[4:5]
	s_waitcnt lgkmcnt(0)
	s_barrier
	s_cbranch_vccnz .LBB69_108
; %bb.99:                               ;   in Loop: Header=BB69_74 Depth=1
	v_cmp_gt_i32_e32 vcc, s16, v82
	v_mov_b32_e32 v99, 0
	v_mov_b32_e32 v98, 0
	s_and_saveexec_b64 s[12:13], vcc
	s_cbranch_execz .LBB69_101
; %bb.100:                              ;   in Loop: Header=BB69_74 Depth=1
	global_load_dword v98, v[10:11], off
.LBB69_101:                             ;   in Loop: Header=BB69_74 Depth=1
	s_or_b64 exec, exec, s[12:13]
	v_cmp_gt_i32_e32 vcc, s16, v83
	s_and_saveexec_b64 s[12:13], vcc
	s_cbranch_execz .LBB69_103
; %bb.102:                              ;   in Loop: Header=BB69_74 Depth=1
	v_add_co_u32_e32 v12, vcc, v52, v31
	v_addc_co_u32_e32 v13, vcc, 0, v53, vcc
	global_load_dword v99, v[12:13], off
.LBB69_103:                             ;   in Loop: Header=BB69_74 Depth=1
	s_or_b64 exec, exec, s[12:13]
	v_cmp_gt_i32_e32 vcc, s16, v84
	v_mov_b32_e32 v101, 0
	v_mov_b32_e32 v100, 0
	s_and_saveexec_b64 s[12:13], vcc
	s_cbranch_execz .LBB69_105
; %bb.104:                              ;   in Loop: Header=BB69_74 Depth=1
	v_add_co_u32_e32 v12, vcc, v54, v31
	v_addc_co_u32_e32 v13, vcc, 0, v55, vcc
	global_load_dword v100, v[12:13], off
.LBB69_105:                             ;   in Loop: Header=BB69_74 Depth=1
	s_or_b64 exec, exec, s[12:13]
	v_cmp_gt_i32_e32 vcc, s16, v85
	s_and_saveexec_b64 s[12:13], vcc
	s_cbranch_execz .LBB69_107
; %bb.106:                              ;   in Loop: Header=BB69_74 Depth=1
	v_add_co_u32_e32 v12, vcc, v56, v31
	v_addc_co_u32_e32 v13, vcc, 0, v57, vcc
	global_load_dword v101, v[12:13], off
.LBB69_107:                             ;   in Loop: Header=BB69_74 Depth=1
	s_or_b64 exec, exec, s[12:13]
	s_mov_b64 s[12:13], 0
.LBB69_108:                             ;   in Loop: Header=BB69_74 Depth=1
	s_and_b64 vcc, exec, s[12:13]
	s_cbranch_vccz .LBB69_110
; %bb.109:                              ;   in Loop: Header=BB69_74 Depth=1
	global_load_dword v98, v[10:11], off
	v_add_co_u32_e32 v10, vcc, v52, v31
	v_addc_co_u32_e32 v11, vcc, 0, v53, vcc
	global_load_dword v99, v[10:11], off
	v_add_co_u32_e32 v10, vcc, v54, v31
	v_addc_co_u32_e32 v11, vcc, 0, v55, vcc
	;; [unrolled: 3-line block ×3, first 2 shown]
	global_load_dword v101, v[10:11], off
.LBB69_110:                             ;   in Loop: Header=BB69_74 Depth=1
	ds_read_b32 v24, v73
	ds_read_b128 v[10:13], v70 offset:128
	v_add_co_u32_e32 v28, vcc, v58, v31
	v_addc_co_u32_e32 v29, vcc, 0, v59, vcc
	s_waitcnt vmcnt(0) lgkmcnt(1)
	v_mul_f32_e32 v25, v98, v24
	v_mul_f32_e32 v26, v99, v24
	;; [unrolled: 1-line block ×4, first 2 shown]
	ds_write2_b32 v74, v25, v26 offset1:67
	ds_write2_b32 v74, v27, v24 offset0:134 offset1:201
	s_waitcnt lgkmcnt(0)
	s_barrier
	ds_read2_b32 v[26:27], v69 offset1:1
	ds_read2_b32 v[24:25], v69 offset0:2 offset1:3
	s_and_b64 vcc, exec, s[4:5]
	s_mov_b64 s[4:5], -1
	s_waitcnt lgkmcnt(0)
	s_barrier
                                        ; implicit-def: $vgpr105
                                        ; implicit-def: $vgpr104
                                        ; implicit-def: $vgpr103
                                        ; implicit-def: $vgpr102
	s_cbranch_vccnz .LBB69_120
; %bb.111:                              ;   in Loop: Header=BB69_74 Depth=1
	v_cmp_gt_i32_e32 vcc, s16, v86
	v_mov_b32_e32 v103, 0
	v_mov_b32_e32 v102, 0
	s_and_saveexec_b64 s[4:5], vcc
	s_cbranch_execz .LBB69_113
; %bb.112:                              ;   in Loop: Header=BB69_74 Depth=1
	global_load_dword v102, v[28:29], off
.LBB69_113:                             ;   in Loop: Header=BB69_74 Depth=1
	s_or_b64 exec, exec, s[4:5]
	v_cmp_gt_i32_e32 vcc, s16, v87
	s_and_saveexec_b64 s[4:5], vcc
	s_cbranch_execz .LBB69_115
; %bb.114:                              ;   in Loop: Header=BB69_74 Depth=1
	v_add_co_u32_e32 v103, vcc, v60, v31
	v_addc_co_u32_e32 v104, vcc, 0, v61, vcc
	global_load_dword v103, v[103:104], off
.LBB69_115:                             ;   in Loop: Header=BB69_74 Depth=1
	s_or_b64 exec, exec, s[4:5]
	v_cmp_gt_i32_e32 vcc, s16, v88
	v_mov_b32_e32 v105, 0
	v_mov_b32_e32 v104, 0
	s_and_saveexec_b64 s[4:5], vcc
	s_cbranch_execz .LBB69_117
; %bb.116:                              ;   in Loop: Header=BB69_74 Depth=1
	v_add_co_u32_e32 v106, vcc, v62, v31
	v_addc_co_u32_e32 v107, vcc, 0, v63, vcc
	global_load_dword v104, v[106:107], off
.LBB69_117:                             ;   in Loop: Header=BB69_74 Depth=1
	s_or_b64 exec, exec, s[4:5]
	v_cmp_gt_i32_e32 vcc, s16, v89
	s_and_saveexec_b64 s[4:5], vcc
	s_cbranch_execz .LBB69_119
; %bb.118:                              ;   in Loop: Header=BB69_74 Depth=1
	v_add_co_u32_e32 v105, vcc, v64, v31
	v_addc_co_u32_e32 v106, vcc, 0, v65, vcc
	global_load_dword v105, v[105:106], off
.LBB69_119:                             ;   in Loop: Header=BB69_74 Depth=1
	s_or_b64 exec, exec, s[4:5]
	s_mov_b64 s[4:5], 0
.LBB69_120:                             ;   in Loop: Header=BB69_74 Depth=1
	s_and_b64 vcc, exec, s[4:5]
	s_cbranch_vccz .LBB69_122
; %bb.121:                              ;   in Loop: Header=BB69_74 Depth=1
	global_load_dword v102, v[28:29], off
	v_add_co_u32_e32 v28, vcc, v60, v31
	v_addc_co_u32_e32 v29, vcc, 0, v61, vcc
	global_load_dword v103, v[28:29], off
	v_add_co_u32_e32 v28, vcc, v62, v31
	v_addc_co_u32_e32 v29, vcc, 0, v63, vcc
	global_load_dword v104, v[28:29], off
	v_add_co_u32_e32 v28, vcc, v64, v31
	v_addc_co_u32_e32 v29, vcc, 0, v65, vcc
	global_load_dword v105, v[28:29], off
.LBB69_122:                             ;   in Loop: Header=BB69_74 Depth=1
	v_add_f32_e32 v26, 0, v26
	v_add_f32_e32 v26, v26, v27
	;; [unrolled: 1-line block ×4, first 2 shown]
	ds_read_b32 v24, v73
	v_add_f32_e32 v16, 0, v16
	v_add_f32_e32 v16, v16, v17
	;; [unrolled: 1-line block ×4, first 2 shown]
	ds_read_b128 v[14:17], v70 offset:192
	s_waitcnt vmcnt(0) lgkmcnt(1)
	v_mul_f32_e32 v25, v102, v24
	v_mul_f32_e32 v28, v103, v24
	ds_write2_b32 v74, v25, v28 offset1:67
	v_mul_f32_e32 v25, v104, v24
	v_mul_f32_e32 v24, v105, v24
	ds_write2_b32 v74, v25, v24 offset0:134 offset1:201
	s_waitcnt lgkmcnt(0)
	s_barrier
	ds_read2_b32 v[24:25], v69 offset1:1
	v_add_f32_e32 v22, 0, v22
	v_add_f32_e32 v28, v22, v23
	ds_read2_b32 v[22:23], v69 offset0:2 offset1:3
	v_add_f32_e32 v20, v28, v20
	v_add_f32_e32 v20, v20, v21
	s_waitcnt lgkmcnt(1)
	v_add_f32_e32 v21, 0, v24
	v_cmp_gt_i32_e32 vcc, s16, v0
	v_add_f32_e32 v21, v21, v25
	s_or_b64 s[4:5], s[10:11], vcc
	s_waitcnt lgkmcnt(0)
	v_add_f32_e32 v21, v21, v22
	s_and_b64 s[10:11], s[2:3], s[4:5]
	v_add_f32_e32 v21, v21, v23
	s_barrier
	ds_write2_b32 v66, v20, v27 offset1:16
	ds_write2_b32 v66, v26, v21 offset0:32 offset1:48
	s_waitcnt lgkmcnt(0)
	s_barrier
	s_and_saveexec_b64 s[4:5], s[10:11]
	s_cbranch_execz .LBB69_124
; %bb.123:                              ;   in Loop: Header=BB69_74 Depth=1
	ds_read2_b32 v[20:21], v67 offset1:1
	ds_read2_b32 v[22:23], v67 offset0:2 offset1:3
	ds_read2_b32 v[24:25], v67 offset0:4 offset1:5
	;; [unrolled: 1-line block ×4, first 2 shown]
	s_waitcnt lgkmcnt(4)
	v_add_f32_e32 v20, v20, v21
	s_waitcnt lgkmcnt(3)
	v_add_f32_e32 v20, v20, v22
	v_add_f32_e32 v20, v20, v23
	s_waitcnt lgkmcnt(2)
	v_add_f32_e32 v20, v20, v24
	v_add_f32_e32 v20, v20, v25
	s_waitcnt lgkmcnt(1)
	v_add_f32_e32 v20, v20, v26
	v_add_f32_e32 v24, v20, v27
	ds_read2_b32 v[20:21], v67 offset0:10 offset1:11
	ds_read2_b32 v[22:23], v67 offset0:12 offset1:13
	ds_read_b32 v25, v67 offset:56
	s_waitcnt lgkmcnt(3)
	v_add_f32_e32 v24, v24, v28
	v_add_f32_e32 v24, v24, v29
	s_waitcnt lgkmcnt(2)
	v_add_f32_e32 v20, v24, v20
	ds_read_b32 v24, v68
	v_add_f32_e32 v20, v20, v21
	s_waitcnt lgkmcnt(2)
	v_add_f32_e32 v20, v20, v22
	v_add_f32_e32 v20, v20, v23
	s_waitcnt lgkmcnt(1)
	v_add_f32_e32 v20, v20, v25
	s_waitcnt lgkmcnt(0)
	v_add_f32_e32 v22, v20, v24
	v_add_u32_e32 v20, s21, v0
	v_ashrrev_i32_e32 v21, 31, v20
	v_lshlrev_b64 v[20:21], 2, v[20:21]
	v_mov_b32_e32 v23, s14
	v_add_co_u32_e32 v20, vcc, s7, v20
	v_addc_co_u32_e32 v21, vcc, v23, v21, vcc
	global_store_dword v[20:21], v22, off
.LBB69_124:                             ;   in Loop: Header=BB69_74 Depth=1
	s_or_b64 exec, exec, s[4:5]
	v_fmac_f32_e32 v30, v90, v2
	v_mov_b32_e32 v2, s9
	v_add_co_u32_e32 v34, vcc, s8, v34
	v_addc_co_u32_e32 v35, vcc, v35, v2, vcc
	v_add_co_u32_e32 v36, vcc, s8, v36
	v_addc_co_u32_e32 v37, vcc, v37, v2, vcc
	;; [unrolled: 2-line block ×8, first 2 shown]
	v_add_co_u32_e32 v50, vcc, s8, v50
	v_fmac_f32_e32 v30, v91, v3
	v_addc_co_u32_e32 v51, vcc, v51, v2, vcc
	v_fmac_f32_e32 v30, v92, v4
	v_add_co_u32_e32 v52, vcc, s8, v52
	v_fmac_f32_e32 v30, v93, v5
	v_addc_co_u32_e32 v53, vcc, v53, v2, vcc
	v_fmac_f32_e32 v30, v94, v6
	;; [unrolled: 4-line block ×7, first 2 shown]
	s_add_i32 s4, s6, 1
	s_add_i32 s21, s21, 64
	;; [unrolled: 1-line block ×3, first 2 shown]
	v_add_co_u32_e32 v64, vcc, s8, v64
	v_fmac_f32_e32 v30, v105, v17
	s_cmp_ge_u32 s5, s33
	v_addc_co_u32_e32 v65, vcc, v65, v2, vcc
	s_waitcnt vmcnt(0)
	s_barrier
	s_cbranch_scc1 .LBB69_126
; %bb.125:                              ;   in Loop: Header=BB69_74 Depth=1
	s_mov_b32 s6, s4
	s_cmp_eq_u32 s15, s6
	s_cselect_b32 s16, s38, 0
	s_and_saveexec_b64 s[4:5], s[0:1]
	s_cbranch_execnz .LBB69_71
	s_branch .LBB69_74
.LBB69_126:
	s_movk_i32 s2, 0x10c
	v_cmp_gt_i32_e32 vcc, s20, v0
	v_mad_u32_u24 v1, v1, s2, v31
	s_or_b64 s[2:3], s[18:19], vcc
	s_and_b64 s[0:1], s[0:1], s[2:3]
	ds_write_b32 v1, v30
	s_waitcnt lgkmcnt(0)
	s_barrier
	s_and_saveexec_b64 s[2:3], s[0:1]
	s_cbranch_execz .LBB69_128
; %bb.127:
	ds_read2_b32 v[0:1], v31 offset1:67
	ds_read2_b32 v[2:3], v31 offset0:134 offset1:201
	v_lshlrev_b64 v[4:5], 2, v[18:19]
	v_mov_b32_e32 v6, s14
	s_waitcnt lgkmcnt(1)
	v_add_f32_e32 v0, v0, v1
	s_waitcnt lgkmcnt(0)
	v_add_f32_e32 v0, v0, v2
	v_add_f32_e32 v2, v0, v3
	v_add_co_u32_e32 v0, vcc, s7, v4
	v_addc_co_u32_e32 v1, vcc, v6, v5, vcc
	global_store_dword v[0:1], v2, off
.LBB69_128:
	s_endpgm
	.section	.rodata,"a",@progbits
	.p2align	6, 0x0
	.amdhsa_kernel _ZL26rocblas_hemvn_kernel_upperILb0ELi64ELi4ELi33ELi32ELi16ElPKfS1_PfEviT6_lT7_lT5_lS4_lS5_lS3_lT8_i
		.amdhsa_group_segment_fixed_size 4800
		.amdhsa_private_segment_fixed_size 0
		.amdhsa_kernarg_size 376
		.amdhsa_user_sgpr_count 6
		.amdhsa_user_sgpr_private_segment_buffer 1
		.amdhsa_user_sgpr_dispatch_ptr 0
		.amdhsa_user_sgpr_queue_ptr 0
		.amdhsa_user_sgpr_kernarg_segment_ptr 1
		.amdhsa_user_sgpr_dispatch_id 0
		.amdhsa_user_sgpr_flat_scratch_init 0
		.amdhsa_user_sgpr_private_segment_size 0
		.amdhsa_uses_dynamic_stack 0
		.amdhsa_system_sgpr_private_segment_wavefront_offset 0
		.amdhsa_system_sgpr_workgroup_id_x 1
		.amdhsa_system_sgpr_workgroup_id_y 0
		.amdhsa_system_sgpr_workgroup_id_z 1
		.amdhsa_system_sgpr_workgroup_info 0
		.amdhsa_system_vgpr_workitem_id 1
		.amdhsa_next_free_vgpr 108
		.amdhsa_next_free_sgpr 44
		.amdhsa_reserve_vcc 1
		.amdhsa_reserve_flat_scratch 0
		.amdhsa_float_round_mode_32 0
		.amdhsa_float_round_mode_16_64 0
		.amdhsa_float_denorm_mode_32 3
		.amdhsa_float_denorm_mode_16_64 3
		.amdhsa_dx10_clamp 1
		.amdhsa_ieee_mode 1
		.amdhsa_fp16_overflow 0
		.amdhsa_exception_fp_ieee_invalid_op 0
		.amdhsa_exception_fp_denorm_src 0
		.amdhsa_exception_fp_ieee_div_zero 0
		.amdhsa_exception_fp_ieee_overflow 0
		.amdhsa_exception_fp_ieee_underflow 0
		.amdhsa_exception_fp_ieee_inexact 0
		.amdhsa_exception_int_div_zero 0
	.end_amdhsa_kernel
	.section	.text._ZL26rocblas_hemvn_kernel_upperILb0ELi64ELi4ELi33ELi32ELi16ElPKfS1_PfEviT6_lT7_lT5_lS4_lS5_lS3_lT8_i,"axG",@progbits,_ZL26rocblas_hemvn_kernel_upperILb0ELi64ELi4ELi33ELi32ELi16ElPKfS1_PfEviT6_lT7_lT5_lS4_lS5_lS3_lT8_i,comdat
.Lfunc_end69:
	.size	_ZL26rocblas_hemvn_kernel_upperILb0ELi64ELi4ELi33ELi32ELi16ElPKfS1_PfEviT6_lT7_lT5_lS4_lS5_lS3_lT8_i, .Lfunc_end69-_ZL26rocblas_hemvn_kernel_upperILb0ELi64ELi4ELi33ELi32ELi16ElPKfS1_PfEviT6_lT7_lT5_lS4_lS5_lS3_lT8_i
                                        ; -- End function
	.set _ZL26rocblas_hemvn_kernel_upperILb0ELi64ELi4ELi33ELi32ELi16ElPKfS1_PfEviT6_lT7_lT5_lS4_lS5_lS3_lT8_i.num_vgpr, 108
	.set _ZL26rocblas_hemvn_kernel_upperILb0ELi64ELi4ELi33ELi32ELi16ElPKfS1_PfEviT6_lT7_lT5_lS4_lS5_lS3_lT8_i.num_agpr, 0
	.set _ZL26rocblas_hemvn_kernel_upperILb0ELi64ELi4ELi33ELi32ELi16ElPKfS1_PfEviT6_lT7_lT5_lS4_lS5_lS3_lT8_i.numbered_sgpr, 44
	.set _ZL26rocblas_hemvn_kernel_upperILb0ELi64ELi4ELi33ELi32ELi16ElPKfS1_PfEviT6_lT7_lT5_lS4_lS5_lS3_lT8_i.num_named_barrier, 0
	.set _ZL26rocblas_hemvn_kernel_upperILb0ELi64ELi4ELi33ELi32ELi16ElPKfS1_PfEviT6_lT7_lT5_lS4_lS5_lS3_lT8_i.private_seg_size, 0
	.set _ZL26rocblas_hemvn_kernel_upperILb0ELi64ELi4ELi33ELi32ELi16ElPKfS1_PfEviT6_lT7_lT5_lS4_lS5_lS3_lT8_i.uses_vcc, 1
	.set _ZL26rocblas_hemvn_kernel_upperILb0ELi64ELi4ELi33ELi32ELi16ElPKfS1_PfEviT6_lT7_lT5_lS4_lS5_lS3_lT8_i.uses_flat_scratch, 0
	.set _ZL26rocblas_hemvn_kernel_upperILb0ELi64ELi4ELi33ELi32ELi16ElPKfS1_PfEviT6_lT7_lT5_lS4_lS5_lS3_lT8_i.has_dyn_sized_stack, 0
	.set _ZL26rocblas_hemvn_kernel_upperILb0ELi64ELi4ELi33ELi32ELi16ElPKfS1_PfEviT6_lT7_lT5_lS4_lS5_lS3_lT8_i.has_recursion, 0
	.set _ZL26rocblas_hemvn_kernel_upperILb0ELi64ELi4ELi33ELi32ELi16ElPKfS1_PfEviT6_lT7_lT5_lS4_lS5_lS3_lT8_i.has_indirect_call, 0
	.section	.AMDGPU.csdata,"",@progbits
; Kernel info:
; codeLenInByte = 6684
; TotalNumSgprs: 48
; NumVgprs: 108
; ScratchSize: 0
; MemoryBound: 0
; FloatMode: 240
; IeeeMode: 1
; LDSByteSize: 4800 bytes/workgroup (compile time only)
; SGPRBlocks: 5
; VGPRBlocks: 26
; NumSGPRsForWavesPerEU: 48
; NumVGPRsForWavesPerEU: 108
; Occupancy: 2
; WaveLimiterHint : 0
; COMPUTE_PGM_RSRC2:SCRATCH_EN: 0
; COMPUTE_PGM_RSRC2:USER_SGPR: 6
; COMPUTE_PGM_RSRC2:TRAP_HANDLER: 0
; COMPUTE_PGM_RSRC2:TGID_X_EN: 1
; COMPUTE_PGM_RSRC2:TGID_Y_EN: 0
; COMPUTE_PGM_RSRC2:TGID_Z_EN: 1
; COMPUTE_PGM_RSRC2:TIDIG_COMP_CNT: 1
	.section	.text._ZL36rocblas_hemvn_kernel_upper_block_sumILi64ElPKfPffEviT1_lS3_lT2_lT0_lPT3_i,"axG",@progbits,_ZL36rocblas_hemvn_kernel_upper_block_sumILi64ElPKfPffEviT1_lS3_lT2_lT0_lPT3_i,comdat
	.globl	_ZL36rocblas_hemvn_kernel_upper_block_sumILi64ElPKfPffEviT1_lS3_lT2_lT0_lPT3_i ; -- Begin function _ZL36rocblas_hemvn_kernel_upper_block_sumILi64ElPKfPffEviT1_lS3_lT2_lT0_lPT3_i
	.p2align	8
	.type	_ZL36rocblas_hemvn_kernel_upper_block_sumILi64ElPKfPffEviT1_lS3_lT2_lT0_lPT3_i,@function
_ZL36rocblas_hemvn_kernel_upper_block_sumILi64ElPKfPffEviT1_lS3_lT2_lT0_lPT3_i: ; @_ZL36rocblas_hemvn_kernel_upper_block_sumILi64ElPKfPffEviT1_lS3_lT2_lT0_lPT3_i
; %bb.0:
	s_load_dwordx8 s[8:15], s[4:5], 0x8
	s_waitcnt lgkmcnt(0)
	s_mul_i32 s0, s11, s7
	s_mul_hi_u32 s1, s10, s7
	s_add_i32 s1, s1, s0
	s_mul_i32 s0, s10, s7
	s_lshl_b64 s[0:1], s[0:1], 2
	s_add_u32 s0, s8, s0
	s_addc_u32 s1, s9, s1
	s_load_dword s18, s[0:1], 0x0
	s_mul_i32 s0, s15, s7
	s_mul_hi_u32 s1, s14, s7
	s_add_i32 s1, s1, s0
	s_mul_i32 s0, s14, s7
	s_lshl_b64 s[0:1], s[0:1], 2
	s_add_u32 s0, s12, s0
	s_addc_u32 s1, s13, s1
	s_load_dword s21, s[0:1], 0x0
	s_waitcnt lgkmcnt(0)
	v_cmp_eq_f32_e64 s[0:1], s18, 0
	v_cmp_eq_f32_e64 s[2:3], s21, 1.0
	s_and_b64 s[0:1], s[0:1], s[2:3]
	s_and_b64 vcc, exec, s[0:1]
	s_cbranch_vccnz .LBB70_19
; %bb.1:
	s_load_dwordx8 s[8:15], s[4:5], 0x30
	s_load_dwordx2 s[0:1], s[4:5], 0x28
	s_load_dword s16, s[4:5], 0x0
	v_lshl_or_b32 v0, s6, 6, v0
	s_waitcnt lgkmcnt(0)
	s_mul_i32 s3, s13, s7
	s_mul_hi_u32 s13, s12, s7
	s_mul_i32 s2, s12, s7
	s_add_i32 s3, s13, s3
	s_lshl_b64 s[2:3], s[2:3], 2
	s_add_u32 s2, s0, s2
	s_addc_u32 s3, s1, s3
	s_lshl_b64 s[0:1], s[8:9], 2
	s_add_u32 s19, s2, s0
	s_addc_u32 s20, s3, s1
	v_cmp_neq_f32_e64 s[0:1], s18, 0
	s_and_b64 vcc, exec, s[0:1]
	v_cmp_gt_i32_e64 s[0:1], s16, v0
	s_cbranch_vccnz .LBB70_6
; %bb.2:
	s_mov_b64 s[8:9], 0
	s_mov_b64 s[2:3], 0
                                        ; implicit-def: $vgpr3
                                        ; implicit-def: $vgpr1_vgpr2
	s_and_saveexec_b64 s[12:13], s[0:1]
	s_cbranch_execz .LBB70_7
; %bb.3:
	v_ashrrev_i32_e32 v1, 31, v0
	v_mul_lo_u32 v4, s11, v0
	v_mul_lo_u32 v5, s10, v1
	v_mad_u64_u32 v[1:2], s[0:1], s10, v0, 0
	v_cmp_eq_f32_e64 s[0:1], s21, 0
	v_mov_b32_e32 v3, 0
	v_add3_u32 v2, v2, v5, v4
	s_and_b64 vcc, exec, s[0:1]
	s_cbranch_vccnz .LBB70_5
; %bb.4:
	v_lshlrev_b64 v[3:4], 2, v[1:2]
	v_mov_b32_e32 v5, s20
	v_add_co_u32_e32 v3, vcc, s19, v3
	v_addc_co_u32_e32 v4, vcc, v5, v4, vcc
	global_load_dword v3, v[3:4], off
	s_waitcnt vmcnt(0)
	v_mul_f32_e32 v3, s21, v3
.LBB70_5:
	s_mov_b64 s[2:3], exec
	s_or_b64 exec, exec, s[12:13]
	s_and_b64 vcc, exec, s[8:9]
	s_cbranch_vccnz .LBB70_8
	s_branch .LBB70_17
.LBB70_6:
	s_mov_b64 s[2:3], 0
                                        ; implicit-def: $vgpr3
                                        ; implicit-def: $vgpr1_vgpr2
	s_cbranch_execnz .LBB70_8
	s_branch .LBB70_17
.LBB70_7:
	s_or_b64 exec, exec, s[12:13]
	s_and_b64 vcc, exec, s[8:9]
	s_cbranch_vccz .LBB70_17
.LBB70_8:
	v_cmp_gt_i32_e32 vcc, s16, v0
                                        ; implicit-def: $vgpr3
                                        ; implicit-def: $vgpr1_vgpr2
	s_and_saveexec_b64 s[0:1], vcc
	s_cbranch_execz .LBB70_16
; %bb.9:
	v_ashrrev_i32_e32 v1, 31, v0
	s_cmp_lt_i32 s6, 0
	v_mov_b32_e32 v4, 0
	s_cbranch_scc1 .LBB70_12
; %bb.10:
	s_load_dword s4, s[4:5], 0x58
	s_ashr_i32 s17, s16, 31
	s_mul_hi_u32 s5, s16, s7
	s_mul_i32 s8, s17, s7
	s_add_i32 s5, s5, s8
	s_mul_i32 s7, s16, s7
	s_waitcnt lgkmcnt(0)
	s_mul_i32 s5, s5, s4
	s_mul_hi_u32 s8, s7, s4
	s_add_i32 s5, s8, s5
	s_mul_i32 s4, s7, s4
	s_lshl_b64 s[4:5], s[4:5], 2
	s_add_u32 s4, s14, s4
	v_lshlrev_b64 v[2:3], 2, v[0:1]
	s_addc_u32 s5, s15, s5
	v_mov_b32_e32 v4, s5
	v_add_co_u32_e32 v2, vcc, s4, v2
	s_lshl_b64 s[4:5], s[16:17], 2
	v_addc_co_u32_e32 v3, vcc, v4, v3, vcc
	s_add_i32 s6, s6, 1
	v_mov_b32_e32 v4, 0
	v_mov_b32_e32 v5, s5
.LBB70_11:                              ; =>This Inner Loop Header: Depth=1
	global_load_dword v6, v[2:3], off
	s_add_i32 s6, s6, -1
	v_add_co_u32_e32 v2, vcc, s4, v2
	v_addc_co_u32_e32 v3, vcc, v3, v5, vcc
	s_cmp_eq_u32 s6, 0
	s_waitcnt vmcnt(0)
	v_add_f32_e32 v4, v4, v6
	s_cbranch_scc0 .LBB70_11
.LBB70_12:
	v_mul_lo_u32 v5, s11, v0
	v_mul_lo_u32 v6, s10, v1
	v_cmp_eq_f32_e64 s[4:5], s21, 0
	s_and_b64 vcc, exec, s[4:5]
	s_cbranch_vccz .LBB70_20
; %bb.13:
	v_mad_u64_u32 v[1:2], s[4:5], s10, v0, 0
	v_mul_f32_e32 v3, s18, v4
	v_add3_u32 v2, v2, v6, v5
	s_cbranch_execnz .LBB70_15
.LBB70_14:
	v_mad_u64_u32 v[1:2], s[4:5], s10, v0, 0
	v_mov_b32_e32 v0, s20
	v_add3_u32 v2, v2, v6, v5
	v_lshlrev_b64 v[5:6], 2, v[1:2]
	v_add_co_u32_e32 v5, vcc, s19, v5
	v_addc_co_u32_e32 v6, vcc, v0, v6, vcc
	global_load_dword v0, v[5:6], off
	s_waitcnt vmcnt(0)
	v_mul_f32_e32 v3, s21, v0
	v_fmac_f32_e32 v3, s18, v4
.LBB70_15:
	s_or_b64 s[2:3], s[2:3], exec
.LBB70_16:
	s_or_b64 exec, exec, s[0:1]
.LBB70_17:
	s_and_saveexec_b64 s[0:1], s[2:3]
	s_cbranch_execz .LBB70_19
; %bb.18:
	v_lshlrev_b64 v[0:1], 2, v[1:2]
	v_mov_b32_e32 v2, s20
	v_add_co_u32_e32 v0, vcc, s19, v0
	v_addc_co_u32_e32 v1, vcc, v2, v1, vcc
	global_store_dword v[0:1], v3, off
.LBB70_19:
	s_endpgm
.LBB70_20:
                                        ; implicit-def: $vgpr3
                                        ; implicit-def: $vgpr1_vgpr2
	s_branch .LBB70_14
	.section	.rodata,"a",@progbits
	.p2align	6, 0x0
	.amdhsa_kernel _ZL36rocblas_hemvn_kernel_upper_block_sumILi64ElPKfPffEviT1_lS3_lT2_lT0_lPT3_i
		.amdhsa_group_segment_fixed_size 0
		.amdhsa_private_segment_fixed_size 0
		.amdhsa_kernarg_size 344
		.amdhsa_user_sgpr_count 6
		.amdhsa_user_sgpr_private_segment_buffer 1
		.amdhsa_user_sgpr_dispatch_ptr 0
		.amdhsa_user_sgpr_queue_ptr 0
		.amdhsa_user_sgpr_kernarg_segment_ptr 1
		.amdhsa_user_sgpr_dispatch_id 0
		.amdhsa_user_sgpr_flat_scratch_init 0
		.amdhsa_user_sgpr_private_segment_size 0
		.amdhsa_uses_dynamic_stack 0
		.amdhsa_system_sgpr_private_segment_wavefront_offset 0
		.amdhsa_system_sgpr_workgroup_id_x 1
		.amdhsa_system_sgpr_workgroup_id_y 0
		.amdhsa_system_sgpr_workgroup_id_z 1
		.amdhsa_system_sgpr_workgroup_info 0
		.amdhsa_system_vgpr_workitem_id 0
		.amdhsa_next_free_vgpr 7
		.amdhsa_next_free_sgpr 22
		.amdhsa_reserve_vcc 1
		.amdhsa_reserve_flat_scratch 0
		.amdhsa_float_round_mode_32 0
		.amdhsa_float_round_mode_16_64 0
		.amdhsa_float_denorm_mode_32 3
		.amdhsa_float_denorm_mode_16_64 3
		.amdhsa_dx10_clamp 1
		.amdhsa_ieee_mode 1
		.amdhsa_fp16_overflow 0
		.amdhsa_exception_fp_ieee_invalid_op 0
		.amdhsa_exception_fp_denorm_src 0
		.amdhsa_exception_fp_ieee_div_zero 0
		.amdhsa_exception_fp_ieee_overflow 0
		.amdhsa_exception_fp_ieee_underflow 0
		.amdhsa_exception_fp_ieee_inexact 0
		.amdhsa_exception_int_div_zero 0
	.end_amdhsa_kernel
	.section	.text._ZL36rocblas_hemvn_kernel_upper_block_sumILi64ElPKfPffEviT1_lS3_lT2_lT0_lPT3_i,"axG",@progbits,_ZL36rocblas_hemvn_kernel_upper_block_sumILi64ElPKfPffEviT1_lS3_lT2_lT0_lPT3_i,comdat
.Lfunc_end70:
	.size	_ZL36rocblas_hemvn_kernel_upper_block_sumILi64ElPKfPffEviT1_lS3_lT2_lT0_lPT3_i, .Lfunc_end70-_ZL36rocblas_hemvn_kernel_upper_block_sumILi64ElPKfPffEviT1_lS3_lT2_lT0_lPT3_i
                                        ; -- End function
	.set _ZL36rocblas_hemvn_kernel_upper_block_sumILi64ElPKfPffEviT1_lS3_lT2_lT0_lPT3_i.num_vgpr, 7
	.set _ZL36rocblas_hemvn_kernel_upper_block_sumILi64ElPKfPffEviT1_lS3_lT2_lT0_lPT3_i.num_agpr, 0
	.set _ZL36rocblas_hemvn_kernel_upper_block_sumILi64ElPKfPffEviT1_lS3_lT2_lT0_lPT3_i.numbered_sgpr, 22
	.set _ZL36rocblas_hemvn_kernel_upper_block_sumILi64ElPKfPffEviT1_lS3_lT2_lT0_lPT3_i.num_named_barrier, 0
	.set _ZL36rocblas_hemvn_kernel_upper_block_sumILi64ElPKfPffEviT1_lS3_lT2_lT0_lPT3_i.private_seg_size, 0
	.set _ZL36rocblas_hemvn_kernel_upper_block_sumILi64ElPKfPffEviT1_lS3_lT2_lT0_lPT3_i.uses_vcc, 1
	.set _ZL36rocblas_hemvn_kernel_upper_block_sumILi64ElPKfPffEviT1_lS3_lT2_lT0_lPT3_i.uses_flat_scratch, 0
	.set _ZL36rocblas_hemvn_kernel_upper_block_sumILi64ElPKfPffEviT1_lS3_lT2_lT0_lPT3_i.has_dyn_sized_stack, 0
	.set _ZL36rocblas_hemvn_kernel_upper_block_sumILi64ElPKfPffEviT1_lS3_lT2_lT0_lPT3_i.has_recursion, 0
	.set _ZL36rocblas_hemvn_kernel_upper_block_sumILi64ElPKfPffEviT1_lS3_lT2_lT0_lPT3_i.has_indirect_call, 0
	.section	.AMDGPU.csdata,"",@progbits
; Kernel info:
; codeLenInByte = 692
; TotalNumSgprs: 26
; NumVgprs: 7
; ScratchSize: 0
; MemoryBound: 0
; FloatMode: 240
; IeeeMode: 1
; LDSByteSize: 0 bytes/workgroup (compile time only)
; SGPRBlocks: 3
; VGPRBlocks: 1
; NumSGPRsForWavesPerEU: 26
; NumVGPRsForWavesPerEU: 7
; Occupancy: 10
; WaveLimiterHint : 0
; COMPUTE_PGM_RSRC2:SCRATCH_EN: 0
; COMPUTE_PGM_RSRC2:USER_SGPR: 6
; COMPUTE_PGM_RSRC2:TRAP_HANDLER: 0
; COMPUTE_PGM_RSRC2:TGID_X_EN: 1
; COMPUTE_PGM_RSRC2:TGID_Y_EN: 0
; COMPUTE_PGM_RSRC2:TGID_Z_EN: 1
; COMPUTE_PGM_RSRC2:TIDIG_COMP_CNT: 0
	.section	.text._ZL26rocblas_hemvn_kernel_upperILb0ELi64ELi4ELi33ELi32ELi16EiPKfS1_PfEviT6_lT7_lT5_lS4_lS5_lS3_lT8_i,"axG",@progbits,_ZL26rocblas_hemvn_kernel_upperILb0ELi64ELi4ELi33ELi32ELi16EiPKfS1_PfEviT6_lT7_lT5_lS4_lS5_lS3_lT8_i,comdat
	.globl	_ZL26rocblas_hemvn_kernel_upperILb0ELi64ELi4ELi33ELi32ELi16EiPKfS1_PfEviT6_lT7_lT5_lS4_lS5_lS3_lT8_i ; -- Begin function _ZL26rocblas_hemvn_kernel_upperILb0ELi64ELi4ELi33ELi32ELi16EiPKfS1_PfEviT6_lT7_lT5_lS4_lS5_lS3_lT8_i
	.p2align	8
	.type	_ZL26rocblas_hemvn_kernel_upperILb0ELi64ELi4ELi33ELi32ELi16EiPKfS1_PfEviT6_lT7_lT5_lS4_lS5_lS3_lT8_i,@function
_ZL26rocblas_hemvn_kernel_upperILb0ELi64ELi4ELi33ELi32ELi16EiPKfS1_PfEviT6_lT7_lT5_lS4_lS5_lS3_lT8_i: ; @_ZL26rocblas_hemvn_kernel_upperILb0ELi64ELi4ELi33ELi32ELi16EiPKfS1_PfEviT6_lT7_lT5_lS4_lS5_lS3_lT8_i
; %bb.0:
	s_load_dwordx2 s[2:3], s[4:5], 0x84
	s_add_u32 s0, s4, 0x78
	s_addc_u32 s1, s5, 0
	s_waitcnt lgkmcnt(0)
	s_lshr_b32 s8, s2, 16
	s_and_b32 s2, s2, 0xffff
	s_and_b32 s3, s3, 0xffff
	s_mul_i32 s2, s8, s2
	s_mul_i32 s2, s2, s3
	s_cmpk_lg_i32 s2, 0x100
	s_cbranch_scc1 .LBB71_128
; %bb.1:
	s_load_dwordx8 s[20:27], s[4:5], 0x8
	s_load_dwordx8 s[12:19], s[4:5], 0x50
	s_waitcnt lgkmcnt(0)
	s_mul_i32 s3, s23, s7
	s_mul_hi_u32 s8, s22, s7
	s_mul_i32 s2, s22, s7
	s_add_i32 s3, s8, s3
	s_lshl_b64 s[2:3], s[2:3], 2
	s_add_u32 s2, s20, s2
	s_addc_u32 s3, s21, s3
	s_mul_i32 s9, s17, s7
	s_load_dword s8, s[2:3], 0x0
	s_mul_hi_u32 s2, s16, s7
	s_add_i32 s3, s2, s9
	s_mul_i32 s2, s16, s7
	s_lshl_b64 s[2:3], s[2:3], 2
	s_add_u32 s2, s14, s2
	s_addc_u32 s3, s15, s3
	s_load_dword s9, s[2:3], 0x0
	s_waitcnt lgkmcnt(0)
	v_cmp_eq_f32_e64 s[2:3], s8, 0
	v_cmp_eq_f32_e64 s[8:9], s9, 1.0
	s_and_b64 s[8:9], s[2:3], s[8:9]
	s_and_b64 vcc, exec, s[8:9]
	s_cbranch_vccnz .LBB71_128
; %bb.2:
	s_and_b64 vcc, exec, s[2:3]
	s_cbranch_vccnz .LBB71_128
; %bb.3:
	s_load_dword s33, s[0:1], 0x0
	s_load_dword s40, s[4:5], 0x0
	s_load_dwordx4 s[8:11], s[4:5], 0x30
	s_load_dwordx2 s[2:3], s[4:5], 0x40
	s_load_dword s39, s[4:5], 0x48
	s_mul_i32 s0, s13, s7
	s_mul_hi_u32 s1, s12, s7
	s_add_i32 s1, s1, s0
	s_mul_i32 s0, s12, s7
	s_lshl_b64 s[0:1], s[0:1], 2
	s_waitcnt lgkmcnt(0)
	s_add_u32 s10, s10, s0
	s_addc_u32 s11, s11, s1
	s_lshl_b64 s[0:1], s[2:3], 2
	s_add_u32 s0, s10, s0
	s_addc_u32 s1, s11, s1
	s_lshl_b32 s28, s6, 6
	v_add_u32_e32 v18, s28, v0
	v_mul_lo_u32 v2, s39, v18
	s_ashr_i32 s41, s40, 31
	s_lshr_b32 s3, s41, 26
	s_add_i32 s3, s40, s3
	v_ashrrev_i32_e32 v3, 31, v2
	s_andn2_b32 s3, s3, 63
	v_lshlrev_b64 v[2:3], 2, v[2:3]
	s_add_i32 s2, s33, -1
	s_sub_i32 s38, s40, s3
	s_cmp_eq_u32 s6, s2
	v_mov_b32_e32 v4, s1
	v_add_co_u32_e32 v8, vcc, s0, v2
	s_cselect_b32 s16, s38, 0
	v_addc_co_u32_e32 v9, vcc, v4, v3, vcc
	v_cmp_eq_u32_e64 s[0:1], 0, v1
	s_and_saveexec_b64 s[2:3], s[0:1]
	s_cbranch_execz .LBB71_7
; %bb.4:
	s_cmp_eq_u32 s16, 0
	s_cselect_b64 s[10:11], -1, 0
	v_cmp_gt_i32_e32 vcc, s16, v0
	s_or_b64 s[12:13], s[10:11], vcc
	v_mov_b32_e32 v2, 0
	s_and_saveexec_b64 s[10:11], s[12:13]
	s_cbranch_execz .LBB71_6
; %bb.5:
	global_load_dword v2, v[8:9], off
.LBB71_6:
	s_or_b64 exec, exec, s[10:11]
	v_lshlrev_b32_e32 v3, 2, v0
	s_waitcnt vmcnt(0)
	ds_write_b32 v3, v2 offset:4544
.LBB71_7:
	s_or_b64 exec, exec, s[2:3]
	s_mul_i32 s2, s9, s7
	s_mul_hi_u32 s3, s8, s7
	s_add_i32 s3, s3, s2
	s_mul_i32 s2, s8, s7
	s_load_dword s22, s[4:5], 0x28
	s_lshl_b64 s[2:3], s[2:3], 2
	s_add_u32 s8, s24, s2
	v_lshl_add_u32 v14, v1, 6, v0
	s_addc_u32 s9, s25, s3
	s_lshl_b64 s[2:3], s[26:27], 2
	v_and_b32_e32 v2, 31, v0
	v_lshrrev_b32_e32 v5, 5, v14
	s_add_u32 s4, s8, s2
	s_addc_u32 s5, s9, s3
	s_waitcnt lgkmcnt(0)
	v_mad_u64_u32 v[3:4], s[2:3], s22, v5, v[2:3]
	s_ashr_i32 s29, s28, 31
	s_lshl_b64 s[2:3], s[28:29], 2
	v_ashrrev_i32_e32 v4, 31, v3
	v_lshlrev_b64 v[6:7], 2, v[3:4]
	s_add_u32 s2, s4, s2
	s_addc_u32 s3, s5, s3
	v_add_co_u32_e32 v4, vcc, s2, v6
	s_mul_i32 s2, s22, s28
	v_mov_b32_e32 v3, s3
	s_ashr_i32 s3, s2, 31
	s_lshl_b64 s[2:3], s[2:3], 2
	v_addc_co_u32_e32 v10, vcc, v3, v7, vcc
	s_cmp_eq_u32 s16, 0
	v_mov_b32_e32 v11, s3
	v_add_co_u32_e32 v3, vcc, s2, v4
	s_cselect_b64 s[20:21], -1, 0
	s_cmp_lg_u32 s16, 0
	v_addc_co_u32_e32 v4, vcc, v10, v11, vcc
	s_cselect_b64 s[30:31], -1, 0
	s_and_b64 vcc, exec, s[30:31]
	v_cmp_gt_i32_e64 s[2:3], s16, v2
	v_lshlrev_b32_e32 v15, 2, v2
	s_cbranch_vccz .LBB71_17
; %bb.8:
	v_sub_co_u32_e32 v10, vcc, v3, v15
	s_ashr_i32 s17, s16, 31
	v_subbrev_co_u32_e32 v11, vcc, 0, v4, vcc
	s_lshl_b64 s[4:5], s[16:17], 2
	v_mov_b32_e32 v12, s5
	v_add_co_u32_e32 v10, vcc, s4, v10
	v_addc_co_u32_e32 v11, vcc, v11, v12, vcc
	v_add_co_u32_e32 v10, vcc, -4, v10
	v_addc_co_u32_e32 v11, vcc, -1, v11, vcc
	v_mov_b32_e32 v13, 0
	v_cndmask_b32_e64 v11, v11, v4, s[2:3]
	v_cndmask_b32_e64 v10, v10, v3, s[2:3]
	v_cmp_gt_i32_e32 vcc, s16, v5
	v_mov_b32_e32 v16, 0
	s_and_saveexec_b64 s[8:9], vcc
	s_cbranch_execz .LBB71_10
; %bb.9:
	global_load_dword v16, v[10:11], off
.LBB71_10:
	s_or_b64 exec, exec, s[8:9]
	s_movk_i32 s8, 0x84
	v_mad_u32_u24 v17, v5, s8, v15
	s_waitcnt vmcnt(0)
	ds_write_b32 v17, v16
	v_add_u32_e32 v16, 8, v5
	v_mul_u32_u24_e32 v12, 0x84, v5
	v_cmp_gt_i32_e32 vcc, s16, v16
	s_and_saveexec_b64 s[8:9], vcc
	s_cbranch_execz .LBB71_12
; %bb.11:
	s_lshl_b32 s10, s22, 3
	s_ashr_i32 s11, s10, 31
	s_lshl_b64 s[10:11], s[10:11], 2
	v_mov_b32_e32 v13, s11
	v_add_co_u32_e32 v16, vcc, s10, v10
	v_addc_co_u32_e32 v17, vcc, v11, v13, vcc
	global_load_dword v13, v[16:17], off
.LBB71_12:
	s_or_b64 exec, exec, s[8:9]
	v_add_u32_e32 v12, v12, v15
	s_waitcnt vmcnt(0)
	ds_write_b32 v12, v13 offset:1056
	v_add_u32_e32 v13, 16, v5
	v_cmp_gt_i32_e32 vcc, s16, v13
	v_mov_b32_e32 v13, 0
	v_mov_b32_e32 v16, 0
	s_and_saveexec_b64 s[8:9], vcc
	s_cbranch_execz .LBB71_14
; %bb.13:
	s_lshl_b32 s10, s22, 4
	s_ashr_i32 s11, s10, 31
	s_lshl_b64 s[10:11], s[10:11], 2
	v_mov_b32_e32 v17, s11
	v_add_co_u32_e32 v16, vcc, s10, v10
	v_addc_co_u32_e32 v17, vcc, v11, v17, vcc
	global_load_dword v16, v[16:17], off
.LBB71_14:
	s_or_b64 exec, exec, s[8:9]
	s_waitcnt vmcnt(0)
	ds_write_b32 v12, v16 offset:2112
	v_add_u32_e32 v16, 24, v5
	v_cmp_gt_i32_e32 vcc, s16, v16
	s_and_saveexec_b64 s[8:9], vcc
	s_cbranch_execz .LBB71_16
; %bb.15:
	s_mul_i32 s10, s22, 24
	s_ashr_i32 s11, s10, 31
	s_lshl_b64 s[10:11], s[10:11], 2
	v_mov_b32_e32 v13, s11
	v_add_co_u32_e32 v16, vcc, s10, v10
	v_addc_co_u32_e32 v17, vcc, v11, v13, vcc
	global_load_dword v13, v[16:17], off
.LBB71_16:
	s_or_b64 exec, exec, s[8:9]
	v_add_co_u32_e32 v10, vcc, v10, v15
	v_addc_co_u32_e32 v11, vcc, 0, v11, vcc
	s_waitcnt vmcnt(0)
	ds_write_b32 v12, v13 offset:3168
	v_mov_b32_e32 v12, s5
	v_subrev_co_u32_e32 v10, vcc, s4, v10
	v_subb_co_u32_e32 v11, vcc, v11, v12, vcc
	v_add_co_u32_e32 v10, vcc, 4, v10
	v_addc_co_u32_e32 v11, vcc, 0, v11, vcc
	v_cndmask_b32_e64 v11, v11, v4, s[2:3]
	v_cndmask_b32_e64 v10, v10, v3, s[2:3]
	s_branch .LBB71_19
.LBB71_17:
                                        ; implicit-def: $vgpr10_vgpr11
	s_cbranch_execz .LBB71_19
; %bb.18:
	s_lshl_b32 s2, s22, 3
	s_ashr_i32 s3, s2, 31
	s_lshl_b64 s[2:3], s[2:3], 2
	v_mov_b32_e32 v11, s3
	v_add_co_u32_e32 v10, vcc, s2, v3
	s_ashr_i32 s23, s22, 31
	v_addc_co_u32_e32 v11, vcc, v4, v11, vcc
	s_lshl_b64 s[2:3], s[22:23], 5
	v_mov_b32_e32 v17, s3
	v_add_co_u32_e32 v12, vcc, s2, v10
	v_addc_co_u32_e32 v13, vcc, v11, v17, vcc
	v_add_co_u32_e32 v16, vcc, s2, v12
	v_addc_co_u32_e32 v17, vcc, v13, v17, vcc
	global_load_dword v19, v[3:4], off
	global_load_dword v20, v[10:11], off
	;; [unrolled: 1-line block ×4, first 2 shown]
	v_mul_u32_u24_e32 v10, 0x84, v5
	v_lshl_add_u32 v10, v2, 2, v10
	s_waitcnt vmcnt(3)
	ds_write_b32 v10, v19
	s_waitcnt vmcnt(2)
	ds_write_b32 v10, v20 offset:1056
	s_waitcnt vmcnt(1)
	ds_write_b32 v10, v21 offset:2112
	;; [unrolled: 2-line block ×3, first 2 shown]
	v_mov_b32_e32 v11, v4
	v_mov_b32_e32 v10, v3
.LBB71_19:
	v_lshlrev_b32_e32 v16, 2, v5
	v_lshl_or_b32 v3, v2, 7, v15
	v_cmp_gt_u32_e64 s[4:5], v16, v2
	v_lshl_add_u32 v3, v16, 2, v3
	s_waitcnt lgkmcnt(0)
	s_barrier
	s_and_saveexec_b64 s[2:3], s[4:5]
	s_cbranch_execz .LBB71_21
; %bb.20:
	s_movk_i32 s8, 0x210
	v_mad_u32_u24 v4, v5, s8, v15
	ds_read_b32 v4, v4
	s_waitcnt lgkmcnt(0)
	ds_write_b32 v3, v4
.LBB71_21:
	s_or_b64 exec, exec, s[2:3]
	v_or_b32_e32 v21, 1, v16
	v_cmp_ge_u32_e64 s[14:15], v16, v2
	s_and_saveexec_b64 s[2:3], s[14:15]
	s_cbranch_execz .LBB71_23
; %bb.22:
	s_movk_i32 s8, 0x84
	v_mad_u32_u24 v4, v21, s8, v15
	ds_read_b32 v4, v4
	s_waitcnt lgkmcnt(0)
	ds_write_b32 v3, v4 offset:4
.LBB71_23:
	s_or_b64 exec, exec, s[2:3]
	v_or_b32_e32 v4, 2, v16
	v_cmp_gt_u32_e64 s[8:9], v4, v2
	s_and_saveexec_b64 s[2:3], s[8:9]
	s_cbranch_execz .LBB71_25
; %bb.24:
	s_movk_i32 s10, 0x84
	v_mad_u32_u24 v4, v4, s10, v15
	ds_read_b32 v4, v4
	s_waitcnt lgkmcnt(0)
	ds_write_b32 v3, v4 offset:8
.LBB71_25:
	s_or_b64 exec, exec, s[2:3]
	v_or_b32_e32 v12, 3, v16
	v_cmp_gt_u32_e64 s[10:11], v12, v2
	v_cmp_le_u32_e32 vcc, v12, v2
                                        ; implicit-def: $vgpr4
	s_and_saveexec_b64 s[2:3], vcc
	s_xor_b64 s[2:3], exec, s[2:3]
; %bb.26:
	v_mul_u32_u24_e32 v4, 0x84, v12
                                        ; implicit-def: $vgpr12
                                        ; implicit-def: $vgpr3
; %bb.27:
	s_andn2_saveexec_b64 s[2:3], s[2:3]
	s_cbranch_execz .LBB71_29
; %bb.28:
	s_movk_i32 s12, 0x84
	v_mad_u32_u24 v4, v12, s12, v15
	ds_read_b32 v13, v4
	v_mul_u32_u24_e32 v4, 0x84, v12
	s_waitcnt lgkmcnt(0)
	ds_write_b32 v3, v13 offset:12
.LBB71_29:
	s_or_b64 exec, exec, s[2:3]
	s_movk_i32 s2, 0x210
	v_mad_u32_u24 v3, v5, s2, v15
	s_movk_i32 s2, 0x84
	s_waitcnt lgkmcnt(0)
	s_barrier
	v_lshlrev_b32_e32 v23, 2, v16
	ds_read_b32 v3, v3
	ds_read_b128 v[24:27], v23 offset:4544
	v_mad_u32_u24 v12, v21, s2, v15
	ds_read2_b32 v[12:13], v12 offset1:33
	v_add_u32_e32 v20, v15, v4
	ds_read_b32 v4, v20
	s_waitcnt lgkmcnt(2)
	v_fma_f32 v3, v3, v24, 0
	v_mov_b32_e32 v30, 0
	s_waitcnt lgkmcnt(1)
	v_fmac_f32_e32 v3, v12, v25
	v_fmac_f32_e32 v3, v13, v26
	s_waitcnt lgkmcnt(0)
	v_fmac_f32_e32 v3, v4, v27
	v_mul_u32_u24_e32 v4, 33, v2
	v_lshlrev_b32_e32 v17, 2, v4
	v_lshl_add_u32 v19, v5, 2, v17
	v_cmp_gt_u32_e64 s[2:3], 32, v14
	s_barrier
	ds_write_b32 v19, v3
	s_waitcnt lgkmcnt(0)
	s_barrier
	s_and_saveexec_b64 s[12:13], s[2:3]
	s_cbranch_execz .LBB71_31
; %bb.30:
	ds_read2_b32 v[3:4], v17 offset1:1
	ds_read2_b32 v[12:13], v17 offset0:2 offset1:3
	ds_read2_b32 v[24:25], v17 offset0:4 offset1:5
	;; [unrolled: 1-line block ×3, first 2 shown]
	s_waitcnt lgkmcnt(3)
	v_add_f32_e32 v3, v3, v4
	s_waitcnt lgkmcnt(2)
	v_add_f32_e32 v3, v3, v12
	v_add_f32_e32 v3, v3, v13
	s_waitcnt lgkmcnt(1)
	v_add_f32_e32 v3, v3, v24
	;; [unrolled: 3-line block ×3, first 2 shown]
	v_add_f32_e32 v30, v3, v27
.LBB71_31:
	s_or_b64 exec, exec, s[12:13]
	s_lshl_b32 s26, s22, 5
	s_ashr_i32 s27, s26, 31
	s_lshl_b64 s[24:25], s[26:27], 2
	v_mov_b32_e32 v3, s25
	v_add_co_u32_e32 v12, vcc, s24, v10
	v_addc_co_u32_e32 v13, vcc, v11, v3, vcc
	v_add_co_u32_e32 v10, vcc, 0x80, v12
	v_addc_co_u32_e32 v11, vcc, 0, v13, vcc
	s_and_b64 vcc, exec, s[30:31]
	s_barrier
	s_cbranch_vccz .LBB71_41
; %bb.32:
	v_sub_co_u32_e32 v4, vcc, v12, v15
	s_ashr_i32 s17, s16, 31
	v_subbrev_co_u32_e32 v22, vcc, 0, v13, vcc
	s_lshl_b64 s[34:35], s[16:17], 2
	v_mov_b32_e32 v25, s35
	v_add_co_u32_e32 v4, vcc, s34, v4
	v_addc_co_u32_e32 v22, vcc, v22, v25, vcc
	v_or_b32_e32 v3, 32, v2
	v_add_co_u32_e32 v25, vcc, -4, v4
	v_addc_co_u32_e32 v4, vcc, -1, v22, vcc
	v_cmp_gt_i32_e64 s[12:13], s16, v3
	s_sub_i32 s17, s16, 32
	v_mov_b32_e32 v24, 0
	v_cndmask_b32_e64 v4, v4, v11, s[12:13]
	v_cndmask_b32_e64 v3, v25, v10, s[12:13]
	v_cmp_gt_i32_e32 vcc, s17, v5
	v_mov_b32_e32 v25, 0
	s_and_saveexec_b64 s[36:37], vcc
	s_cbranch_execz .LBB71_34
; %bb.33:
	global_load_dword v25, v[3:4], off
.LBB71_34:
	s_or_b64 exec, exec, s[36:37]
	s_movk_i32 s23, 0x84
	v_mad_u32_u24 v26, v5, s23, v15
	s_waitcnt vmcnt(0)
	ds_write_b32 v26, v25
	v_add_u32_e32 v25, 8, v5
	v_mul_u32_u24_e32 v22, 0x84, v5
	v_cmp_gt_i32_e32 vcc, s17, v25
	s_and_saveexec_b64 s[36:37], vcc
	s_cbranch_execz .LBB71_36
; %bb.35:
	s_lshl_b32 s42, s22, 3
	s_ashr_i32 s43, s42, 31
	s_lshl_b64 s[42:43], s[42:43], 2
	v_mov_b32_e32 v25, s43
	v_add_co_u32_e32 v24, vcc, s42, v3
	v_addc_co_u32_e32 v25, vcc, v4, v25, vcc
	global_load_dword v24, v[24:25], off
.LBB71_36:
	s_or_b64 exec, exec, s[36:37]
	v_add_u32_e32 v22, v22, v15
	s_waitcnt vmcnt(0)
	ds_write_b32 v22, v24 offset:1056
	v_add_u32_e32 v24, 16, v5
	v_cmp_gt_i32_e32 vcc, s17, v24
	v_mov_b32_e32 v24, 0
	v_mov_b32_e32 v25, 0
	s_and_saveexec_b64 s[36:37], vcc
	s_cbranch_execz .LBB71_38
; %bb.37:
	s_lshl_b32 s42, s22, 4
	s_ashr_i32 s43, s42, 31
	s_lshl_b64 s[42:43], s[42:43], 2
	v_mov_b32_e32 v26, s43
	v_add_co_u32_e32 v25, vcc, s42, v3
	v_addc_co_u32_e32 v26, vcc, v4, v26, vcc
	global_load_dword v25, v[25:26], off
.LBB71_38:
	s_or_b64 exec, exec, s[36:37]
	s_waitcnt vmcnt(0)
	ds_write_b32 v22, v25 offset:2112
	v_add_u32_e32 v25, 24, v5
	v_cmp_gt_i32_e32 vcc, s17, v25
	s_and_saveexec_b64 s[36:37], vcc
	s_cbranch_execz .LBB71_40
; %bb.39:
	s_mul_i32 s42, s22, 24
	s_ashr_i32 s43, s42, 31
	s_lshl_b64 s[42:43], s[42:43], 2
	v_mov_b32_e32 v25, s43
	v_add_co_u32_e32 v24, vcc, s42, v3
	v_addc_co_u32_e32 v25, vcc, v4, v25, vcc
	global_load_dword v24, v[24:25], off
.LBB71_40:
	s_or_b64 exec, exec, s[36:37]
	v_add_co_u32_e32 v3, vcc, v3, v15
	v_addc_co_u32_e32 v4, vcc, 0, v4, vcc
	s_waitcnt vmcnt(0)
	ds_write_b32 v22, v24 offset:3168
	v_mov_b32_e32 v22, s35
	v_subrev_co_u32_e32 v3, vcc, s34, v3
	v_subb_co_u32_e32 v4, vcc, v4, v22, vcc
	v_add_co_u32_e32 v3, vcc, 0x84, v3
	v_addc_co_u32_e32 v4, vcc, 0, v4, vcc
	v_cndmask_b32_e64 v4, v4, v11, s[12:13]
	v_cndmask_b32_e64 v3, v3, v10, s[12:13]
	v_mul_u32_u24_e32 v22, 0x210, v5
	s_branch .LBB71_43
.LBB71_41:
                                        ; implicit-def: $vgpr3_vgpr4
	v_mul_u32_u24_e32 v22, 0x210, v5
	s_cbranch_execz .LBB71_43
; %bb.42:
	s_lshl_b32 s12, s22, 3
	s_ashr_i32 s13, s12, 31
	s_lshl_b64 s[12:13], s[12:13], 2
	v_mov_b32_e32 v4, s13
	v_add_co_u32_e32 v3, vcc, s12, v12
	s_ashr_i32 s23, s22, 31
	v_addc_co_u32_e32 v4, vcc, v13, v4, vcc
	s_lshl_b64 s[12:13], s[22:23], 5
	v_mov_b32_e32 v27, s13
	v_add_co_u32_e32 v24, vcc, s12, v3
	v_addc_co_u32_e32 v25, vcc, v4, v27, vcc
	v_add_co_u32_e32 v26, vcc, s12, v24
	v_addc_co_u32_e32 v27, vcc, v25, v27, vcc
	global_load_dword v28, v[12:13], off offset:128
	global_load_dword v29, v[3:4], off offset:128
	;; [unrolled: 1-line block ×4, first 2 shown]
	s_movk_i32 s12, 0x84
	v_mad_u32_u24 v3, v5, s12, v15
	s_waitcnt vmcnt(3)
	ds_write_b32 v3, v28
	s_waitcnt vmcnt(2)
	ds_write_b32 v3, v29 offset:1056
	s_waitcnt vmcnt(1)
	ds_write_b32 v3, v31 offset:2112
	;; [unrolled: 2-line block ×3, first 2 shown]
	v_mov_b32_e32 v3, v10
	v_mov_b32_e32 v4, v11
.LBB71_43:
	v_mul_u32_u24_e32 v11, 0x84, v21
	v_add_u32_e32 v21, v15, v22
	v_lshl_add_u32 v10, v16, 2, v17
	s_waitcnt lgkmcnt(0)
	s_barrier
	s_and_saveexec_b64 s[12:13], s[4:5]
	s_cbranch_execnz .LBB71_60
; %bb.44:
	s_or_b64 exec, exec, s[12:13]
	v_add_u32_e32 v22, v15, v11
	s_and_saveexec_b64 s[4:5], s[14:15]
	s_cbranch_execnz .LBB71_61
.LBB71_45:
	s_or_b64 exec, exec, s[4:5]
	s_and_saveexec_b64 s[4:5], s[8:9]
	s_cbranch_execnz .LBB71_62
.LBB71_46:
	s_or_b64 exec, exec, s[4:5]
	v_add_u32_e32 v23, 0x11c0, v23
	s_and_saveexec_b64 s[4:5], s[10:11]
	s_cbranch_execz .LBB71_48
.LBB71_47:
	ds_read_b32 v11, v20
	s_waitcnt lgkmcnt(0)
	ds_write_b32 v10, v11 offset:12
.LBB71_48:
	s_or_b64 exec, exec, s[4:5]
	s_waitcnt lgkmcnt(0)
	s_barrier
	ds_read_b32 v26, v21
	ds_read_b128 v[10:13], v23 offset:128
	ds_read2_b32 v[24:25], v22 offset1:33
	ds_read_b32 v27, v20
	v_cmp_eq_u32_e64 s[4:5], 1, v5
	s_waitcnt lgkmcnt(0)
	v_fma_f32 v10, v26, v10, 0
	v_fmac_f32_e32 v10, v24, v11
	v_fmac_f32_e32 v10, v25, v12
	;; [unrolled: 1-line block ×3, first 2 shown]
	s_barrier
	ds_write_b32 v19, v10
	s_waitcnt lgkmcnt(0)
	s_barrier
	s_and_saveexec_b64 s[8:9], s[4:5]
	s_cbranch_execz .LBB71_50
; %bb.49:
	ds_read2_b32 v[10:11], v17 offset1:1
	ds_read2_b32 v[12:13], v17 offset0:2 offset1:3
	ds_read2_b32 v[24:25], v17 offset0:4 offset1:5
	;; [unrolled: 1-line block ×3, first 2 shown]
	s_waitcnt lgkmcnt(3)
	v_add_f32_e32 v10, v10, v11
	s_waitcnt lgkmcnt(2)
	v_add_f32_e32 v10, v10, v12
	v_add_f32_e32 v10, v10, v13
	s_waitcnt lgkmcnt(1)
	v_add_f32_e32 v10, v10, v24
	v_add_f32_e32 v10, v10, v25
	s_waitcnt lgkmcnt(0)
	v_add_f32_e32 v10, v10, v26
	v_add_f32_e32 v30, v10, v27
.LBB71_50:
	s_or_b64 exec, exec, s[8:9]
	v_add_co_u32_e32 v12, vcc, 0xffffff80, v3
	v_addc_co_u32_e32 v13, vcc, -1, v4, vcc
	s_and_b64 vcc, exec, s[30:31]
	s_barrier
	s_cbranch_vccz .LBB71_63
; %bb.51:
	v_sub_co_u32_e32 v10, vcc, v3, v15
	s_ashr_i32 s17, s16, 31
	v_subbrev_co_u32_e32 v11, vcc, 0, v4, vcc
	s_lshl_b64 s[10:11], s[16:17], 2
	v_mov_b32_e32 v25, s11
	v_add_co_u32_e32 v10, vcc, s10, v10
	v_addc_co_u32_e32 v11, vcc, v11, v25, vcc
	v_add_co_u32_e32 v10, vcc, 0xffffff7c, v10
	v_addc_co_u32_e32 v11, vcc, -1, v11, vcc
	v_cmp_gt_i32_e32 vcc, s16, v2
	s_sub_i32 s14, s16, 32
	v_mov_b32_e32 v24, 0
	v_cndmask_b32_e32 v11, v11, v13, vcc
	v_cndmask_b32_e32 v10, v10, v12, vcc
	v_cmp_gt_i32_e64 s[8:9], s14, v5
	v_mov_b32_e32 v2, 0
	s_and_saveexec_b64 s[12:13], s[8:9]
	s_cbranch_execz .LBB71_53
; %bb.52:
	global_load_dword v2, v[10:11], off
.LBB71_53:
	s_or_b64 exec, exec, s[12:13]
	s_movk_i32 s8, 0x84
	v_mad_u32_u24 v26, v5, s8, v15
	s_waitcnt vmcnt(0)
	ds_write_b32 v26, v2
	v_add_u32_e32 v2, 8, v5
	v_mul_u32_u24_e32 v25, 0x84, v5
	v_cmp_gt_i32_e64 s[8:9], s14, v2
	s_and_saveexec_b64 s[12:13], s[8:9]
	s_cbranch_execz .LBB71_55
; %bb.54:
	s_lshl_b32 s8, s22, 3
	s_ashr_i32 s9, s8, 31
	s_lshl_b64 s[8:9], s[8:9], 2
	v_mov_b32_e32 v24, s9
	v_add_co_u32_e64 v26, s[8:9], s8, v10
	v_addc_co_u32_e64 v27, s[8:9], v11, v24, s[8:9]
	global_load_dword v24, v[26:27], off
.LBB71_55:
	s_or_b64 exec, exec, s[12:13]
	v_add_u32_e32 v26, v25, v15
	s_waitcnt vmcnt(0)
	ds_write_b32 v26, v24 offset:1056
	v_add_u32_e32 v24, 16, v5
	v_cmp_gt_i32_e64 s[8:9], s14, v24
	v_mov_b32_e32 v27, 0
	v_mov_b32_e32 v25, 0
	s_and_saveexec_b64 s[12:13], s[8:9]
	s_cbranch_execz .LBB71_57
; %bb.56:
	s_lshl_b32 s8, s22, 4
	s_ashr_i32 s9, s8, 31
	s_lshl_b64 s[8:9], s[8:9], 2
	v_mov_b32_e32 v25, s9
	v_add_co_u32_e64 v28, s[8:9], s8, v10
	v_addc_co_u32_e64 v29, s[8:9], v11, v25, s[8:9]
	global_load_dword v25, v[28:29], off
.LBB71_57:
	s_or_b64 exec, exec, s[12:13]
	s_waitcnt vmcnt(0)
	ds_write_b32 v26, v25 offset:2112
	v_add_u32_e32 v25, 24, v5
	v_cmp_gt_i32_e64 s[8:9], s14, v25
	s_and_saveexec_b64 s[12:13], s[8:9]
	s_cbranch_execz .LBB71_59
; %bb.58:
	s_mul_i32 s8, s22, 24
	s_ashr_i32 s9, s8, 31
	s_lshl_b64 s[8:9], s[8:9], 2
	v_mov_b32_e32 v28, s9
	v_add_co_u32_e64 v27, s[8:9], s8, v10
	v_addc_co_u32_e64 v28, s[8:9], v11, v28, s[8:9]
	global_load_dword v27, v[27:28], off
.LBB71_59:
	s_or_b64 exec, exec, s[12:13]
	v_add_co_u32_e64 v10, s[8:9], v10, v15
	v_addc_co_u32_e64 v11, s[8:9], 0, v11, s[8:9]
	s_waitcnt vmcnt(0)
	ds_write_b32 v26, v27 offset:3168
	v_mov_b32_e32 v26, s11
	v_subrev_co_u32_e64 v10, s[8:9], s10, v10
	v_subb_co_u32_e64 v11, s[8:9], v11, v26, s[8:9]
	v_add_co_u32_e64 v10, s[8:9], 4, v10
	v_addc_co_u32_e64 v11, s[8:9], 0, v11, s[8:9]
	v_cndmask_b32_e32 v11, v11, v13, vcc
	v_cndmask_b32_e32 v10, v10, v12, vcc
	s_branch .LBB71_65
.LBB71_60:
	ds_read_b32 v12, v21
	s_waitcnt lgkmcnt(0)
	ds_write_b32 v10, v12
	s_or_b64 exec, exec, s[12:13]
	v_add_u32_e32 v22, v15, v11
	s_and_saveexec_b64 s[4:5], s[14:15]
	s_cbranch_execz .LBB71_45
.LBB71_61:
	ds_read_b32 v11, v22
	s_waitcnt lgkmcnt(0)
	ds_write_b32 v10, v11 offset:4
	s_or_b64 exec, exec, s[4:5]
	s_and_saveexec_b64 s[4:5], s[8:9]
	s_cbranch_execz .LBB71_46
.LBB71_62:
	ds_read_b32 v11, v22 offset:132
	s_waitcnt lgkmcnt(0)
	ds_write_b32 v10, v11 offset:8
	s_or_b64 exec, exec, s[4:5]
	v_add_u32_e32 v23, 0x11c0, v23
	s_and_saveexec_b64 s[4:5], s[10:11]
	s_cbranch_execnz .LBB71_47
	s_branch .LBB71_48
.LBB71_63:
                                        ; implicit-def: $vgpr10_vgpr11
                                        ; implicit-def: $vgpr2
                                        ; implicit-def: $vgpr24
                                        ; implicit-def: $vgpr25
	s_cbranch_execz .LBB71_65
; %bb.64:
	s_lshl_b32 s8, s22, 3
	s_ashr_i32 s9, s8, 31
	s_lshl_b64 s[8:9], s[8:9], 2
	v_mov_b32_e32 v2, s9
	v_add_co_u32_e32 v10, vcc, s8, v3
	s_ashr_i32 s23, s22, 31
	v_addc_co_u32_e32 v11, vcc, v4, v2, vcc
	s_lshl_b64 s[8:9], s[22:23], 5
	v_mov_b32_e32 v2, s9
	v_add_co_u32_e32 v24, vcc, s8, v10
	v_addc_co_u32_e32 v25, vcc, v11, v2, vcc
	v_add_co_u32_e32 v26, vcc, s8, v24
	v_addc_co_u32_e32 v27, vcc, v25, v2, vcc
	global_load_dword v28, v[3:4], off offset:-128
	global_load_dword v29, v[10:11], off offset:-128
	;; [unrolled: 1-line block ×4, first 2 shown]
	s_movk_i32 s8, 0x84
	v_mov_b32_e32 v10, v12
	v_add_u32_e32 v2, 8, v5
	v_add_u32_e32 v24, 16, v5
	;; [unrolled: 1-line block ×3, first 2 shown]
	v_mad_u32_u24 v3, v5, s8, v15
	v_mov_b32_e32 v11, v13
	s_waitcnt vmcnt(3)
	ds_write_b32 v3, v28
	s_waitcnt vmcnt(2)
	ds_write_b32 v3, v29 offset:1056
	s_waitcnt vmcnt(1)
	ds_write_b32 v3, v31 offset:2112
	s_waitcnt vmcnt(0)
	ds_write_b32 v3, v32 offset:3168
.LBB71_65:
	v_add_u32_e32 v3, v17, v16
	s_waitcnt lgkmcnt(0)
	s_barrier
	ds_read_b32 v26, v3
	ds_read_b32 v27, v16 offset:4544
	v_lshlrev_b32_e32 v2, 2, v2
	v_lshlrev_b32_e32 v4, 2, v24
	;; [unrolled: 1-line block ×3, first 2 shown]
	v_add_u32_e32 v3, v17, v2
	v_add_u32_e32 v5, v17, v4
	;; [unrolled: 1-line block ×3, first 2 shown]
	ds_read_b32 v24, v3
	ds_read_b32 v25, v5
	;; [unrolled: 1-line block ×4, first 2 shown]
	ds_read_b32 v21, v12 offset:4544
	ds_read_b32 v29, v4 offset:4544
	;; [unrolled: 1-line block ×3, first 2 shown]
	ds_read2_b32 v[12:13], v22 offset1:33
	ds_read_b128 v[2:5], v23 offset:128
	ds_read_b32 v16, v20
	s_waitcnt lgkmcnt(10)
	v_fma_f32 v20, v26, v27, 0
	s_waitcnt lgkmcnt(3)
	v_fmac_f32_e32 v20, v24, v31
	v_fmac_f32_e32 v20, v25, v29
	;; [unrolled: 1-line block ×3, first 2 shown]
	s_waitcnt lgkmcnt(0)
	s_barrier
	ds_write_b32 v19, v20
	s_waitcnt lgkmcnt(0)
	s_barrier
	s_and_saveexec_b64 s[8:9], s[4:5]
	s_cbranch_execz .LBB71_67
; %bb.66:
	ds_read2_b32 v[20:21], v17 offset1:1
	ds_read2_b32 v[22:23], v17 offset0:2 offset1:3
	ds_read2_b32 v[24:25], v17 offset0:4 offset1:5
	;; [unrolled: 1-line block ×3, first 2 shown]
	s_waitcnt lgkmcnt(3)
	v_add_f32_e32 v20, v30, v20
	v_add_f32_e32 v20, v20, v21
	s_waitcnt lgkmcnt(2)
	v_add_f32_e32 v20, v20, v22
	v_add_f32_e32 v20, v20, v23
	;; [unrolled: 3-line block ×4, first 2 shown]
.LBB71_67:
	s_or_b64 exec, exec, s[8:9]
	v_fma_f32 v2, v15, v2, 0
	v_fmac_f32_e32 v2, v12, v3
	v_fmac_f32_e32 v2, v13, v4
	;; [unrolled: 1-line block ×3, first 2 shown]
	s_barrier
	ds_write_b32 v19, v2
	s_waitcnt lgkmcnt(0)
	s_barrier
	s_and_saveexec_b64 s[4:5], s[2:3]
	s_cbranch_execz .LBB71_69
; %bb.68:
	ds_read2_b32 v[2:3], v17 offset1:1
	ds_read2_b32 v[4:5], v17 offset0:2 offset1:3
	ds_read2_b32 v[12:13], v17 offset0:4 offset1:5
	;; [unrolled: 1-line block ×3, first 2 shown]
	s_waitcnt lgkmcnt(3)
	v_add_f32_e32 v2, v30, v2
	v_add_f32_e32 v2, v2, v3
	s_waitcnt lgkmcnt(2)
	v_add_f32_e32 v2, v2, v4
	v_add_f32_e32 v2, v2, v5
	;; [unrolled: 3-line block ×4, first 2 shown]
.LBB71_69:
	s_or_b64 exec, exec, s[4:5]
	s_mul_hi_u32 s2, s40, s7
	s_mul_i32 s41, s41, s7
	s_add_i32 s2, s2, s41
	s_mul_i32 s4, s40, s7
	s_mul_i32 s2, s2, s33
	s_mul_hi_u32 s3, s4, s33
	s_add_i32 s3, s3, s2
	s_mul_i32 s2, s4, s33
	s_lshl_b64 s[2:3], s[2:3], 2
	s_add_u32 s4, s18, s2
	s_addc_u32 s5, s19, s3
	s_mul_hi_i32 s3, s40, s6
	s_mul_i32 s2, s40, s6
	s_lshl_b64 s[2:3], s[2:3], 2
	s_add_u32 s7, s4, s2
	s_addc_u32 s17, s5, s3
	s_add_i32 s4, s6, 1
	s_cmp_ge_u32 s4, s33
	v_lshlrev_b32_e32 v31, 2, v0
	s_barrier
	s_cbranch_scc1 .LBB71_126
; %bb.70:
	s_mul_i32 s2, s39, s28
	s_ashr_i32 s3, s2, 31
	s_lshl_b64 s[2:3], s[2:3], 2
	v_lshlrev_b32_e32 v32, 2, v1
	v_subrev_co_u32_e32 v33, vcc, s2, v8
	s_lshl_b32 s2, s22, 4
	v_mov_b32_e32 v4, s3
	v_mad_u64_u32 v[2:3], s[8:9], s22, v32, v[0:1]
	s_lshl_b32 s29, s39, 6
	s_ashr_i32 s3, s2, 31
	s_ashr_i32 s23, s22, 31
	s_lshl_b32 s14, s22, 1
	s_mul_i32 s18, s22, 3
	s_mul_i32 s39, s39, s4
	s_add_i32 s28, s33, -2
	s_ashr_i32 s15, s14, 31
	s_ashr_i32 s19, s18, 31
	s_lshl_b64 s[12:13], s[22:23], 2
	s_lshl_b32 s8, s39, 6
	s_lshl_b64 s[10:11], s[2:3], 4
	s_lshl_b64 s[4:5], s[22:23], 3
	s_add_u32 s9, s4, s24
	s_addc_u32 s30, s5, s25
	s_add_u32 s31, s12, s24
	s_addc_u32 s34, s13, s25
	s_lshl_b64 s[14:15], s[14:15], 2
	s_add_u32 s35, s24, s14
	s_addc_u32 s36, s25, s15
	s_lshl_b64 s[18:19], s[18:19], 2
	s_add_u32 s37, s24, s18
	s_addc_u32 s43, s25, s19
	s_lshl_b64 s[40:41], s[2:3], 2
	s_add_u32 s44, s24, s40
	s_addc_u32 s45, s25, s41
	s_add_u32 s46, s31, s40
	s_addc_u32 s47, s34, s41
	;; [unrolled: 2-line block ×4, first 2 shown]
	s_add_u32 s40, s9, s40
	v_subb_co_u32_e32 v34, vcc, v9, v4, vcc
	s_addc_u32 s41, s30, s41
	v_ashrrev_i32_e32 v3, 31, v2
	v_mov_b32_e32 v5, s27
	v_add_co_u32_e32 v4, vcc, s26, v2
	s_add_u32 s26, s26, s2
	v_addc_co_u32_e32 v5, vcc, v5, v3, vcc
	s_addc_u32 s27, s27, s3
	v_lshlrev_b64 v[4:5], 2, v[4:5]
	v_mov_b32_e32 v9, s27
	v_add_co_u32_e32 v8, vcc, s26, v2
	v_addc_co_u32_e32 v9, vcc, v9, v3, vcc
	v_lshlrev_b64 v[8:9], 2, v[8:9]
	v_mad_i64_i32 v[12:13], s[26:27], s2, 12, v[4:5]
	s_mul_hi_i32 s39, s22, 12
	s_mul_i32 s42, s22, 12
	v_mov_b32_e32 v15, s39
	v_add_co_u32_e32 v16, vcc, s42, v8
	s_lshl_b64 s[26:27], s[2:3], 3
	v_addc_co_u32_e32 v15, vcc, v15, v9, vcc
	s_add_u32 s52, s26, s24
	v_mov_b32_e32 v8, s13
	v_add_co_u32_e32 v17, vcc, s12, v12
	s_addc_u32 s53, s27, s25
	v_addc_co_u32_e32 v19, vcc, v13, v8, vcc
	s_add_u32 s12, s52, s12
	v_mov_b32_e32 v8, s15
	v_add_co_u32_e32 v20, vcc, s14, v12
	s_addc_u32 s13, s53, s13
	;; [unrolled: 5-line block ×3, first 2 shown]
	v_addc_co_u32_e32 v23, vcc, v13, v8, vcc
	s_add_u32 s18, s52, s18
	v_add_co_u32_e32 v35, vcc, v10, v12
	s_addc_u32 s19, s53, s19
	v_addc_co_u32_e32 v36, vcc, v11, v13, vcc
	s_add_u32 s54, s9, s26
	v_mov_b32_e32 v8, s39
	v_add_co_u32_e32 v12, vcc, s42, v4
	s_addc_u32 s55, s30, s27
	v_addc_co_u32_e32 v13, vcc, v8, v5, vcc
	s_add_u32 s26, s42, s26
	s_addc_u32 s27, s39, s27
	v_add_co_u32_e32 v24, vcc, s26, v4
	s_mul_i32 s26, s22, 0xc0
	v_mov_b32_e32 v8, s27
	s_mul_hi_i32 s27, s2, 12
	s_add_u32 s26, s26, s4
	s_addc_u32 s4, s27, s5
	s_add_u32 s2, s22, s2
	v_addc_co_u32_e32 v25, vcc, v8, v5, vcc
	v_mov_b32_e32 v26, s4
	v_mad_u64_u32 v[8:9], s[4:5], s2, 12, v[4:5]
	v_add_co_u32_e32 v27, vcc, s26, v4
	s_addc_u32 s2, s23, s3
	v_mov_b32_e32 v4, v9
	v_addc_co_u32_e32 v26, vcc, v26, v5, vcc
	v_mad_u64_u32 v[4:5], s[2:3], s2, 12, v[4:5]
	v_add_co_u32_e32 v37, vcc, v10, v8
	v_addc_co_u32_e32 v38, vcc, v11, v4, vcc
	v_mov_b32_e32 v4, s25
	v_add_co_u32_e32 v39, vcc, s24, v10
	v_addc_co_u32_e32 v40, vcc, v11, v4, vcc
	v_mov_b32_e32 v4, s30
	v_add_co_u32_e32 v41, vcc, s9, v10
	v_addc_co_u32_e32 v42, vcc, v11, v4, vcc
	v_add_co_u32_e32 v43, vcc, v10, v12
	v_addc_co_u32_e32 v44, vcc, v11, v13, vcc
	v_mov_b32_e32 v4, s34
	v_add_co_u32_e32 v45, vcc, s31, v10
	v_addc_co_u32_e32 v46, vcc, v11, v4, vcc
	v_mov_b32_e32 v4, s36
	;; [unrolled: 3-line block ×8, first 2 shown]
	v_add_co_u32_e32 v59, vcc, s40, v10
	v_addc_co_u32_e32 v60, vcc, v11, v4, vcc
	v_add_co_u32_e32 v61, vcc, v10, v16
	v_addc_co_u32_e32 v62, vcc, v11, v15, vcc
	v_mov_b32_e32 v4, s53
	v_add_co_u32_e32 v63, vcc, s52, v10
	v_addc_co_u32_e32 v64, vcc, v11, v4, vcc
	v_mov_b32_e32 v4, s13
	;; [unrolled: 3-line block ×5, first 2 shown]
	v_add_co_u32_e32 v71, vcc, s54, v10
	v_addc_co_u32_e32 v72, vcc, v11, v4, vcc
	v_add_co_u32_e32 v73, vcc, v10, v24
	v_addc_co_u32_e32 v74, vcc, v11, v25, vcc
	;; [unrolled: 2-line block ×5, first 2 shown]
	v_add_co_u32_e32 v81, vcc, v10, v27
	v_lshlrev_b64 v[2:3], 2, v[2:3]
	v_addc_co_u32_e32 v82, vcc, v11, v26, vcc
	v_sub_co_u32_e32 v83, vcc, v2, v6
	v_lshrrev_b32_e32 v2, 2, v14
	v_subb_co_u32_e32 v84, vcc, v3, v7, vcc
	s_movk_i32 s2, 0x10c
	v_and_b32_e32 v2, 0x1ffc, v2
	v_and_b32_e32 v3, 15, v0
	v_mad_u32_u24 v87, v3, s2, v2
	v_and_b32_e32 v2, 48, v0
	v_lshlrev_b32_e32 v2, 2, v2
	v_mad_u32_u24 v88, v3, s2, v2
	v_or_b32_e32 v2, 60, v31
	v_mad_u32_u24 v89, v3, s2, v2
	v_mul_u32_u24_e32 v2, 0x10c, v3
	v_and_b32_e32 v3, 0x7ff0, v14
	v_sub_co_u32_e32 v85, vcc, 0, v6
	v_add_u32_e32 v90, v2, v3
	v_mov_b32_e32 v2, 0x10c0
	s_movk_i32 s4, 0x430
	v_subb_co_u32_e32 v86, vcc, 0, v7, vcc
	v_cmp_gt_u32_e64 s[2:3], 64, v14
	v_lshl_add_u32 v91, v1, 4, v2
	v_add_u32_e32 v92, 0x10c0, v31
	v_add_u32_e32 v93, 0x11c0, v31
	v_mad_u32_u24 v94, v1, s4, v31
	v_or_b32_e32 v95, 1, v32
	v_or_b32_e32 v96, 2, v32
	;; [unrolled: 1-line block ×3, first 2 shown]
	v_add_u32_e32 v98, 16, v32
	v_add_u32_e32 v99, 17, v32
	;; [unrolled: 1-line block ×13, first 2 shown]
	s_cmp_eq_u32 s28, s6
	s_cselect_b32 s18, s38, 0
	s_and_saveexec_b64 s[4:5], s[0:1]
	s_cbranch_execz .LBB71_74
.LBB71_71:
	s_cmp_eq_u32 s18, 0
	s_cselect_b64 s[12:13], -1, 0
	v_cmp_gt_i32_e32 vcc, s18, v0
	s_or_b64 s[14:15], s[12:13], vcc
	v_mov_b32_e32 v2, 0
	s_and_saveexec_b64 s[12:13], s[14:15]
	s_cbranch_execz .LBB71_73
; %bb.72:
	s_ashr_i32 s9, s8, 31
	s_lshl_b64 s[14:15], s[8:9], 2
	v_mov_b32_e32 v3, s15
	v_add_co_u32_e32 v2, vcc, s14, v33
	v_addc_co_u32_e32 v3, vcc, v34, v3, vcc
	global_load_dword v2, v[2:3], off
.LBB71_73:
	s_or_b64 exec, exec, s[12:13]
	s_waitcnt vmcnt(0)
	ds_write_b32 v92, v2
.LBB71_74:                              ; =>This Inner Loop Header: Depth=1
	s_or_b64 exec, exec, s[4:5]
	s_cmp_eq_u32 s18, 0
	v_add_co_u32_e32 v2, vcc, v39, v83
	s_cselect_b64 s[12:13], -1, 0
	s_cmp_lg_u32 s18, 0
	v_addc_co_u32_e32 v3, vcc, v40, v84, vcc
	s_cselect_b64 s[14:15], -1, 0
	s_mov_b64 s[4:5], -1
	s_and_b64 vcc, exec, s[14:15]
	s_waitcnt lgkmcnt(0)
	s_barrier
                                        ; implicit-def: $vgpr113
                                        ; implicit-def: $vgpr112
                                        ; implicit-def: $vgpr111
                                        ; implicit-def: $vgpr110
	s_cbranch_vccz .LBB71_84
; %bb.75:                               ;   in Loop: Header=BB71_74 Depth=1
	v_cmp_gt_i32_e32 vcc, s18, v32
	v_mov_b32_e32 v111, 0
	v_mov_b32_e32 v110, 0
	s_and_saveexec_b64 s[4:5], vcc
	s_cbranch_execz .LBB71_77
; %bb.76:                               ;   in Loop: Header=BB71_74 Depth=1
	global_load_dword v110, v[2:3], off
.LBB71_77:                              ;   in Loop: Header=BB71_74 Depth=1
	s_or_b64 exec, exec, s[4:5]
	v_cmp_gt_i32_e32 vcc, s18, v95
	s_and_saveexec_b64 s[4:5], vcc
	s_cbranch_execz .LBB71_79
; %bb.78:                               ;   in Loop: Header=BB71_74 Depth=1
	v_add_co_u32_e32 v4, vcc, v45, v83
	v_addc_co_u32_e32 v5, vcc, v46, v84, vcc
	global_load_dword v111, v[4:5], off
.LBB71_79:                              ;   in Loop: Header=BB71_74 Depth=1
	s_or_b64 exec, exec, s[4:5]
	v_cmp_gt_i32_e32 vcc, s18, v96
	v_mov_b32_e32 v113, 0
	v_mov_b32_e32 v112, 0
	s_and_saveexec_b64 s[4:5], vcc
	s_cbranch_execz .LBB71_81
; %bb.80:                               ;   in Loop: Header=BB71_74 Depth=1
	v_add_co_u32_e32 v4, vcc, v47, v83
	v_addc_co_u32_e32 v5, vcc, v48, v84, vcc
	global_load_dword v112, v[4:5], off
.LBB71_81:                              ;   in Loop: Header=BB71_74 Depth=1
	s_or_b64 exec, exec, s[4:5]
	v_cmp_gt_i32_e32 vcc, s18, v97
	s_and_saveexec_b64 s[4:5], vcc
	s_cbranch_execz .LBB71_83
; %bb.82:                               ;   in Loop: Header=BB71_74 Depth=1
	v_add_co_u32_e32 v4, vcc, v49, v83
	v_addc_co_u32_e32 v5, vcc, v50, v84, vcc
	global_load_dword v113, v[4:5], off
.LBB71_83:                              ;   in Loop: Header=BB71_74 Depth=1
	s_or_b64 exec, exec, s[4:5]
	s_mov_b64 s[4:5], 0
.LBB71_84:                              ;   in Loop: Header=BB71_74 Depth=1
	s_and_b64 vcc, exec, s[4:5]
	s_cbranch_vccz .LBB71_86
; %bb.85:                               ;   in Loop: Header=BB71_74 Depth=1
	global_load_dword v110, v[2:3], off
	v_add_co_u32_e32 v2, vcc, v45, v83
	v_addc_co_u32_e32 v3, vcc, v46, v84, vcc
	global_load_dword v111, v[2:3], off
	v_add_co_u32_e32 v2, vcc, v41, v83
	v_addc_co_u32_e32 v3, vcc, v42, v84, vcc
	;; [unrolled: 3-line block ×3, first 2 shown]
	global_load_dword v113, v[2:3], off
.LBB71_86:                              ;   in Loop: Header=BB71_74 Depth=1
	ds_read_b32 v6, v93
	ds_read_b128 v[2:5], v91
                                        ; implicit-def: $vgpr117
                                        ; implicit-def: $vgpr116
                                        ; implicit-def: $vgpr115
                                        ; implicit-def: $vgpr114
	s_waitcnt vmcnt(0) lgkmcnt(1)
	v_mul_f32_e32 v7, v110, v6
	v_mul_f32_e32 v8, v111, v6
	;; [unrolled: 1-line block ×4, first 2 shown]
	ds_write2_b32 v94, v7, v8 offset1:67
	ds_write2_b32 v94, v9, v6 offset0:134 offset1:201
	s_waitcnt lgkmcnt(0)
	s_barrier
	ds_read2_b32 v[22:23], v90 offset1:1
	ds_read2_b32 v[20:21], v90 offset0:2 offset1:3
	v_add_co_u32_e32 v6, vcc, v51, v83
	v_addc_co_u32_e32 v7, vcc, v52, v84, vcc
	v_cndmask_b32_e64 v8, 0, 1, s[14:15]
	v_cmp_ne_u32_e64 s[4:5], 1, v8
	s_andn2_b64 vcc, exec, s[14:15]
	s_mov_b64 s[14:15], -1
	s_waitcnt lgkmcnt(0)
	s_barrier
	s_cbranch_vccnz .LBB71_96
; %bb.87:                               ;   in Loop: Header=BB71_74 Depth=1
	v_cmp_gt_i32_e32 vcc, s18, v98
	v_mov_b32_e32 v115, 0
	v_mov_b32_e32 v114, 0
	s_and_saveexec_b64 s[14:15], vcc
	s_cbranch_execz .LBB71_89
; %bb.88:                               ;   in Loop: Header=BB71_74 Depth=1
	global_load_dword v114, v[6:7], off
.LBB71_89:                              ;   in Loop: Header=BB71_74 Depth=1
	s_or_b64 exec, exec, s[14:15]
	v_cmp_gt_i32_e32 vcc, s18, v99
	s_and_saveexec_b64 s[14:15], vcc
	s_cbranch_execz .LBB71_91
; %bb.90:                               ;   in Loop: Header=BB71_74 Depth=1
	v_add_co_u32_e32 v8, vcc, v53, v83
	v_addc_co_u32_e32 v9, vcc, v54, v84, vcc
	global_load_dword v115, v[8:9], off
.LBB71_91:                              ;   in Loop: Header=BB71_74 Depth=1
	s_or_b64 exec, exec, s[14:15]
	v_cmp_gt_i32_e32 vcc, s18, v100
	v_mov_b32_e32 v117, 0
	v_mov_b32_e32 v116, 0
	s_and_saveexec_b64 s[14:15], vcc
	s_cbranch_execz .LBB71_93
; %bb.92:                               ;   in Loop: Header=BB71_74 Depth=1
	v_add_co_u32_e32 v8, vcc, v55, v83
	v_addc_co_u32_e32 v9, vcc, v56, v84, vcc
	global_load_dword v116, v[8:9], off
.LBB71_93:                              ;   in Loop: Header=BB71_74 Depth=1
	s_or_b64 exec, exec, s[14:15]
	v_cmp_gt_i32_e32 vcc, s18, v101
	s_and_saveexec_b64 s[14:15], vcc
	s_cbranch_execz .LBB71_95
; %bb.94:                               ;   in Loop: Header=BB71_74 Depth=1
	v_add_co_u32_e32 v8, vcc, v57, v83
	v_addc_co_u32_e32 v9, vcc, v58, v84, vcc
	global_load_dword v117, v[8:9], off
.LBB71_95:                              ;   in Loop: Header=BB71_74 Depth=1
	s_or_b64 exec, exec, s[14:15]
	s_mov_b64 s[14:15], 0
.LBB71_96:                              ;   in Loop: Header=BB71_74 Depth=1
	s_and_b64 vcc, exec, s[14:15]
	s_cbranch_vccz .LBB71_98
; %bb.97:                               ;   in Loop: Header=BB71_74 Depth=1
	global_load_dword v114, v[6:7], off
	v_add_co_u32_e32 v6, vcc, v53, v83
	v_addc_co_u32_e32 v7, vcc, v54, v84, vcc
	global_load_dword v115, v[6:7], off
	v_add_co_u32_e32 v6, vcc, v59, v83
	v_addc_co_u32_e32 v7, vcc, v60, v84, vcc
	;; [unrolled: 3-line block ×3, first 2 shown]
	global_load_dword v117, v[6:7], off
.LBB71_98:                              ;   in Loop: Header=BB71_74 Depth=1
	ds_read_b32 v10, v93
	ds_read_b128 v[6:9], v91 offset:64
	s_mov_b64 s[14:15], -1
                                        ; implicit-def: $vgpr121
                                        ; implicit-def: $vgpr120
                                        ; implicit-def: $vgpr119
                                        ; implicit-def: $vgpr118
	s_waitcnt vmcnt(0) lgkmcnt(1)
	v_mul_f32_e32 v11, v114, v10
	v_mul_f32_e32 v12, v115, v10
	;; [unrolled: 1-line block ×4, first 2 shown]
	ds_write2_b32 v94, v11, v12 offset1:67
	ds_write2_b32 v94, v13, v10 offset0:134 offset1:201
	s_waitcnt lgkmcnt(0)
	s_barrier
	ds_read2_b32 v[16:17], v90 offset1:1
	ds_read2_b32 v[14:15], v90 offset0:2 offset1:3
	v_add_co_u32_e32 v10, vcc, v63, v83
	v_addc_co_u32_e32 v11, vcc, v64, v84, vcc
	s_and_b64 vcc, exec, s[4:5]
	s_waitcnt lgkmcnt(0)
	s_barrier
	s_cbranch_vccnz .LBB71_108
; %bb.99:                               ;   in Loop: Header=BB71_74 Depth=1
	v_cmp_gt_i32_e32 vcc, s18, v102
	v_mov_b32_e32 v119, 0
	v_mov_b32_e32 v118, 0
	s_and_saveexec_b64 s[14:15], vcc
	s_cbranch_execz .LBB71_101
; %bb.100:                              ;   in Loop: Header=BB71_74 Depth=1
	global_load_dword v118, v[10:11], off
.LBB71_101:                             ;   in Loop: Header=BB71_74 Depth=1
	s_or_b64 exec, exec, s[14:15]
	v_cmp_gt_i32_e32 vcc, s18, v103
	s_and_saveexec_b64 s[14:15], vcc
	s_cbranch_execz .LBB71_103
; %bb.102:                              ;   in Loop: Header=BB71_74 Depth=1
	v_add_co_u32_e32 v12, vcc, v65, v83
	v_addc_co_u32_e32 v13, vcc, v66, v84, vcc
	global_load_dword v119, v[12:13], off
.LBB71_103:                             ;   in Loop: Header=BB71_74 Depth=1
	s_or_b64 exec, exec, s[14:15]
	v_cmp_gt_i32_e32 vcc, s18, v104
	v_mov_b32_e32 v121, 0
	v_mov_b32_e32 v120, 0
	s_and_saveexec_b64 s[14:15], vcc
	s_cbranch_execz .LBB71_105
; %bb.104:                              ;   in Loop: Header=BB71_74 Depth=1
	v_add_co_u32_e32 v12, vcc, v67, v83
	v_addc_co_u32_e32 v13, vcc, v68, v84, vcc
	global_load_dword v120, v[12:13], off
.LBB71_105:                             ;   in Loop: Header=BB71_74 Depth=1
	s_or_b64 exec, exec, s[14:15]
	v_cmp_gt_i32_e32 vcc, s18, v105
	s_and_saveexec_b64 s[14:15], vcc
	s_cbranch_execz .LBB71_107
; %bb.106:                              ;   in Loop: Header=BB71_74 Depth=1
	v_add_co_u32_e32 v12, vcc, v69, v83
	v_addc_co_u32_e32 v13, vcc, v70, v84, vcc
	global_load_dword v121, v[12:13], off
.LBB71_107:                             ;   in Loop: Header=BB71_74 Depth=1
	s_or_b64 exec, exec, s[14:15]
	s_mov_b64 s[14:15], 0
.LBB71_108:                             ;   in Loop: Header=BB71_74 Depth=1
	s_and_b64 vcc, exec, s[14:15]
	s_cbranch_vccz .LBB71_110
; %bb.109:                              ;   in Loop: Header=BB71_74 Depth=1
	global_load_dword v118, v[10:11], off
	v_add_co_u32_e32 v10, vcc, v65, v83
	v_addc_co_u32_e32 v11, vcc, v66, v84, vcc
	global_load_dword v119, v[10:11], off
	v_add_co_u32_e32 v10, vcc, v71, v83
	v_addc_co_u32_e32 v11, vcc, v72, v84, vcc
	;; [unrolled: 3-line block ×3, first 2 shown]
	global_load_dword v121, v[10:11], off
.LBB71_110:                             ;   in Loop: Header=BB71_74 Depth=1
	ds_read_b32 v24, v93
	ds_read_b128 v[10:13], v91 offset:128
	v_add_co_u32_e32 v28, vcc, v35, v85
	v_addc_co_u32_e32 v29, vcc, v36, v86, vcc
	s_waitcnt vmcnt(0) lgkmcnt(1)
	v_mul_f32_e32 v25, v118, v24
	v_mul_f32_e32 v26, v119, v24
	v_mul_f32_e32 v27, v120, v24
	v_mul_f32_e32 v24, v121, v24
	ds_write2_b32 v94, v25, v26 offset1:67
	ds_write2_b32 v94, v27, v24 offset0:134 offset1:201
	s_waitcnt lgkmcnt(0)
	s_barrier
	ds_read2_b32 v[26:27], v90 offset1:1
	ds_read2_b32 v[24:25], v90 offset0:2 offset1:3
	s_and_b64 vcc, exec, s[4:5]
	s_mov_b64 s[4:5], -1
	s_waitcnt lgkmcnt(0)
	s_barrier
                                        ; implicit-def: $vgpr125
                                        ; implicit-def: $vgpr124
                                        ; implicit-def: $vgpr123
                                        ; implicit-def: $vgpr122
	s_cbranch_vccnz .LBB71_120
; %bb.111:                              ;   in Loop: Header=BB71_74 Depth=1
	v_cmp_gt_i32_e32 vcc, s18, v106
	v_mov_b32_e32 v123, 0
	v_mov_b32_e32 v122, 0
	s_and_saveexec_b64 s[4:5], vcc
	s_cbranch_execz .LBB71_113
; %bb.112:                              ;   in Loop: Header=BB71_74 Depth=1
	global_load_dword v122, v[28:29], off
.LBB71_113:                             ;   in Loop: Header=BB71_74 Depth=1
	s_or_b64 exec, exec, s[4:5]
	v_cmp_gt_i32_e32 vcc, s18, v107
	s_and_saveexec_b64 s[4:5], vcc
	s_cbranch_execz .LBB71_115
; %bb.114:                              ;   in Loop: Header=BB71_74 Depth=1
	v_add_co_u32_e32 v123, vcc, v75, v85
	v_addc_co_u32_e32 v124, vcc, v76, v86, vcc
	global_load_dword v123, v[123:124], off
.LBB71_115:                             ;   in Loop: Header=BB71_74 Depth=1
	s_or_b64 exec, exec, s[4:5]
	v_cmp_gt_i32_e32 vcc, s18, v108
	v_mov_b32_e32 v125, 0
	v_mov_b32_e32 v124, 0
	s_and_saveexec_b64 s[4:5], vcc
	s_cbranch_execz .LBB71_117
; %bb.116:                              ;   in Loop: Header=BB71_74 Depth=1
	v_add_co_u32_e32 v126, vcc, v77, v85
	v_addc_co_u32_e32 v127, vcc, v78, v86, vcc
	global_load_dword v124, v[126:127], off
.LBB71_117:                             ;   in Loop: Header=BB71_74 Depth=1
	s_or_b64 exec, exec, s[4:5]
	v_cmp_gt_i32_e32 vcc, s18, v109
	s_and_saveexec_b64 s[4:5], vcc
	s_cbranch_execz .LBB71_119
; %bb.118:                              ;   in Loop: Header=BB71_74 Depth=1
	v_add_co_u32_e32 v125, vcc, v79, v85
	v_addc_co_u32_e32 v126, vcc, v80, v86, vcc
	global_load_dword v125, v[125:126], off
.LBB71_119:                             ;   in Loop: Header=BB71_74 Depth=1
	s_or_b64 exec, exec, s[4:5]
	s_mov_b64 s[4:5], 0
.LBB71_120:                             ;   in Loop: Header=BB71_74 Depth=1
	s_and_b64 vcc, exec, s[4:5]
	s_cbranch_vccz .LBB71_122
; %bb.121:                              ;   in Loop: Header=BB71_74 Depth=1
	global_load_dword v122, v[28:29], off
	v_add_co_u32_e32 v28, vcc, v75, v85
	v_addc_co_u32_e32 v29, vcc, v76, v86, vcc
	global_load_dword v123, v[28:29], off
	v_add_co_u32_e32 v28, vcc, v81, v85
	v_addc_co_u32_e32 v29, vcc, v82, v86, vcc
	;; [unrolled: 3-line block ×3, first 2 shown]
	global_load_dword v125, v[28:29], off
.LBB71_122:                             ;   in Loop: Header=BB71_74 Depth=1
	v_add_f32_e32 v26, 0, v26
	v_add_f32_e32 v26, v26, v27
	;; [unrolled: 1-line block ×4, first 2 shown]
	ds_read_b32 v24, v93
	v_add_f32_e32 v16, 0, v16
	v_add_f32_e32 v16, v16, v17
	;; [unrolled: 1-line block ×4, first 2 shown]
	ds_read_b128 v[14:17], v91 offset:192
	s_waitcnt vmcnt(0) lgkmcnt(1)
	v_mul_f32_e32 v25, v122, v24
	v_mul_f32_e32 v28, v123, v24
	ds_write2_b32 v94, v25, v28 offset1:67
	v_mul_f32_e32 v25, v124, v24
	v_mul_f32_e32 v24, v125, v24
	ds_write2_b32 v94, v25, v24 offset0:134 offset1:201
	s_waitcnt lgkmcnt(0)
	s_barrier
	ds_read2_b32 v[24:25], v90 offset1:1
	v_add_f32_e32 v22, 0, v22
	v_add_f32_e32 v28, v22, v23
	ds_read2_b32 v[22:23], v90 offset0:2 offset1:3
	v_add_f32_e32 v20, v28, v20
	v_add_f32_e32 v20, v20, v21
	s_waitcnt lgkmcnt(1)
	v_add_f32_e32 v21, 0, v24
	v_cmp_gt_i32_e32 vcc, s18, v0
	v_add_f32_e32 v21, v21, v25
	s_or_b64 s[4:5], s[12:13], vcc
	s_waitcnt lgkmcnt(0)
	v_add_f32_e32 v21, v21, v22
	s_and_b64 s[12:13], s[2:3], s[4:5]
	v_add_f32_e32 v21, v21, v23
	s_barrier
	ds_write2_b32 v87, v20, v27 offset1:16
	ds_write2_b32 v87, v26, v21 offset0:32 offset1:48
	s_waitcnt lgkmcnt(0)
	s_barrier
	s_and_saveexec_b64 s[4:5], s[12:13]
	s_cbranch_execz .LBB71_124
; %bb.123:                              ;   in Loop: Header=BB71_74 Depth=1
	ds_read2_b32 v[20:21], v88 offset1:1
	ds_read2_b32 v[22:23], v88 offset0:2 offset1:3
	ds_read2_b32 v[24:25], v88 offset0:4 offset1:5
	;; [unrolled: 1-line block ×4, first 2 shown]
	s_waitcnt lgkmcnt(4)
	v_add_f32_e32 v20, v20, v21
	s_waitcnt lgkmcnt(3)
	v_add_f32_e32 v20, v20, v22
	v_add_f32_e32 v20, v20, v23
	s_waitcnt lgkmcnt(2)
	v_add_f32_e32 v20, v20, v24
	v_add_f32_e32 v20, v20, v25
	s_waitcnt lgkmcnt(1)
	v_add_f32_e32 v20, v20, v26
	v_add_f32_e32 v24, v20, v27
	ds_read2_b32 v[20:21], v88 offset0:10 offset1:11
	ds_read2_b32 v[22:23], v88 offset0:12 offset1:13
	ds_read_b32 v25, v88 offset:56
	s_waitcnt lgkmcnt(3)
	v_add_f32_e32 v24, v24, v28
	v_add_f32_e32 v24, v24, v29
	s_waitcnt lgkmcnt(2)
	v_add_f32_e32 v20, v24, v20
	ds_read_b32 v24, v89
	v_add_f32_e32 v20, v20, v21
	s_waitcnt lgkmcnt(2)
	v_add_f32_e32 v20, v20, v22
	v_add_f32_e32 v20, v20, v23
	s_waitcnt lgkmcnt(1)
	v_add_f32_e32 v20, v20, v25
	s_waitcnt lgkmcnt(0)
	v_add_f32_e32 v22, v20, v24
	v_ashrrev_i32_e32 v20, 31, v19
	v_lshlrev_b64 v[20:21], 2, v[19:20]
	v_mov_b32_e32 v23, s17
	v_add_co_u32_e32 v20, vcc, s7, v20
	v_addc_co_u32_e32 v21, vcc, v23, v21, vcc
	global_store_dword v[20:21], v22, off
.LBB71_124:                             ;   in Loop: Header=BB71_74 Depth=1
	s_or_b64 exec, exec, s[4:5]
	v_fmac_f32_e32 v30, v110, v2
	v_mov_b32_e32 v2, s11
	v_add_co_u32_e32 v39, vcc, s10, v39
	v_addc_co_u32_e32 v40, vcc, v40, v2, vcc
	v_add_co_u32_e32 v41, vcc, s10, v41
	v_addc_co_u32_e32 v42, vcc, v42, v2, vcc
	;; [unrolled: 2-line block ×16, first 2 shown]
	v_add_co_u32_e32 v71, vcc, s10, v71
	v_fmac_f32_e32 v30, v111, v3
	v_addc_co_u32_e32 v72, vcc, v72, v2, vcc
	v_fmac_f32_e32 v30, v112, v4
	v_add_co_u32_e32 v73, vcc, s10, v73
	v_fmac_f32_e32 v30, v113, v5
	v_addc_co_u32_e32 v74, vcc, v74, v2, vcc
	v_fmac_f32_e32 v30, v114, v6
	;; [unrolled: 4-line block ×7, first 2 shown]
	s_add_i32 s4, s6, 1
	s_add_i32 s8, s8, s29
	;; [unrolled: 1-line block ×3, first 2 shown]
	v_add_co_u32_e32 v37, vcc, s10, v37
	v_fmac_f32_e32 v30, v125, v17
	v_add_u32_e32 v19, 64, v19
	s_cmp_ge_u32 s5, s33
	v_addc_co_u32_e32 v38, vcc, v38, v2, vcc
	s_waitcnt vmcnt(0)
	s_barrier
	s_cbranch_scc1 .LBB71_126
; %bb.125:                              ;   in Loop: Header=BB71_74 Depth=1
	s_mov_b32 s6, s4
	s_cmp_eq_u32 s28, s6
	s_cselect_b32 s18, s38, 0
	s_and_saveexec_b64 s[4:5], s[0:1]
	s_cbranch_execnz .LBB71_71
	s_branch .LBB71_74
.LBB71_126:
	s_movk_i32 s2, 0x10c
	v_cmp_gt_i32_e32 vcc, s16, v0
	v_mad_u32_u24 v1, v1, s2, v31
	s_or_b64 s[2:3], s[20:21], vcc
	s_and_b64 s[0:1], s[0:1], s[2:3]
	ds_write_b32 v1, v30
	s_waitcnt lgkmcnt(0)
	s_barrier
	s_and_saveexec_b64 s[2:3], s[0:1]
	s_cbranch_execz .LBB71_128
; %bb.127:
	ds_read2_b32 v[0:1], v31 offset1:67
	ds_read2_b32 v[2:3], v31 offset0:134 offset1:201
	v_ashrrev_i32_e32 v19, 31, v18
	v_lshlrev_b64 v[4:5], 2, v[18:19]
	v_mov_b32_e32 v6, s17
	s_waitcnt lgkmcnt(1)
	v_add_f32_e32 v0, v0, v1
	s_waitcnt lgkmcnt(0)
	v_add_f32_e32 v0, v0, v2
	v_add_f32_e32 v2, v0, v3
	v_add_co_u32_e32 v0, vcc, s7, v4
	v_addc_co_u32_e32 v1, vcc, v6, v5, vcc
	global_store_dword v[0:1], v2, off
.LBB71_128:
	s_endpgm
	.section	.rodata,"a",@progbits
	.p2align	6, 0x0
	.amdhsa_kernel _ZL26rocblas_hemvn_kernel_upperILb0ELi64ELi4ELi33ELi32ELi16EiPKfS1_PfEviT6_lT7_lT5_lS4_lS5_lS3_lT8_i
		.amdhsa_group_segment_fixed_size 4800
		.amdhsa_private_segment_fixed_size 0
		.amdhsa_kernarg_size 376
		.amdhsa_user_sgpr_count 6
		.amdhsa_user_sgpr_private_segment_buffer 1
		.amdhsa_user_sgpr_dispatch_ptr 0
		.amdhsa_user_sgpr_queue_ptr 0
		.amdhsa_user_sgpr_kernarg_segment_ptr 1
		.amdhsa_user_sgpr_dispatch_id 0
		.amdhsa_user_sgpr_flat_scratch_init 0
		.amdhsa_user_sgpr_private_segment_size 0
		.amdhsa_uses_dynamic_stack 0
		.amdhsa_system_sgpr_private_segment_wavefront_offset 0
		.amdhsa_system_sgpr_workgroup_id_x 1
		.amdhsa_system_sgpr_workgroup_id_y 0
		.amdhsa_system_sgpr_workgroup_id_z 1
		.amdhsa_system_sgpr_workgroup_info 0
		.amdhsa_system_vgpr_workitem_id 1
		.amdhsa_next_free_vgpr 128
		.amdhsa_next_free_sgpr 56
		.amdhsa_reserve_vcc 1
		.amdhsa_reserve_flat_scratch 0
		.amdhsa_float_round_mode_32 0
		.amdhsa_float_round_mode_16_64 0
		.amdhsa_float_denorm_mode_32 3
		.amdhsa_float_denorm_mode_16_64 3
		.amdhsa_dx10_clamp 1
		.amdhsa_ieee_mode 1
		.amdhsa_fp16_overflow 0
		.amdhsa_exception_fp_ieee_invalid_op 0
		.amdhsa_exception_fp_denorm_src 0
		.amdhsa_exception_fp_ieee_div_zero 0
		.amdhsa_exception_fp_ieee_overflow 0
		.amdhsa_exception_fp_ieee_underflow 0
		.amdhsa_exception_fp_ieee_inexact 0
		.amdhsa_exception_int_div_zero 0
	.end_amdhsa_kernel
	.section	.text._ZL26rocblas_hemvn_kernel_upperILb0ELi64ELi4ELi33ELi32ELi16EiPKfS1_PfEviT6_lT7_lT5_lS4_lS5_lS3_lT8_i,"axG",@progbits,_ZL26rocblas_hemvn_kernel_upperILb0ELi64ELi4ELi33ELi32ELi16EiPKfS1_PfEviT6_lT7_lT5_lS4_lS5_lS3_lT8_i,comdat
.Lfunc_end71:
	.size	_ZL26rocblas_hemvn_kernel_upperILb0ELi64ELi4ELi33ELi32ELi16EiPKfS1_PfEviT6_lT7_lT5_lS4_lS5_lS3_lT8_i, .Lfunc_end71-_ZL26rocblas_hemvn_kernel_upperILb0ELi64ELi4ELi33ELi32ELi16EiPKfS1_PfEviT6_lT7_lT5_lS4_lS5_lS3_lT8_i
                                        ; -- End function
	.set _ZL26rocblas_hemvn_kernel_upperILb0ELi64ELi4ELi33ELi32ELi16EiPKfS1_PfEviT6_lT7_lT5_lS4_lS5_lS3_lT8_i.num_vgpr, 128
	.set _ZL26rocblas_hemvn_kernel_upperILb0ELi64ELi4ELi33ELi32ELi16EiPKfS1_PfEviT6_lT7_lT5_lS4_lS5_lS3_lT8_i.num_agpr, 0
	.set _ZL26rocblas_hemvn_kernel_upperILb0ELi64ELi4ELi33ELi32ELi16EiPKfS1_PfEviT6_lT7_lT5_lS4_lS5_lS3_lT8_i.numbered_sgpr, 56
	.set _ZL26rocblas_hemvn_kernel_upperILb0ELi64ELi4ELi33ELi32ELi16EiPKfS1_PfEviT6_lT7_lT5_lS4_lS5_lS3_lT8_i.num_named_barrier, 0
	.set _ZL26rocblas_hemvn_kernel_upperILb0ELi64ELi4ELi33ELi32ELi16EiPKfS1_PfEviT6_lT7_lT5_lS4_lS5_lS3_lT8_i.private_seg_size, 0
	.set _ZL26rocblas_hemvn_kernel_upperILb0ELi64ELi4ELi33ELi32ELi16EiPKfS1_PfEviT6_lT7_lT5_lS4_lS5_lS3_lT8_i.uses_vcc, 1
	.set _ZL26rocblas_hemvn_kernel_upperILb0ELi64ELi4ELi33ELi32ELi16EiPKfS1_PfEviT6_lT7_lT5_lS4_lS5_lS3_lT8_i.uses_flat_scratch, 0
	.set _ZL26rocblas_hemvn_kernel_upperILb0ELi64ELi4ELi33ELi32ELi16EiPKfS1_PfEviT6_lT7_lT5_lS4_lS5_lS3_lT8_i.has_dyn_sized_stack, 0
	.set _ZL26rocblas_hemvn_kernel_upperILb0ELi64ELi4ELi33ELi32ELi16EiPKfS1_PfEviT6_lT7_lT5_lS4_lS5_lS3_lT8_i.has_recursion, 0
	.set _ZL26rocblas_hemvn_kernel_upperILb0ELi64ELi4ELi33ELi32ELi16EiPKfS1_PfEviT6_lT7_lT5_lS4_lS5_lS3_lT8_i.has_indirect_call, 0
	.section	.AMDGPU.csdata,"",@progbits
; Kernel info:
; codeLenInByte = 6776
; TotalNumSgprs: 60
; NumVgprs: 128
; ScratchSize: 0
; MemoryBound: 0
; FloatMode: 240
; IeeeMode: 1
; LDSByteSize: 4800 bytes/workgroup (compile time only)
; SGPRBlocks: 7
; VGPRBlocks: 31
; NumSGPRsForWavesPerEU: 60
; NumVGPRsForWavesPerEU: 128
; Occupancy: 2
; WaveLimiterHint : 1
; COMPUTE_PGM_RSRC2:SCRATCH_EN: 0
; COMPUTE_PGM_RSRC2:USER_SGPR: 6
; COMPUTE_PGM_RSRC2:TRAP_HANDLER: 0
; COMPUTE_PGM_RSRC2:TGID_X_EN: 1
; COMPUTE_PGM_RSRC2:TGID_Y_EN: 0
; COMPUTE_PGM_RSRC2:TGID_Z_EN: 1
; COMPUTE_PGM_RSRC2:TIDIG_COMP_CNT: 1
	.section	.text._ZL36rocblas_hemvn_kernel_upper_block_sumILi64EiPKfPffEviT1_lS3_lT2_lT0_lPT3_i,"axG",@progbits,_ZL36rocblas_hemvn_kernel_upper_block_sumILi64EiPKfPffEviT1_lS3_lT2_lT0_lPT3_i,comdat
	.globl	_ZL36rocblas_hemvn_kernel_upper_block_sumILi64EiPKfPffEviT1_lS3_lT2_lT0_lPT3_i ; -- Begin function _ZL36rocblas_hemvn_kernel_upper_block_sumILi64EiPKfPffEviT1_lS3_lT2_lT0_lPT3_i
	.p2align	8
	.type	_ZL36rocblas_hemvn_kernel_upper_block_sumILi64EiPKfPffEviT1_lS3_lT2_lT0_lPT3_i,@function
_ZL36rocblas_hemvn_kernel_upper_block_sumILi64EiPKfPffEviT1_lS3_lT2_lT0_lPT3_i: ; @_ZL36rocblas_hemvn_kernel_upper_block_sumILi64EiPKfPffEviT1_lS3_lT2_lT0_lPT3_i
; %bb.0:
	s_load_dwordx8 s[8:15], s[4:5], 0x8
	s_waitcnt lgkmcnt(0)
	s_mul_i32 s0, s11, s7
	s_mul_hi_u32 s1, s10, s7
	s_add_i32 s1, s1, s0
	s_mul_i32 s0, s10, s7
	s_lshl_b64 s[0:1], s[0:1], 2
	s_add_u32 s0, s8, s0
	s_addc_u32 s1, s9, s1
	s_load_dword s16, s[0:1], 0x0
	s_mul_i32 s0, s15, s7
	s_mul_hi_u32 s1, s14, s7
	s_add_i32 s1, s1, s0
	s_mul_i32 s0, s14, s7
	s_lshl_b64 s[0:1], s[0:1], 2
	s_add_u32 s0, s12, s0
	s_addc_u32 s1, s13, s1
	s_load_dword s19, s[0:1], 0x0
	s_waitcnt lgkmcnt(0)
	v_cmp_eq_f32_e64 s[0:1], s16, 0
	v_cmp_eq_f32_e64 s[2:3], s19, 1.0
	s_and_b64 s[0:1], s[0:1], s[2:3]
	s_and_b64 vcc, exec, s[0:1]
	s_cbranch_vccnz .LBB72_19
; %bb.1:
	s_load_dwordx4 s[0:3], s[4:5], 0x40
	s_load_dwordx4 s[12:15], s[4:5], 0x28
	s_load_dword s20, s[4:5], 0x38
	s_load_dword s10, s[4:5], 0x0
	v_lshl_or_b32 v0, s6, 6, v0
	s_waitcnt lgkmcnt(0)
	s_mul_i32 s1, s1, s7
	s_mul_hi_u32 s8, s0, s7
	s_add_i32 s1, s8, s1
	s_mul_i32 s0, s0, s7
	s_lshl_b64 s[0:1], s[0:1], 2
	s_add_u32 s8, s12, s0
	s_addc_u32 s9, s13, s1
	s_lshl_b64 s[0:1], s[14:15], 2
	s_add_u32 s17, s8, s0
	s_addc_u32 s18, s9, s1
	v_cmp_neq_f32_e64 s[0:1], s16, 0
	s_and_b64 vcc, exec, s[0:1]
	v_cmp_gt_i32_e64 s[0:1], s10, v0
	s_cbranch_vccnz .LBB72_6
; %bb.2:
	s_mov_b64 s[12:13], 0
	s_mov_b64 s[8:9], 0
                                        ; implicit-def: $vgpr4
                                        ; implicit-def: $vgpr2_vgpr3
	s_and_saveexec_b64 s[14:15], s[0:1]
	s_cbranch_execz .LBB72_7
; %bb.3:
	v_mul_lo_u32 v2, s20, v0
	v_cmp_eq_f32_e64 s[0:1], s19, 0
	v_mov_b32_e32 v4, 0
	s_and_b64 vcc, exec, s[0:1]
	v_ashrrev_i32_e32 v3, 31, v2
	s_cbranch_vccnz .LBB72_5
; %bb.4:
	v_lshlrev_b64 v[4:5], 2, v[2:3]
	v_mov_b32_e32 v1, s18
	v_add_co_u32_e32 v4, vcc, s17, v4
	v_addc_co_u32_e32 v5, vcc, v1, v5, vcc
	global_load_dword v1, v[4:5], off
	s_waitcnt vmcnt(0)
	v_mul_f32_e32 v4, s19, v1
.LBB72_5:
	s_mov_b64 s[8:9], exec
	s_or_b64 exec, exec, s[14:15]
	s_and_b64 vcc, exec, s[12:13]
	s_cbranch_vccnz .LBB72_8
	s_branch .LBB72_17
.LBB72_6:
	s_mov_b64 s[8:9], 0
                                        ; implicit-def: $vgpr4
                                        ; implicit-def: $vgpr2_vgpr3
	s_cbranch_execnz .LBB72_8
	s_branch .LBB72_17
.LBB72_7:
	s_or_b64 exec, exec, s[14:15]
	s_and_b64 vcc, exec, s[12:13]
	s_cbranch_vccz .LBB72_17
.LBB72_8:
	v_cmp_gt_i32_e32 vcc, s10, v0
                                        ; implicit-def: $vgpr4
                                        ; implicit-def: $vgpr2_vgpr3
	s_and_saveexec_b64 s[0:1], vcc
	s_cbranch_execz .LBB72_16
; %bb.9:
	s_cmp_lt_i32 s6, 0
	v_mov_b32_e32 v1, 0
	s_cbranch_scc1 .LBB72_12
; %bb.10:
	s_load_dword s4, s[4:5], 0x58
	s_ashr_i32 s11, s10, 31
	s_mul_hi_u32 s5, s10, s7
	s_mul_i32 s12, s11, s7
	s_add_i32 s5, s5, s12
	s_mul_i32 s7, s10, s7
	s_waitcnt lgkmcnt(0)
	s_mul_i32 s5, s5, s4
	s_mul_hi_u32 s12, s7, s4
	s_add_i32 s5, s12, s5
	s_mul_i32 s4, s7, s4
	s_lshl_b64 s[4:5], s[4:5], 2
	v_mov_b32_e32 v1, 0
	s_add_u32 s2, s2, s4
	v_lshlrev_b64 v[2:3], 2, v[0:1]
	s_addc_u32 s3, s3, s5
	v_mov_b32_e32 v4, s3
	v_add_co_u32_e32 v2, vcc, s2, v2
	s_lshl_b64 s[2:3], s[10:11], 2
	v_addc_co_u32_e32 v3, vcc, v4, v3, vcc
	s_add_i32 s4, s6, 1
	v_mov_b32_e32 v4, s3
.LBB72_11:                              ; =>This Inner Loop Header: Depth=1
	global_load_dword v5, v[2:3], off
	s_add_i32 s4, s4, -1
	v_add_co_u32_e32 v2, vcc, s2, v2
	v_addc_co_u32_e32 v3, vcc, v3, v4, vcc
	s_cmp_eq_u32 s4, 0
	s_waitcnt vmcnt(0)
	v_add_f32_e32 v1, v1, v5
	s_cbranch_scc0 .LBB72_11
.LBB72_12:
	v_mul_lo_u32 v2, s20, v0
	v_cmp_eq_f32_e64 s[2:3], s19, 0
	s_and_b64 vcc, exec, s[2:3]
	v_ashrrev_i32_e32 v3, 31, v2
	s_cbranch_vccz .LBB72_20
; %bb.13:
	v_mul_f32_e32 v4, s16, v1
	s_cbranch_execnz .LBB72_15
.LBB72_14:
	v_lshlrev_b64 v[4:5], 2, v[2:3]
	v_mov_b32_e32 v0, s18
	v_add_co_u32_e32 v4, vcc, s17, v4
	v_addc_co_u32_e32 v5, vcc, v0, v5, vcc
	global_load_dword v0, v[4:5], off
	s_waitcnt vmcnt(0)
	v_mul_f32_e32 v4, s19, v0
	v_fmac_f32_e32 v4, s16, v1
.LBB72_15:
	s_or_b64 s[8:9], s[8:9], exec
.LBB72_16:
	s_or_b64 exec, exec, s[0:1]
.LBB72_17:
	s_and_saveexec_b64 s[0:1], s[8:9]
	s_cbranch_execz .LBB72_19
; %bb.18:
	v_lshlrev_b64 v[0:1], 2, v[2:3]
	v_mov_b32_e32 v2, s18
	v_add_co_u32_e32 v0, vcc, s17, v0
	v_addc_co_u32_e32 v1, vcc, v2, v1, vcc
	global_store_dword v[0:1], v4, off
.LBB72_19:
	s_endpgm
.LBB72_20:
                                        ; implicit-def: $vgpr4
	s_branch .LBB72_14
	.section	.rodata,"a",@progbits
	.p2align	6, 0x0
	.amdhsa_kernel _ZL36rocblas_hemvn_kernel_upper_block_sumILi64EiPKfPffEviT1_lS3_lT2_lT0_lPT3_i
		.amdhsa_group_segment_fixed_size 0
		.amdhsa_private_segment_fixed_size 0
		.amdhsa_kernarg_size 344
		.amdhsa_user_sgpr_count 6
		.amdhsa_user_sgpr_private_segment_buffer 1
		.amdhsa_user_sgpr_dispatch_ptr 0
		.amdhsa_user_sgpr_queue_ptr 0
		.amdhsa_user_sgpr_kernarg_segment_ptr 1
		.amdhsa_user_sgpr_dispatch_id 0
		.amdhsa_user_sgpr_flat_scratch_init 0
		.amdhsa_user_sgpr_private_segment_size 0
		.amdhsa_uses_dynamic_stack 0
		.amdhsa_system_sgpr_private_segment_wavefront_offset 0
		.amdhsa_system_sgpr_workgroup_id_x 1
		.amdhsa_system_sgpr_workgroup_id_y 0
		.amdhsa_system_sgpr_workgroup_id_z 1
		.amdhsa_system_sgpr_workgroup_info 0
		.amdhsa_system_vgpr_workitem_id 0
		.amdhsa_next_free_vgpr 6
		.amdhsa_next_free_sgpr 21
		.amdhsa_reserve_vcc 1
		.amdhsa_reserve_flat_scratch 0
		.amdhsa_float_round_mode_32 0
		.amdhsa_float_round_mode_16_64 0
		.amdhsa_float_denorm_mode_32 3
		.amdhsa_float_denorm_mode_16_64 3
		.amdhsa_dx10_clamp 1
		.amdhsa_ieee_mode 1
		.amdhsa_fp16_overflow 0
		.amdhsa_exception_fp_ieee_invalid_op 0
		.amdhsa_exception_fp_denorm_src 0
		.amdhsa_exception_fp_ieee_div_zero 0
		.amdhsa_exception_fp_ieee_overflow 0
		.amdhsa_exception_fp_ieee_underflow 0
		.amdhsa_exception_fp_ieee_inexact 0
		.amdhsa_exception_int_div_zero 0
	.end_amdhsa_kernel
	.section	.text._ZL36rocblas_hemvn_kernel_upper_block_sumILi64EiPKfPffEviT1_lS3_lT2_lT0_lPT3_i,"axG",@progbits,_ZL36rocblas_hemvn_kernel_upper_block_sumILi64EiPKfPffEviT1_lS3_lT2_lT0_lPT3_i,comdat
.Lfunc_end72:
	.size	_ZL36rocblas_hemvn_kernel_upper_block_sumILi64EiPKfPffEviT1_lS3_lT2_lT0_lPT3_i, .Lfunc_end72-_ZL36rocblas_hemvn_kernel_upper_block_sumILi64EiPKfPffEviT1_lS3_lT2_lT0_lPT3_i
                                        ; -- End function
	.set _ZL36rocblas_hemvn_kernel_upper_block_sumILi64EiPKfPffEviT1_lS3_lT2_lT0_lPT3_i.num_vgpr, 6
	.set _ZL36rocblas_hemvn_kernel_upper_block_sumILi64EiPKfPffEviT1_lS3_lT2_lT0_lPT3_i.num_agpr, 0
	.set _ZL36rocblas_hemvn_kernel_upper_block_sumILi64EiPKfPffEviT1_lS3_lT2_lT0_lPT3_i.numbered_sgpr, 21
	.set _ZL36rocblas_hemvn_kernel_upper_block_sumILi64EiPKfPffEviT1_lS3_lT2_lT0_lPT3_i.num_named_barrier, 0
	.set _ZL36rocblas_hemvn_kernel_upper_block_sumILi64EiPKfPffEviT1_lS3_lT2_lT0_lPT3_i.private_seg_size, 0
	.set _ZL36rocblas_hemvn_kernel_upper_block_sumILi64EiPKfPffEviT1_lS3_lT2_lT0_lPT3_i.uses_vcc, 1
	.set _ZL36rocblas_hemvn_kernel_upper_block_sumILi64EiPKfPffEviT1_lS3_lT2_lT0_lPT3_i.uses_flat_scratch, 0
	.set _ZL36rocblas_hemvn_kernel_upper_block_sumILi64EiPKfPffEviT1_lS3_lT2_lT0_lPT3_i.has_dyn_sized_stack, 0
	.set _ZL36rocblas_hemvn_kernel_upper_block_sumILi64EiPKfPffEviT1_lS3_lT2_lT0_lPT3_i.has_recursion, 0
	.set _ZL36rocblas_hemvn_kernel_upper_block_sumILi64EiPKfPffEviT1_lS3_lT2_lT0_lPT3_i.has_indirect_call, 0
	.section	.AMDGPU.csdata,"",@progbits
; Kernel info:
; codeLenInByte = 636
; TotalNumSgprs: 25
; NumVgprs: 6
; ScratchSize: 0
; MemoryBound: 0
; FloatMode: 240
; IeeeMode: 1
; LDSByteSize: 0 bytes/workgroup (compile time only)
; SGPRBlocks: 3
; VGPRBlocks: 1
; NumSGPRsForWavesPerEU: 25
; NumVGPRsForWavesPerEU: 6
; Occupancy: 10
; WaveLimiterHint : 0
; COMPUTE_PGM_RSRC2:SCRATCH_EN: 0
; COMPUTE_PGM_RSRC2:USER_SGPR: 6
; COMPUTE_PGM_RSRC2:TRAP_HANDLER: 0
; COMPUTE_PGM_RSRC2:TGID_X_EN: 1
; COMPUTE_PGM_RSRC2:TGID_Y_EN: 0
; COMPUTE_PGM_RSRC2:TGID_Z_EN: 1
; COMPUTE_PGM_RSRC2:TIDIG_COMP_CNT: 0
	.section	.text._ZL26rocblas_hemvn_kernel_upperILb0ELi64ELi4ELi33ELi32ELi16ElfPKfPfEviT6_lT7_lT5_lS4_lS5_lS3_lT8_i,"axG",@progbits,_ZL26rocblas_hemvn_kernel_upperILb0ELi64ELi4ELi33ELi32ELi16ElfPKfPfEviT6_lT7_lT5_lS4_lS5_lS3_lT8_i,comdat
	.globl	_ZL26rocblas_hemvn_kernel_upperILb0ELi64ELi4ELi33ELi32ELi16ElfPKfPfEviT6_lT7_lT5_lS4_lS5_lS3_lT8_i ; -- Begin function _ZL26rocblas_hemvn_kernel_upperILb0ELi64ELi4ELi33ELi32ELi16ElfPKfPfEviT6_lT7_lT5_lS4_lS5_lS3_lT8_i
	.p2align	8
	.type	_ZL26rocblas_hemvn_kernel_upperILb0ELi64ELi4ELi33ELi32ELi16ElfPKfPfEviT6_lT7_lT5_lS4_lS5_lS3_lT8_i,@function
_ZL26rocblas_hemvn_kernel_upperILb0ELi64ELi4ELi33ELi32ELi16ElfPKfPfEviT6_lT7_lT5_lS4_lS5_lS3_lT8_i: ; @_ZL26rocblas_hemvn_kernel_upperILb0ELi64ELi4ELi33ELi32ELi16ElfPKfPfEviT6_lT7_lT5_lS4_lS5_lS3_lT8_i
; %bb.0:
	s_load_dwordx2 s[2:3], s[4:5], 0x7c
	s_add_u32 s0, s4, 0x70
	s_addc_u32 s1, s5, 0
	s_waitcnt lgkmcnt(0)
	s_lshr_b32 s8, s2, 16
	s_and_b32 s2, s2, 0xffff
	s_and_b32 s3, s3, 0xffff
	s_mul_i32 s2, s8, s2
	s_mul_i32 s2, s2, s3
	s_cmpk_lg_i32 s2, 0x100
	s_cbranch_scc1 .LBB73_128
; %bb.1:
	s_load_dwordx2 s[34:35], s[4:5], 0x0
	s_load_dword s8, s[4:5], 0x50
	s_waitcnt lgkmcnt(0)
	v_cmp_eq_f32_e64 s[2:3], s35, 0
	v_cmp_eq_f32_e64 s[8:9], s8, 1.0
	s_and_b64 s[8:9], s[2:3], s[8:9]
	s_and_b64 vcc, exec, s[8:9]
	s_cbranch_vccnz .LBB73_128
; %bb.2:
	s_and_b64 vcc, exec, s[2:3]
	s_cbranch_vccnz .LBB73_128
; %bb.3:
	s_load_dwordx16 s[16:31], s[4:5], 0x10
	s_load_dword s33, s[0:1], 0x0
	s_waitcnt lgkmcnt(0)
	s_mul_i32 s1, s31, s7
	s_mul_hi_u32 s2, s30, s7
	s_mul_i32 s0, s30, s7
	s_add_i32 s1, s2, s1
	s_lshl_b64 s[0:1], s[0:1], 2
	s_add_u32 s2, s24, s0
	s_addc_u32 s3, s25, s1
	s_lshl_b64 s[0:1], s[26:27], 2
	s_add_u32 s2, s2, s0
	s_addc_u32 s3, s3, s1
	s_lshl_b32 s26, s6, 6
	s_ashr_i32 s40, s34, 31
	s_lshr_b32 s0, s40, 26
	v_add_u32_e32 v18, s26, v0
	s_add_i32 s0, s34, s0
	v_ashrrev_i32_e32 v19, 31, v18
	s_and_b32 s9, s0, 0xffffffc0
	v_mul_lo_u32 v4, s28, v19
	v_mul_lo_u32 v5, s29, v18
	v_mad_u64_u32 v[2:3], s[0:1], s28, v18, 0
	s_add_i32 s8, s33, -1
	s_sub_i32 s35, s34, s9
	v_add3_u32 v3, v3, v4, v5
	v_lshlrev_b64 v[2:3], 2, v[2:3]
	s_cmp_eq_u32 s6, s8
	v_mov_b32_e32 v4, s3
	v_add_co_u32_e32 v6, vcc, s2, v2
	s_cselect_b32 s24, s35, 0
	v_addc_co_u32_e32 v7, vcc, v4, v3, vcc
	v_cmp_eq_u32_e64 s[0:1], 0, v1
	s_and_saveexec_b64 s[2:3], s[0:1]
	s_cbranch_execz .LBB73_7
; %bb.4:
	s_cmp_eq_u32 s24, 0
	s_cselect_b64 s[8:9], -1, 0
	v_cmp_gt_i32_e32 vcc, s24, v0
	s_or_b64 s[10:11], s[8:9], vcc
	v_mov_b32_e32 v2, 0
	s_and_saveexec_b64 s[8:9], s[10:11]
	s_cbranch_execz .LBB73_6
; %bb.5:
	global_load_dword v2, v[6:7], off
.LBB73_6:
	s_or_b64 exec, exec, s[8:9]
	v_lshlrev_b32_e32 v3, 2, v0
	s_waitcnt vmcnt(0)
	ds_write_b32 v3, v2 offset:4544
.LBB73_7:
	s_or_b64 exec, exec, s[2:3]
	v_lshl_add_u32 v14, v1, 6, v0
	s_mul_i32 s2, s23, s7
	s_mul_hi_u32 s3, s22, s7
	v_and_b32_e32 v2, 31, v0
	v_lshrrev_b32_e32 v15, 5, v14
	s_add_i32 s3, s3, s2
	s_mul_i32 s2, s22, s7
	v_mov_b32_e32 v3, 0
	s_lshl_b64 s[2:3], s[2:3], 2
	v_mad_u64_u32 v[4:5], s[8:9], s20, v15, v[2:3]
	s_add_u32 s10, s16, s2
	s_addc_u32 s11, s17, s3
	s_lshl_b64 s[2:3], s[18:19], 2
	s_add_u32 s8, s10, s2
	s_addc_u32 s9, s11, s3
	v_mad_u64_u32 v[8:9], s[2:3], s21, v15, v[5:6]
	s_ashr_i32 s27, s26, 31
	s_lshl_b64 s[2:3], s[26:27], 2
	v_mov_b32_e32 v5, v8
	s_add_u32 s2, s8, s2
	v_lshlrev_b64 v[8:9], 2, v[4:5]
	s_addc_u32 s3, s9, s3
	v_mov_b32_e32 v4, s3
	v_add_co_u32_e32 v5, vcc, s2, v8
	s_mul_hi_u32 s2, s20, s26
	s_mul_i32 s3, s20, s27
	s_add_i32 s2, s2, s3
	s_mul_i32 s3, s21, s26
	s_add_i32 s3, s2, s3
	s_mul_i32 s2, s20, s26
	s_lshl_b64 s[2:3], s[2:3], 2
	v_addc_co_u32_e32 v10, vcc, v4, v9, vcc
	s_cmp_eq_u32 s24, 0
	v_mov_b32_e32 v11, s3
	v_add_co_u32_e32 v4, vcc, s2, v5
	s_cselect_b64 s[18:19], -1, 0
	s_cmp_lg_u32 s24, 0
	v_addc_co_u32_e32 v5, vcc, v10, v11, vcc
	s_cselect_b64 s[22:23], -1, 0
	s_and_b64 vcc, exec, s[22:23]
	v_cmp_gt_i32_e64 s[2:3], s24, v2
	v_lshlrev_b32_e32 v16, 2, v2
	s_cbranch_vccz .LBB73_17
; %bb.8:
	v_sub_co_u32_e32 v10, vcc, v4, v16
	s_ashr_i32 s25, s24, 31
	v_subbrev_co_u32_e32 v11, vcc, 0, v5, vcc
	s_lshl_b64 s[8:9], s[24:25], 2
	v_mov_b32_e32 v12, s9
	v_add_co_u32_e32 v10, vcc, s8, v10
	v_addc_co_u32_e32 v11, vcc, v11, v12, vcc
	v_add_co_u32_e32 v10, vcc, -4, v10
	v_addc_co_u32_e32 v11, vcc, -1, v11, vcc
	v_cndmask_b32_e64 v11, v11, v5, s[2:3]
	v_cndmask_b32_e64 v10, v10, v4, s[2:3]
	v_cmp_gt_i32_e32 vcc, s24, v15
	s_and_saveexec_b64 s[10:11], vcc
	s_cbranch_execz .LBB73_10
; %bb.9:
	global_load_dword v3, v[10:11], off
.LBB73_10:
	s_or_b64 exec, exec, s[10:11]
	v_lshlrev_b32_e32 v13, 2, v2
	s_movk_i32 s10, 0x84
	v_mad_u32_u24 v12, v15, s10, v13
	s_waitcnt vmcnt(0)
	ds_write_b32 v12, v3
	v_add_u32_e32 v3, 8, v15
	v_mul_u32_u24_e32 v17, 0x84, v15
	v_cmp_gt_i32_e32 vcc, s24, v3
	v_mov_b32_e32 v12, 0
	v_mov_b32_e32 v20, 0
	s_and_saveexec_b64 s[10:11], vcc
	s_cbranch_execz .LBB73_12
; %bb.11:
	s_lshl_b64 s[12:13], s[20:21], 5
	v_mov_b32_e32 v3, s13
	v_add_co_u32_e32 v20, vcc, s12, v10
	v_addc_co_u32_e32 v21, vcc, v11, v3, vcc
	global_load_dword v20, v[20:21], off
.LBB73_12:
	s_or_b64 exec, exec, s[10:11]
	v_add_u32_e32 v3, v17, v13
	v_add_u32_e32 v13, 16, v15
	v_cmp_gt_i32_e32 vcc, s24, v13
	s_waitcnt vmcnt(0)
	ds_write_b32 v3, v20 offset:1056
	s_and_saveexec_b64 s[10:11], vcc
	s_cbranch_execz .LBB73_14
; %bb.13:
	s_lshl_b64 s[12:13], s[20:21], 6
	v_mov_b32_e32 v13, s13
	v_add_co_u32_e32 v12, vcc, s12, v10
	v_addc_co_u32_e32 v13, vcc, v11, v13, vcc
	global_load_dword v12, v[12:13], off
.LBB73_14:
	s_or_b64 exec, exec, s[10:11]
	s_waitcnt vmcnt(0)
	ds_write_b32 v3, v12 offset:2112
	v_add_u32_e32 v12, 24, v15
	v_cmp_gt_i32_e32 vcc, s24, v12
	v_mov_b32_e32 v12, 0
	s_and_saveexec_b64 s[10:11], vcc
	s_cbranch_execz .LBB73_16
; %bb.15:
	v_mov_b32_e32 v12, 0x60
	v_mad_u64_u32 v[12:13], s[12:13], s20, v12, v[10:11]
	s_mul_i32 s12, s21, 0x60
	v_add_u32_e32 v13, s12, v13
	global_load_dword v12, v[12:13], off
.LBB73_16:
	s_or_b64 exec, exec, s[10:11]
	s_waitcnt vmcnt(0)
	ds_write_b32 v3, v12 offset:3168
	v_add_co_u32_e32 v3, vcc, v10, v16
	v_addc_co_u32_e32 v10, vcc, 0, v11, vcc
	v_mov_b32_e32 v11, s9
	v_subrev_co_u32_e32 v3, vcc, s8, v3
	v_subb_co_u32_e32 v10, vcc, v10, v11, vcc
	v_add_co_u32_e32 v3, vcc, 4, v3
	v_addc_co_u32_e32 v10, vcc, 0, v10, vcc
	v_cndmask_b32_e64 v11, v10, v5, s[2:3]
	v_cndmask_b32_e64 v10, v3, v4, s[2:3]
	s_branch .LBB73_19
.LBB73_17:
                                        ; implicit-def: $vgpr10_vgpr11
	s_cbranch_execz .LBB73_19
; %bb.18:
	s_lshl_b64 s[2:3], s[20:21], 5
	v_mov_b32_e32 v3, s3
	v_add_co_u32_e32 v10, vcc, s2, v4
	v_addc_co_u32_e32 v11, vcc, v5, v3, vcc
	v_add_co_u32_e32 v12, vcc, s2, v10
	v_addc_co_u32_e32 v13, vcc, v11, v3, vcc
	;; [unrolled: 2-line block ×3, first 2 shown]
	global_load_dword v3, v[4:5], off
	global_load_dword v17, v[10:11], off
	;; [unrolled: 1-line block ×4, first 2 shown]
	v_mul_u32_u24_e32 v10, 0x84, v15
	v_lshl_add_u32 v10, v2, 2, v10
	s_waitcnt vmcnt(3)
	ds_write_b32 v10, v3
	s_waitcnt vmcnt(2)
	ds_write_b32 v10, v17 offset:1056
	s_waitcnt vmcnt(1)
	ds_write_b32 v10, v22 offset:2112
	;; [unrolled: 2-line block ×3, first 2 shown]
	v_mov_b32_e32 v11, v5
	v_mov_b32_e32 v10, v4
.LBB73_19:
	v_lshlrev_b32_e32 v20, 2, v2
	v_lshlrev_b32_e32 v5, 2, v15
	v_lshl_or_b32 v3, v2, 7, v20
	v_cmp_gt_u32_e64 s[16:17], v5, v2
	v_lshl_add_u32 v3, v5, 2, v3
	s_waitcnt lgkmcnt(0)
	s_barrier
	s_and_saveexec_b64 s[2:3], s[16:17]
	s_cbranch_execz .LBB73_21
; %bb.20:
	s_movk_i32 s8, 0x210
	v_mad_u32_u24 v4, v15, s8, v20
	ds_read_b32 v4, v4
	s_waitcnt lgkmcnt(0)
	ds_write_b32 v3, v4
.LBB73_21:
	s_or_b64 exec, exec, s[2:3]
	v_or_b32_e32 v23, 1, v5
	v_cmp_ge_u32_e64 s[8:9], v5, v2
	s_and_saveexec_b64 s[2:3], s[8:9]
	s_cbranch_execz .LBB73_23
; %bb.22:
	s_movk_i32 s10, 0x84
	v_mad_u32_u24 v4, v23, s10, v20
	ds_read_b32 v4, v4
	s_waitcnt lgkmcnt(0)
	ds_write_b32 v3, v4 offset:4
.LBB73_23:
	s_or_b64 exec, exec, s[2:3]
	v_or_b32_e32 v4, 2, v5
	v_cmp_gt_u32_e64 s[10:11], v4, v2
	s_and_saveexec_b64 s[2:3], s[10:11]
	s_cbranch_execz .LBB73_25
; %bb.24:
	s_movk_i32 s12, 0x84
	v_mad_u32_u24 v4, v4, s12, v20
	ds_read_b32 v4, v4
	s_waitcnt lgkmcnt(0)
	ds_write_b32 v3, v4 offset:8
.LBB73_25:
	s_or_b64 exec, exec, s[2:3]
	v_or_b32_e32 v12, 3, v5
	v_cmp_gt_u32_e64 s[12:13], v12, v2
	v_cmp_le_u32_e32 vcc, v12, v2
                                        ; implicit-def: $vgpr4
	s_and_saveexec_b64 s[2:3], vcc
	s_xor_b64 s[2:3], exec, s[2:3]
; %bb.26:
	v_mul_u32_u24_e32 v4, 0x84, v12
                                        ; implicit-def: $vgpr12
                                        ; implicit-def: $vgpr3
; %bb.27:
	s_andn2_saveexec_b64 s[2:3], s[2:3]
	s_cbranch_execz .LBB73_29
; %bb.28:
	s_movk_i32 s14, 0x84
	v_mad_u32_u24 v4, v12, s14, v20
	ds_read_b32 v13, v4
	v_mul_u32_u24_e32 v4, 0x84, v12
	s_waitcnt lgkmcnt(0)
	ds_write_b32 v3, v13 offset:12
.LBB73_29:
	s_or_b64 exec, exec, s[2:3]
	s_movk_i32 s2, 0x210
	v_mad_u32_u24 v3, v15, s2, v20
	s_movk_i32 s2, 0x84
	s_waitcnt lgkmcnt(0)
	s_barrier
	v_lshlrev_b32_e32 v25, 2, v5
	ds_read_b32 v3, v3
	ds_read_b128 v[26:29], v25 offset:4544
	v_mad_u32_u24 v12, v23, s2, v20
	ds_read2_b32 v[12:13], v12 offset1:33
	v_add_u32_e32 v22, v20, v4
	ds_read_b32 v4, v22
	s_waitcnt lgkmcnt(2)
	v_fma_f32 v3, v3, v26, 0
	v_mov_b32_e32 v30, 0
	s_waitcnt lgkmcnt(1)
	v_fmac_f32_e32 v3, v12, v27
	v_fmac_f32_e32 v3, v13, v28
	s_waitcnt lgkmcnt(0)
	v_fmac_f32_e32 v3, v4, v29
	v_mul_u32_u24_e32 v4, 33, v2
	v_lshlrev_b32_e32 v17, 2, v4
	v_lshl_add_u32 v21, v15, 2, v17
	v_cmp_gt_u32_e64 s[2:3], 32, v14
	s_barrier
	ds_write_b32 v21, v3
	s_waitcnt lgkmcnt(0)
	s_barrier
	s_and_saveexec_b64 s[14:15], s[2:3]
	s_cbranch_execz .LBB73_31
; %bb.30:
	ds_read2_b32 v[3:4], v17 offset1:1
	ds_read2_b32 v[12:13], v17 offset0:2 offset1:3
	ds_read2_b32 v[26:27], v17 offset0:4 offset1:5
	;; [unrolled: 1-line block ×3, first 2 shown]
	s_waitcnt lgkmcnt(3)
	v_add_f32_e32 v3, v3, v4
	s_waitcnt lgkmcnt(2)
	v_add_f32_e32 v3, v3, v12
	v_add_f32_e32 v3, v3, v13
	s_waitcnt lgkmcnt(1)
	v_add_f32_e32 v3, v3, v26
	;; [unrolled: 3-line block ×3, first 2 shown]
	v_add_f32_e32 v30, v3, v29
.LBB73_31:
	s_or_b64 exec, exec, s[14:15]
	s_lshl_b64 s[14:15], s[20:21], 7
	v_mov_b32_e32 v3, s15
	v_add_co_u32_e32 v12, vcc, s14, v10
	v_addc_co_u32_e32 v13, vcc, v11, v3, vcc
	v_add_co_u32_e32 v10, vcc, 0x80, v12
	v_addc_co_u32_e32 v11, vcc, 0, v13, vcc
	s_lshl_b64 s[30:31], s[20:21], 5
	s_and_b64 vcc, exec, s[22:23]
	s_barrier
	s_cbranch_vccz .LBB73_41
; %bb.32:
	v_sub_co_u32_e32 v4, vcc, v12, v16
	s_ashr_i32 s25, s24, 31
	v_subbrev_co_u32_e32 v26, vcc, 0, v13, vcc
	s_lshl_b64 s[36:37], s[24:25], 2
	v_mov_b32_e32 v27, s37
	v_add_co_u32_e32 v4, vcc, s36, v4
	v_addc_co_u32_e32 v26, vcc, v26, v27, vcc
	v_or_b32_e32 v3, 32, v2
	v_add_co_u32_e32 v27, vcc, -4, v4
	v_addc_co_u32_e32 v4, vcc, -1, v26, vcc
	v_cmp_gt_i32_e64 s[14:15], s24, v3
	s_sub_i32 s25, s24, 32
	v_mov_b32_e32 v24, 0
	v_cndmask_b32_e64 v4, v4, v11, s[14:15]
	v_cndmask_b32_e64 v3, v27, v10, s[14:15]
	v_cmp_gt_i32_e32 vcc, s25, v15
	v_mov_b32_e32 v27, 0
	s_and_saveexec_b64 s[38:39], vcc
	s_cbranch_execz .LBB73_34
; %bb.33:
	global_load_dword v27, v[3:4], off
.LBB73_34:
	s_or_b64 exec, exec, s[38:39]
	s_movk_i32 s38, 0x84
	v_mad_u32_u24 v28, v15, s38, v20
	s_waitcnt vmcnt(0)
	ds_write_b32 v28, v27
	v_add_u32_e32 v27, 8, v15
	v_mul_u32_u24_e32 v26, 0x84, v15
	v_cmp_gt_i32_e32 vcc, s25, v27
	s_and_saveexec_b64 s[38:39], vcc
	s_cbranch_execz .LBB73_36
; %bb.35:
	v_mov_b32_e32 v24, s31
	v_add_co_u32_e32 v27, vcc, s30, v3
	v_addc_co_u32_e32 v28, vcc, v4, v24, vcc
	global_load_dword v24, v[27:28], off
.LBB73_36:
	s_or_b64 exec, exec, s[38:39]
	v_add_u32_e32 v26, v26, v20
	s_waitcnt vmcnt(0)
	ds_write_b32 v26, v24 offset:1056
	v_add_u32_e32 v24, 16, v15
	v_cmp_gt_i32_e32 vcc, s25, v24
	v_mov_b32_e32 v24, 0
	v_mov_b32_e32 v27, 0
	s_and_saveexec_b64 s[38:39], vcc
	s_cbranch_execz .LBB73_38
; %bb.37:
	s_lshl_b64 s[42:43], s[20:21], 6
	v_mov_b32_e32 v28, s43
	v_add_co_u32_e32 v27, vcc, s42, v3
	v_addc_co_u32_e32 v28, vcc, v4, v28, vcc
	global_load_dword v27, v[27:28], off
.LBB73_38:
	s_or_b64 exec, exec, s[38:39]
	s_waitcnt vmcnt(0)
	ds_write_b32 v26, v27 offset:2112
	v_add_u32_e32 v27, 24, v15
	v_cmp_gt_i32_e32 vcc, s25, v27
	s_and_saveexec_b64 s[38:39], vcc
	s_cbranch_execz .LBB73_40
; %bb.39:
	v_mov_b32_e32 v24, 0x60
	v_mad_u64_u32 v[27:28], s[42:43], s20, v24, v[3:4]
	s_mul_i32 s25, s21, 0x60
	v_add_u32_e32 v28, s25, v28
	global_load_dword v24, v[27:28], off
.LBB73_40:
	s_or_b64 exec, exec, s[38:39]
	v_add_co_u32_e32 v3, vcc, v3, v16
	v_addc_co_u32_e32 v4, vcc, 0, v4, vcc
	s_waitcnt vmcnt(0)
	ds_write_b32 v26, v24 offset:3168
	v_mov_b32_e32 v24, s37
	v_subrev_co_u32_e32 v3, vcc, s36, v3
	v_subb_co_u32_e32 v4, vcc, v4, v24, vcc
	v_add_co_u32_e32 v3, vcc, 0x84, v3
	v_addc_co_u32_e32 v4, vcc, 0, v4, vcc
	v_cndmask_b32_e64 v4, v4, v11, s[14:15]
	v_cndmask_b32_e64 v3, v3, v10, s[14:15]
	v_mul_u32_u24_e32 v24, 0x210, v15
	s_branch .LBB73_43
.LBB73_41:
                                        ; implicit-def: $vgpr3_vgpr4
	v_mul_u32_u24_e32 v24, 0x210, v15
	s_cbranch_execz .LBB73_43
; %bb.42:
	v_mov_b32_e32 v29, s31
	v_add_co_u32_e32 v3, vcc, s30, v12
	v_addc_co_u32_e32 v4, vcc, v13, v29, vcc
	v_add_co_u32_e32 v26, vcc, s30, v3
	v_addc_co_u32_e32 v27, vcc, v4, v29, vcc
	;; [unrolled: 2-line block ×3, first 2 shown]
	global_load_dword v31, v[12:13], off offset:128
	global_load_dword v32, v[3:4], off offset:128
	;; [unrolled: 1-line block ×4, first 2 shown]
	s_movk_i32 s14, 0x84
	v_mad_u32_u24 v3, v15, s14, v20
	s_waitcnt vmcnt(3)
	ds_write_b32 v3, v31
	s_waitcnt vmcnt(2)
	ds_write_b32 v3, v32 offset:1056
	s_waitcnt vmcnt(1)
	ds_write_b32 v3, v33 offset:2112
	;; [unrolled: 2-line block ×3, first 2 shown]
	v_mov_b32_e32 v3, v10
	v_mov_b32_e32 v4, v11
.LBB73_43:
	v_mul_u32_u24_e32 v11, 0x84, v23
	v_add_u32_e32 v23, v20, v24
	v_lshl_add_u32 v10, v5, 2, v17
	s_waitcnt lgkmcnt(0)
	s_barrier
	s_and_saveexec_b64 s[14:15], s[16:17]
	s_cbranch_execnz .LBB73_60
; %bb.44:
	s_or_b64 exec, exec, s[14:15]
	v_add_u32_e32 v24, v20, v11
	s_and_saveexec_b64 s[14:15], s[8:9]
	s_cbranch_execnz .LBB73_61
.LBB73_45:
	s_or_b64 exec, exec, s[14:15]
	s_and_saveexec_b64 s[8:9], s[10:11]
	s_cbranch_execnz .LBB73_62
.LBB73_46:
	s_or_b64 exec, exec, s[8:9]
	v_add_u32_e32 v25, 0x11c0, v25
	s_and_saveexec_b64 s[8:9], s[12:13]
	s_cbranch_execz .LBB73_48
.LBB73_47:
	ds_read_b32 v11, v22
	s_waitcnt lgkmcnt(0)
	ds_write_b32 v10, v11 offset:12
.LBB73_48:
	s_or_b64 exec, exec, s[8:9]
	s_waitcnt lgkmcnt(0)
	s_barrier
	ds_read_b32 v28, v23
	ds_read_b128 v[10:13], v25 offset:128
	ds_read2_b32 v[26:27], v24 offset1:33
	ds_read_b32 v29, v22
	v_cmp_eq_u32_e64 s[8:9], 1, v15
	s_waitcnt lgkmcnt(0)
	v_fma_f32 v10, v28, v10, 0
	v_fmac_f32_e32 v10, v26, v11
	v_fmac_f32_e32 v10, v27, v12
	;; [unrolled: 1-line block ×3, first 2 shown]
	s_barrier
	ds_write_b32 v21, v10
	s_waitcnt lgkmcnt(0)
	s_barrier
	s_and_saveexec_b64 s[10:11], s[8:9]
	s_cbranch_execz .LBB73_50
; %bb.49:
	ds_read2_b32 v[10:11], v17 offset1:1
	ds_read2_b32 v[12:13], v17 offset0:2 offset1:3
	ds_read2_b32 v[26:27], v17 offset0:4 offset1:5
	;; [unrolled: 1-line block ×3, first 2 shown]
	s_waitcnt lgkmcnt(3)
	v_add_f32_e32 v10, v10, v11
	s_waitcnt lgkmcnt(2)
	v_add_f32_e32 v10, v10, v12
	v_add_f32_e32 v10, v10, v13
	s_waitcnt lgkmcnt(1)
	v_add_f32_e32 v10, v10, v26
	;; [unrolled: 3-line block ×3, first 2 shown]
	v_add_f32_e32 v30, v10, v29
.LBB73_50:
	s_or_b64 exec, exec, s[10:11]
	v_add_co_u32_e32 v12, vcc, 0xffffff80, v3
	v_addc_co_u32_e32 v13, vcc, -1, v4, vcc
	s_and_b64 vcc, exec, s[22:23]
	s_barrier
	s_cbranch_vccz .LBB73_63
; %bb.51:
	v_sub_co_u32_e32 v10, vcc, v3, v16
	s_ashr_i32 s25, s24, 31
	v_subbrev_co_u32_e32 v11, vcc, 0, v4, vcc
	s_lshl_b64 s[12:13], s[24:25], 2
	v_mov_b32_e32 v27, s13
	v_add_co_u32_e32 v10, vcc, s12, v10
	v_addc_co_u32_e32 v11, vcc, v11, v27, vcc
	v_add_co_u32_e32 v10, vcc, 0xffffff7c, v10
	v_addc_co_u32_e32 v11, vcc, -1, v11, vcc
	v_cmp_gt_i32_e32 vcc, s24, v2
	s_sub_i32 s16, s24, 32
	v_mov_b32_e32 v26, 0
	v_cndmask_b32_e32 v11, v11, v13, vcc
	v_cndmask_b32_e32 v10, v10, v12, vcc
	v_cmp_gt_i32_e64 s[10:11], s16, v15
	v_mov_b32_e32 v2, 0
	s_and_saveexec_b64 s[14:15], s[10:11]
	s_cbranch_execz .LBB73_53
; %bb.52:
	global_load_dword v2, v[10:11], off
.LBB73_53:
	s_or_b64 exec, exec, s[14:15]
	s_movk_i32 s10, 0x84
	v_mad_u32_u24 v28, v15, s10, v20
	s_waitcnt vmcnt(0)
	ds_write_b32 v28, v2
	v_add_u32_e32 v2, 8, v15
	v_mul_u32_u24_e32 v27, 0x84, v15
	v_cmp_gt_i32_e64 s[10:11], s16, v2
	s_and_saveexec_b64 s[14:15], s[10:11]
	s_cbranch_execz .LBB73_55
; %bb.54:
	v_mov_b32_e32 v26, s31
	v_add_co_u32_e64 v28, s[10:11], s30, v10
	v_addc_co_u32_e64 v29, s[10:11], v11, v26, s[10:11]
	global_load_dword v26, v[28:29], off
.LBB73_55:
	s_or_b64 exec, exec, s[14:15]
	v_add_u32_e32 v28, v27, v20
	s_waitcnt vmcnt(0)
	ds_write_b32 v28, v26 offset:1056
	v_add_u32_e32 v26, 16, v15
	v_cmp_gt_i32_e64 s[10:11], s16, v26
	v_mov_b32_e32 v29, 0
	v_mov_b32_e32 v27, 0
	s_and_saveexec_b64 s[14:15], s[10:11]
	s_cbranch_execz .LBB73_57
; %bb.56:
	s_lshl_b64 s[10:11], s[20:21], 6
	v_mov_b32_e32 v27, s11
	v_add_co_u32_e64 v31, s[10:11], s10, v10
	v_addc_co_u32_e64 v32, s[10:11], v11, v27, s[10:11]
	global_load_dword v27, v[31:32], off
.LBB73_57:
	s_or_b64 exec, exec, s[14:15]
	s_waitcnt vmcnt(0)
	ds_write_b32 v28, v27 offset:2112
	v_add_u32_e32 v27, 24, v15
	v_cmp_gt_i32_e64 s[10:11], s16, v27
	s_and_saveexec_b64 s[14:15], s[10:11]
	s_cbranch_execz .LBB73_59
; %bb.58:
	v_mov_b32_e32 v29, 0x60
	v_mad_u64_u32 v[31:32], s[10:11], s20, v29, v[10:11]
	s_mul_i32 s10, s21, 0x60
	v_add_u32_e32 v32, s10, v32
	global_load_dword v29, v[31:32], off
.LBB73_59:
	s_or_b64 exec, exec, s[14:15]
	v_add_co_u32_e64 v10, s[10:11], v10, v16
	v_addc_co_u32_e64 v11, s[10:11], 0, v11, s[10:11]
	v_mov_b32_e32 v16, s13
	v_subrev_co_u32_e64 v10, s[10:11], s12, v10
	v_subb_co_u32_e64 v11, s[10:11], v11, v16, s[10:11]
	v_add_co_u32_e64 v10, s[10:11], 4, v10
	v_addc_co_u32_e64 v11, s[10:11], 0, v11, s[10:11]
	s_waitcnt vmcnt(0)
	ds_write_b32 v28, v29 offset:3168
	v_cndmask_b32_e32 v11, v11, v13, vcc
	v_cndmask_b32_e32 v10, v10, v12, vcc
	s_branch .LBB73_65
.LBB73_60:
	ds_read_b32 v12, v23
	s_waitcnt lgkmcnt(0)
	ds_write_b32 v10, v12
	s_or_b64 exec, exec, s[14:15]
	v_add_u32_e32 v24, v20, v11
	s_and_saveexec_b64 s[14:15], s[8:9]
	s_cbranch_execz .LBB73_45
.LBB73_61:
	ds_read_b32 v11, v24
	s_waitcnt lgkmcnt(0)
	ds_write_b32 v10, v11 offset:4
	s_or_b64 exec, exec, s[14:15]
	s_and_saveexec_b64 s[8:9], s[10:11]
	s_cbranch_execz .LBB73_46
.LBB73_62:
	ds_read_b32 v11, v24 offset:132
	s_waitcnt lgkmcnt(0)
	ds_write_b32 v10, v11 offset:8
	s_or_b64 exec, exec, s[8:9]
	v_add_u32_e32 v25, 0x11c0, v25
	s_and_saveexec_b64 s[8:9], s[12:13]
	s_cbranch_execnz .LBB73_47
	s_branch .LBB73_48
.LBB73_63:
                                        ; implicit-def: $vgpr10_vgpr11
                                        ; implicit-def: $vgpr2
                                        ; implicit-def: $vgpr26
                                        ; implicit-def: $vgpr27
	s_cbranch_execz .LBB73_65
; %bb.64:
	v_mov_b32_e32 v2, s31
	v_add_co_u32_e32 v10, vcc, s30, v3
	v_addc_co_u32_e32 v11, vcc, v4, v2, vcc
	v_add_co_u32_e32 v26, vcc, s30, v10
	v_addc_co_u32_e32 v27, vcc, v11, v2, vcc
	;; [unrolled: 2-line block ×3, first 2 shown]
	global_load_dword v16, v[3:4], off offset:-128
	global_load_dword v31, v[10:11], off offset:-128
	;; [unrolled: 1-line block ×4, first 2 shown]
	s_movk_i32 s10, 0x84
	v_mov_b32_e32 v10, v12
	v_add_u32_e32 v2, 8, v15
	v_add_u32_e32 v26, 16, v15
	;; [unrolled: 1-line block ×3, first 2 shown]
	v_mad_u32_u24 v3, v15, s10, v20
	v_mov_b32_e32 v11, v13
	s_waitcnt vmcnt(3)
	ds_write_b32 v3, v16
	s_waitcnt vmcnt(2)
	ds_write_b32 v3, v31 offset:1056
	s_waitcnt vmcnt(1)
	ds_write_b32 v3, v32 offset:2112
	;; [unrolled: 2-line block ×3, first 2 shown]
.LBB73_65:
	v_add_u32_e32 v3, v17, v5
	s_waitcnt lgkmcnt(0)
	s_barrier
	ds_read_b32 v20, v3
	ds_read_b32 v28, v5 offset:4544
	v_lshlrev_b32_e32 v2, 2, v2
	v_lshlrev_b32_e32 v4, 2, v26
	;; [unrolled: 1-line block ×3, first 2 shown]
	v_add_u32_e32 v3, v17, v2
	v_add_u32_e32 v5, v17, v4
	v_add_u32_e32 v13, v17, v12
	ds_read_b32 v26, v3
	ds_read_b32 v27, v5
	ds_read_b32 v29, v13
	ds_read_b32 v15, v23
	ds_read_b32 v23, v12 offset:4544
	ds_read_b32 v31, v4 offset:4544
	;; [unrolled: 1-line block ×3, first 2 shown]
	ds_read2_b32 v[12:13], v24 offset1:33
	ds_read_b128 v[2:5], v25 offset:128
	ds_read_b32 v16, v22
	s_waitcnt lgkmcnt(10)
	v_fma_f32 v20, v20, v28, 0
	s_waitcnt lgkmcnt(3)
	v_fmac_f32_e32 v20, v26, v32
	v_fmac_f32_e32 v20, v27, v31
	;; [unrolled: 1-line block ×3, first 2 shown]
	s_waitcnt lgkmcnt(0)
	s_barrier
	ds_write_b32 v21, v20
	s_waitcnt lgkmcnt(0)
	s_barrier
	s_and_saveexec_b64 s[10:11], s[8:9]
	s_cbranch_execz .LBB73_67
; %bb.66:
	ds_read2_b32 v[22:23], v17 offset1:1
	ds_read2_b32 v[24:25], v17 offset0:2 offset1:3
	ds_read2_b32 v[26:27], v17 offset0:4 offset1:5
	;; [unrolled: 1-line block ×3, first 2 shown]
	s_waitcnt lgkmcnt(3)
	v_add_f32_e32 v20, v30, v22
	v_add_f32_e32 v20, v20, v23
	s_waitcnt lgkmcnt(2)
	v_add_f32_e32 v20, v20, v24
	v_add_f32_e32 v20, v20, v25
	;; [unrolled: 3-line block ×4, first 2 shown]
.LBB73_67:
	s_or_b64 exec, exec, s[10:11]
	v_fma_f32 v2, v15, v2, 0
	v_fmac_f32_e32 v2, v12, v3
	v_fmac_f32_e32 v2, v13, v4
	;; [unrolled: 1-line block ×3, first 2 shown]
	s_barrier
	ds_write_b32 v21, v2
	s_waitcnt lgkmcnt(0)
	s_barrier
	s_and_saveexec_b64 s[8:9], s[2:3]
	s_cbranch_execz .LBB73_69
; %bb.68:
	ds_read2_b32 v[2:3], v17 offset1:1
	ds_read2_b32 v[4:5], v17 offset0:2 offset1:3
	ds_read2_b32 v[12:13], v17 offset0:4 offset1:5
	;; [unrolled: 1-line block ×3, first 2 shown]
	s_waitcnt lgkmcnt(3)
	v_add_f32_e32 v2, v30, v2
	v_add_f32_e32 v2, v2, v3
	s_waitcnt lgkmcnt(2)
	v_add_f32_e32 v2, v2, v4
	v_add_f32_e32 v2, v2, v5
	;; [unrolled: 3-line block ×4, first 2 shown]
.LBB73_69:
	s_or_b64 exec, exec, s[8:9]
	s_load_dwordx2 s[2:3], s[4:5], 0x60
	s_mul_hi_u32 s4, s34, s7
	s_mul_i32 s40, s40, s7
	s_add_i32 s4, s4, s40
	s_mul_i32 s7, s34, s7
	s_mul_i32 s4, s4, s33
	s_mul_hi_u32 s5, s7, s33
	s_add_i32 s5, s5, s4
	s_mul_i32 s4, s7, s33
	s_lshl_b64 s[4:5], s[4:5], 2
	s_waitcnt lgkmcnt(0)
	s_add_u32 s4, s2, s4
	s_addc_u32 s5, s3, s5
	s_mul_hi_i32 s3, s34, s6
	s_mul_i32 s2, s34, s6
	s_lshl_b64 s[2:3], s[2:3], 2
	s_add_u32 s7, s4, s2
	s_addc_u32 s14, s5, s3
	s_add_i32 s2, s6, 1
	s_cmp_ge_u32 s2, s33
	v_lshlrev_b32_e32 v31, 2, v0
	s_barrier
	s_cbranch_scc1 .LBB73_126
; %bb.70:
	v_lshlrev_b32_e32 v15, 4, v1
	v_add_u32_e32 v4, 0x80, v15
	v_mad_u64_u32 v[2:3], s[2:3], s20, v4, 0
	v_add_u32_e32 v12, 0x88, v15
	s_movk_i32 s4, 0x430
	v_mad_u64_u32 v[3:4], s[2:3], s21, v4, v[3:4]
	v_mad_u64_u32 v[4:5], s[2:3], s20, v12, 0
	v_sub_co_u32_e32 v16, vcc, v2, v8
	v_mov_b32_e32 v2, v5
	v_subb_co_u32_e32 v17, vcc, v3, v9, vcc
	v_mad_u64_u32 v[2:3], s[2:3], s21, v12, v[2:3]
	v_add_u32_e32 v3, 0x8c, v15
	v_mad_u64_u32 v[12:13], s[2:3], s20, v3, 0
	v_sub_co_u32_e32 v20, vcc, v4, v8
	v_subb_co_u32_e32 v21, vcc, v2, v9, vcc
	v_mov_b32_e32 v2, v13
	v_mad_u64_u32 v[2:3], s[2:3], s21, v3, v[2:3]
	v_add_u32_e32 v5, 0x84, v15
	v_mad_u64_u32 v[3:4], s[2:3], s20, v5, 0
	v_sub_co_u32_e32 v22, vcc, v12, v8
	v_subb_co_u32_e32 v23, vcc, v2, v9, vcc
	v_mov_b32_e32 v2, v4
	v_mad_u64_u32 v[4:5], s[2:3], s21, v5, v[2:3]
	v_add_u32_e32 v5, 0xc0, v15
	v_mad_u64_u32 v[12:13], s[2:3], s20, v5, 0
	v_sub_co_u32_e32 v24, vcc, v3, v8
	v_mov_b32_e32 v2, v13
	v_mad_u64_u32 v[2:3], s[2:3], s21, v5, v[2:3]
	v_add_u32_e32 v5, 0xc4, v15
	v_subb_co_u32_e32 v25, vcc, v4, v9, vcc
	v_mad_u64_u32 v[3:4], s[2:3], s20, v5, 0
	v_sub_co_u32_e32 v26, vcc, v12, v8
	v_subb_co_u32_e32 v27, vcc, v2, v9, vcc
	v_mov_b32_e32 v2, v4
	v_mad_u64_u32 v[4:5], s[2:3], s21, v5, v[2:3]
	v_add_u32_e32 v5, 0xc8, v15
	v_mad_u64_u32 v[12:13], s[2:3], s20, v5, 0
	v_sub_co_u32_e32 v28, vcc, v3, v8
	v_mov_b32_e32 v2, v13
	v_mad_u64_u32 v[2:3], s[2:3], s21, v5, v[2:3]
	v_add_u32_e32 v5, 0xcc, v15
	v_subb_co_u32_e32 v29, vcc, v4, v9, vcc
	;; [unrolled: 12-line block ×6, first 2 shown]
	v_mad_u64_u32 v[3:4], s[2:3], s20, v5, 0
	v_sub_co_u32_e32 v12, vcc, v12, v8
	v_subb_co_u32_e32 v13, vcc, v2, v9, vcc
	v_mov_b32_e32 v2, v4
	v_mad_u64_u32 v[4:5], s[2:3], s21, v5, v[2:3]
	s_mul_i32 s2, s28, s27
	s_mul_hi_u32 s3, s28, s26
	s_add_i32 s2, s3, s2
	s_mul_i32 s3, s29, s26
	v_sub_co_u32_e32 v2, vcc, v3, v8
	s_add_i32 s3, s2, s3
	s_mul_i32 s2, s28, s26
	v_subb_co_u32_e32 v3, vcc, v4, v9, vcc
	s_lshl_b64 s[2:3], s[2:3], 2
	v_mov_b32_e32 v4, s3
	v_subrev_co_u32_e32 v32, vcc, s2, v6
	v_subb_co_u32_e32 v33, vcc, v7, v4, vcc
	v_add_co_u32_e32 v34, vcc, v10, v16
	v_addc_co_u32_e32 v35, vcc, v11, v17, vcc
	v_add_co_u32_e32 v36, vcc, v10, v20
	v_addc_co_u32_e32 v37, vcc, v11, v21, vcc
	;; [unrolled: 2-line block ×15, first 2 shown]
	v_add_co_u32_e32 v64, vcc, v10, v2
	v_lshrrev_b32_e32 v2, 2, v14
	v_addc_co_u32_e32 v65, vcc, v11, v3, vcc
	s_movk_i32 s2, 0x10c
	v_and_b32_e32 v2, 0x1ffc, v2
	v_and_b32_e32 v3, 15, v0
	v_mad_u32_u24 v66, v3, s2, v2
	v_and_b32_e32 v2, 48, v0
	v_lshlrev_b32_e32 v2, 2, v2
	v_mad_u32_u24 v67, v3, s2, v2
	v_or_b32_e32 v2, 60, v31
	v_mad_u32_u24 v68, v3, s2, v2
	v_mul_u32_u24_e32 v2, 0x10c, v3
	v_and_b32_e32 v3, 0x7ff0, v14
	v_lshlrev_b32_e32 v71, 2, v1
	v_cmp_gt_u32_e64 s[2:3], 64, v14
	v_add_u32_e32 v69, v2, v3
	s_add_i32 s15, s33, -2
	v_add_u32_e32 v70, 0x10c0, v15
	s_add_i32 s16, s26, 64
	s_lshl_b64 s[8:9], s[20:21], 8
	v_add_u32_e32 v72, 0x10c0, v31
	v_add_u32_e32 v73, 0x11c0, v31
	v_mad_u32_u24 v74, v1, s4, v31
	v_or_b32_e32 v75, 1, v71
	v_or_b32_e32 v76, 2, v71
	;; [unrolled: 1-line block ×3, first 2 shown]
	v_add_u32_e32 v78, 16, v71
	v_add_u32_e32 v79, 17, v71
	;; [unrolled: 1-line block ×12, first 2 shown]
	s_cmp_eq_u32 s15, s6
	s_cselect_b32 s17, s35, 0
	s_and_saveexec_b64 s[4:5], s[0:1]
	s_cbranch_execz .LBB73_74
.LBB73_71:
	s_cmp_eq_u32 s17, 0
	s_cselect_b64 s[10:11], -1, 0
	v_cmp_gt_i32_e32 vcc, s17, v0
	s_or_b64 s[12:13], s[10:11], vcc
	v_mov_b32_e32 v2, 0
	s_and_saveexec_b64 s[10:11], s[12:13]
	s_cbranch_execz .LBB73_73
; %bb.72:
	s_ashr_i32 s12, s16, 31
	s_mul_hi_u32 s13, s28, s16
	s_mul_i32 s12, s28, s12
	s_add_i32 s12, s13, s12
	s_mul_i32 s13, s29, s16
	s_add_i32 s13, s12, s13
	s_mul_i32 s12, s28, s16
	s_lshl_b64 s[12:13], s[12:13], 2
	v_mov_b32_e32 v3, s13
	v_add_co_u32_e32 v2, vcc, s12, v32
	v_addc_co_u32_e32 v3, vcc, v33, v3, vcc
	global_load_dword v2, v[2:3], off
.LBB73_73:
	s_or_b64 exec, exec, s[10:11]
	s_waitcnt vmcnt(0)
	ds_write_b32 v72, v2
.LBB73_74:                              ; =>This Inner Loop Header: Depth=1
	s_or_b64 exec, exec, s[4:5]
	s_cmp_eq_u32 s17, 0
	v_add_co_u32_e32 v2, vcc, v34, v31
	s_cselect_b64 s[10:11], -1, 0
	s_cmp_lg_u32 s17, 0
	v_addc_co_u32_e32 v3, vcc, 0, v35, vcc
	s_cselect_b64 s[12:13], -1, 0
	s_mov_b64 s[4:5], -1
	s_and_b64 vcc, exec, s[12:13]
	s_waitcnt lgkmcnt(0)
	s_barrier
                                        ; implicit-def: $vgpr93
                                        ; implicit-def: $vgpr92
                                        ; implicit-def: $vgpr91
                                        ; implicit-def: $vgpr90
	s_cbranch_vccz .LBB73_84
; %bb.75:                               ;   in Loop: Header=BB73_74 Depth=1
	v_cmp_gt_i32_e32 vcc, s17, v71
	v_mov_b32_e32 v91, 0
	v_mov_b32_e32 v90, 0
	s_and_saveexec_b64 s[4:5], vcc
	s_cbranch_execz .LBB73_77
; %bb.76:                               ;   in Loop: Header=BB73_74 Depth=1
	global_load_dword v90, v[2:3], off
.LBB73_77:                              ;   in Loop: Header=BB73_74 Depth=1
	s_or_b64 exec, exec, s[4:5]
	v_cmp_gt_i32_e32 vcc, s17, v75
	s_and_saveexec_b64 s[4:5], vcc
	s_cbranch_execz .LBB73_79
; %bb.78:                               ;   in Loop: Header=BB73_74 Depth=1
	v_add_co_u32_e32 v4, vcc, v40, v31
	v_addc_co_u32_e32 v5, vcc, 0, v41, vcc
	global_load_dword v91, v[4:5], off
.LBB73_79:                              ;   in Loop: Header=BB73_74 Depth=1
	s_or_b64 exec, exec, s[4:5]
	v_cmp_gt_i32_e32 vcc, s17, v76
	v_mov_b32_e32 v93, 0
	v_mov_b32_e32 v92, 0
	s_and_saveexec_b64 s[4:5], vcc
	s_cbranch_execz .LBB73_81
; %bb.80:                               ;   in Loop: Header=BB73_74 Depth=1
	v_add_co_u32_e32 v4, vcc, v36, v31
	v_addc_co_u32_e32 v5, vcc, 0, v37, vcc
	global_load_dword v92, v[4:5], off
.LBB73_81:                              ;   in Loop: Header=BB73_74 Depth=1
	s_or_b64 exec, exec, s[4:5]
	v_cmp_gt_i32_e32 vcc, s17, v77
	s_and_saveexec_b64 s[4:5], vcc
	s_cbranch_execz .LBB73_83
; %bb.82:                               ;   in Loop: Header=BB73_74 Depth=1
	v_add_co_u32_e32 v4, vcc, v38, v31
	v_addc_co_u32_e32 v5, vcc, 0, v39, vcc
	global_load_dword v93, v[4:5], off
.LBB73_83:                              ;   in Loop: Header=BB73_74 Depth=1
	s_or_b64 exec, exec, s[4:5]
	s_mov_b64 s[4:5], 0
.LBB73_84:                              ;   in Loop: Header=BB73_74 Depth=1
	s_and_b64 vcc, exec, s[4:5]
	s_cbranch_vccz .LBB73_86
; %bb.85:                               ;   in Loop: Header=BB73_74 Depth=1
	global_load_dword v90, v[2:3], off
	v_add_co_u32_e32 v2, vcc, v40, v31
	v_addc_co_u32_e32 v3, vcc, 0, v41, vcc
	global_load_dword v91, v[2:3], off
	v_add_co_u32_e32 v2, vcc, v36, v31
	v_addc_co_u32_e32 v3, vcc, 0, v37, vcc
	;; [unrolled: 3-line block ×3, first 2 shown]
	global_load_dword v93, v[2:3], off
.LBB73_86:                              ;   in Loop: Header=BB73_74 Depth=1
	ds_read_b32 v6, v73
	ds_read_b128 v[2:5], v70
                                        ; implicit-def: $vgpr97
                                        ; implicit-def: $vgpr96
                                        ; implicit-def: $vgpr95
                                        ; implicit-def: $vgpr94
	s_waitcnt vmcnt(0) lgkmcnt(1)
	v_mul_f32_e32 v7, v90, v6
	v_mul_f32_e32 v8, v91, v6
	;; [unrolled: 1-line block ×4, first 2 shown]
	ds_write2_b32 v74, v7, v8 offset1:67
	ds_write2_b32 v74, v9, v6 offset0:134 offset1:201
	s_waitcnt lgkmcnt(0)
	s_barrier
	ds_read2_b32 v[22:23], v69 offset1:1
	ds_read2_b32 v[20:21], v69 offset0:2 offset1:3
	v_add_co_u32_e32 v6, vcc, v42, v31
	v_addc_co_u32_e32 v7, vcc, 0, v43, vcc
	v_cndmask_b32_e64 v8, 0, 1, s[12:13]
	v_cmp_ne_u32_e64 s[4:5], 1, v8
	s_andn2_b64 vcc, exec, s[12:13]
	s_mov_b64 s[12:13], -1
	s_waitcnt lgkmcnt(0)
	s_barrier
	s_cbranch_vccnz .LBB73_96
; %bb.87:                               ;   in Loop: Header=BB73_74 Depth=1
	v_cmp_gt_i32_e32 vcc, s17, v78
	v_mov_b32_e32 v95, 0
	v_mov_b32_e32 v94, 0
	s_and_saveexec_b64 s[12:13], vcc
	s_cbranch_execz .LBB73_89
; %bb.88:                               ;   in Loop: Header=BB73_74 Depth=1
	global_load_dword v94, v[6:7], off
.LBB73_89:                              ;   in Loop: Header=BB73_74 Depth=1
	s_or_b64 exec, exec, s[12:13]
	v_cmp_gt_i32_e32 vcc, s17, v79
	s_and_saveexec_b64 s[12:13], vcc
	s_cbranch_execz .LBB73_91
; %bb.90:                               ;   in Loop: Header=BB73_74 Depth=1
	v_add_co_u32_e32 v8, vcc, v44, v31
	v_addc_co_u32_e32 v9, vcc, 0, v45, vcc
	global_load_dword v95, v[8:9], off
.LBB73_91:                              ;   in Loop: Header=BB73_74 Depth=1
	s_or_b64 exec, exec, s[12:13]
	v_cmp_gt_i32_e32 vcc, s17, v80
	v_mov_b32_e32 v97, 0
	v_mov_b32_e32 v96, 0
	s_and_saveexec_b64 s[12:13], vcc
	s_cbranch_execz .LBB73_93
; %bb.92:                               ;   in Loop: Header=BB73_74 Depth=1
	v_add_co_u32_e32 v8, vcc, v46, v31
	v_addc_co_u32_e32 v9, vcc, 0, v47, vcc
	global_load_dword v96, v[8:9], off
.LBB73_93:                              ;   in Loop: Header=BB73_74 Depth=1
	s_or_b64 exec, exec, s[12:13]
	v_cmp_gt_i32_e32 vcc, s17, v81
	s_and_saveexec_b64 s[12:13], vcc
	s_cbranch_execz .LBB73_95
; %bb.94:                               ;   in Loop: Header=BB73_74 Depth=1
	v_add_co_u32_e32 v8, vcc, v48, v31
	v_addc_co_u32_e32 v9, vcc, 0, v49, vcc
	global_load_dword v97, v[8:9], off
.LBB73_95:                              ;   in Loop: Header=BB73_74 Depth=1
	s_or_b64 exec, exec, s[12:13]
	s_mov_b64 s[12:13], 0
.LBB73_96:                              ;   in Loop: Header=BB73_74 Depth=1
	s_and_b64 vcc, exec, s[12:13]
	s_cbranch_vccz .LBB73_98
; %bb.97:                               ;   in Loop: Header=BB73_74 Depth=1
	global_load_dword v94, v[6:7], off
	v_add_co_u32_e32 v6, vcc, v44, v31
	v_addc_co_u32_e32 v7, vcc, 0, v45, vcc
	global_load_dword v95, v[6:7], off
	v_add_co_u32_e32 v6, vcc, v46, v31
	v_addc_co_u32_e32 v7, vcc, 0, v47, vcc
	;; [unrolled: 3-line block ×3, first 2 shown]
	global_load_dword v97, v[6:7], off
.LBB73_98:                              ;   in Loop: Header=BB73_74 Depth=1
	ds_read_b32 v10, v73
	ds_read_b128 v[6:9], v70 offset:64
	s_mov_b64 s[12:13], -1
                                        ; implicit-def: $vgpr101
                                        ; implicit-def: $vgpr100
                                        ; implicit-def: $vgpr99
                                        ; implicit-def: $vgpr98
	s_waitcnt vmcnt(0) lgkmcnt(1)
	v_mul_f32_e32 v11, v94, v10
	v_mul_f32_e32 v12, v95, v10
	;; [unrolled: 1-line block ×4, first 2 shown]
	ds_write2_b32 v74, v11, v12 offset1:67
	ds_write2_b32 v74, v13, v10 offset0:134 offset1:201
	s_waitcnt lgkmcnt(0)
	s_barrier
	ds_read2_b32 v[16:17], v69 offset1:1
	ds_read2_b32 v[14:15], v69 offset0:2 offset1:3
	v_add_co_u32_e32 v10, vcc, v50, v31
	v_addc_co_u32_e32 v11, vcc, 0, v51, vcc
	s_and_b64 vcc, exec, s[4:5]
	s_waitcnt lgkmcnt(0)
	s_barrier
	s_cbranch_vccnz .LBB73_108
; %bb.99:                               ;   in Loop: Header=BB73_74 Depth=1
	v_cmp_gt_i32_e32 vcc, s17, v82
	v_mov_b32_e32 v99, 0
	v_mov_b32_e32 v98, 0
	s_and_saveexec_b64 s[12:13], vcc
	s_cbranch_execz .LBB73_101
; %bb.100:                              ;   in Loop: Header=BB73_74 Depth=1
	global_load_dword v98, v[10:11], off
.LBB73_101:                             ;   in Loop: Header=BB73_74 Depth=1
	s_or_b64 exec, exec, s[12:13]
	v_cmp_gt_i32_e32 vcc, s17, v83
	s_and_saveexec_b64 s[12:13], vcc
	s_cbranch_execz .LBB73_103
; %bb.102:                              ;   in Loop: Header=BB73_74 Depth=1
	v_add_co_u32_e32 v12, vcc, v52, v31
	v_addc_co_u32_e32 v13, vcc, 0, v53, vcc
	global_load_dword v99, v[12:13], off
.LBB73_103:                             ;   in Loop: Header=BB73_74 Depth=1
	s_or_b64 exec, exec, s[12:13]
	v_cmp_gt_i32_e32 vcc, s17, v84
	v_mov_b32_e32 v101, 0
	v_mov_b32_e32 v100, 0
	s_and_saveexec_b64 s[12:13], vcc
	s_cbranch_execz .LBB73_105
; %bb.104:                              ;   in Loop: Header=BB73_74 Depth=1
	v_add_co_u32_e32 v12, vcc, v54, v31
	v_addc_co_u32_e32 v13, vcc, 0, v55, vcc
	global_load_dword v100, v[12:13], off
.LBB73_105:                             ;   in Loop: Header=BB73_74 Depth=1
	s_or_b64 exec, exec, s[12:13]
	v_cmp_gt_i32_e32 vcc, s17, v85
	s_and_saveexec_b64 s[12:13], vcc
	s_cbranch_execz .LBB73_107
; %bb.106:                              ;   in Loop: Header=BB73_74 Depth=1
	v_add_co_u32_e32 v12, vcc, v56, v31
	v_addc_co_u32_e32 v13, vcc, 0, v57, vcc
	global_load_dword v101, v[12:13], off
.LBB73_107:                             ;   in Loop: Header=BB73_74 Depth=1
	s_or_b64 exec, exec, s[12:13]
	s_mov_b64 s[12:13], 0
.LBB73_108:                             ;   in Loop: Header=BB73_74 Depth=1
	s_and_b64 vcc, exec, s[12:13]
	s_cbranch_vccz .LBB73_110
; %bb.109:                              ;   in Loop: Header=BB73_74 Depth=1
	global_load_dword v98, v[10:11], off
	v_add_co_u32_e32 v10, vcc, v52, v31
	v_addc_co_u32_e32 v11, vcc, 0, v53, vcc
	global_load_dword v99, v[10:11], off
	v_add_co_u32_e32 v10, vcc, v54, v31
	v_addc_co_u32_e32 v11, vcc, 0, v55, vcc
	;; [unrolled: 3-line block ×3, first 2 shown]
	global_load_dword v101, v[10:11], off
.LBB73_110:                             ;   in Loop: Header=BB73_74 Depth=1
	ds_read_b32 v24, v73
	ds_read_b128 v[10:13], v70 offset:128
	v_add_co_u32_e32 v28, vcc, v58, v31
	v_addc_co_u32_e32 v29, vcc, 0, v59, vcc
	s_waitcnt vmcnt(0) lgkmcnt(1)
	v_mul_f32_e32 v25, v98, v24
	v_mul_f32_e32 v26, v99, v24
	v_mul_f32_e32 v27, v100, v24
	v_mul_f32_e32 v24, v101, v24
	ds_write2_b32 v74, v25, v26 offset1:67
	ds_write2_b32 v74, v27, v24 offset0:134 offset1:201
	s_waitcnt lgkmcnt(0)
	s_barrier
	ds_read2_b32 v[26:27], v69 offset1:1
	ds_read2_b32 v[24:25], v69 offset0:2 offset1:3
	s_and_b64 vcc, exec, s[4:5]
	s_mov_b64 s[4:5], -1
	s_waitcnt lgkmcnt(0)
	s_barrier
                                        ; implicit-def: $vgpr105
                                        ; implicit-def: $vgpr104
                                        ; implicit-def: $vgpr103
                                        ; implicit-def: $vgpr102
	s_cbranch_vccnz .LBB73_120
; %bb.111:                              ;   in Loop: Header=BB73_74 Depth=1
	v_cmp_gt_i32_e32 vcc, s17, v86
	v_mov_b32_e32 v103, 0
	v_mov_b32_e32 v102, 0
	s_and_saveexec_b64 s[4:5], vcc
	s_cbranch_execz .LBB73_113
; %bb.112:                              ;   in Loop: Header=BB73_74 Depth=1
	global_load_dword v102, v[28:29], off
.LBB73_113:                             ;   in Loop: Header=BB73_74 Depth=1
	s_or_b64 exec, exec, s[4:5]
	v_cmp_gt_i32_e32 vcc, s17, v87
	s_and_saveexec_b64 s[4:5], vcc
	s_cbranch_execz .LBB73_115
; %bb.114:                              ;   in Loop: Header=BB73_74 Depth=1
	v_add_co_u32_e32 v103, vcc, v60, v31
	v_addc_co_u32_e32 v104, vcc, 0, v61, vcc
	global_load_dword v103, v[103:104], off
.LBB73_115:                             ;   in Loop: Header=BB73_74 Depth=1
	s_or_b64 exec, exec, s[4:5]
	v_cmp_gt_i32_e32 vcc, s17, v88
	v_mov_b32_e32 v105, 0
	v_mov_b32_e32 v104, 0
	s_and_saveexec_b64 s[4:5], vcc
	s_cbranch_execz .LBB73_117
; %bb.116:                              ;   in Loop: Header=BB73_74 Depth=1
	v_add_co_u32_e32 v106, vcc, v62, v31
	v_addc_co_u32_e32 v107, vcc, 0, v63, vcc
	global_load_dword v104, v[106:107], off
.LBB73_117:                             ;   in Loop: Header=BB73_74 Depth=1
	s_or_b64 exec, exec, s[4:5]
	v_cmp_gt_i32_e32 vcc, s17, v89
	s_and_saveexec_b64 s[4:5], vcc
	s_cbranch_execz .LBB73_119
; %bb.118:                              ;   in Loop: Header=BB73_74 Depth=1
	v_add_co_u32_e32 v105, vcc, v64, v31
	v_addc_co_u32_e32 v106, vcc, 0, v65, vcc
	global_load_dword v105, v[105:106], off
.LBB73_119:                             ;   in Loop: Header=BB73_74 Depth=1
	s_or_b64 exec, exec, s[4:5]
	s_mov_b64 s[4:5], 0
.LBB73_120:                             ;   in Loop: Header=BB73_74 Depth=1
	s_and_b64 vcc, exec, s[4:5]
	s_cbranch_vccz .LBB73_122
; %bb.121:                              ;   in Loop: Header=BB73_74 Depth=1
	global_load_dword v102, v[28:29], off
	v_add_co_u32_e32 v28, vcc, v60, v31
	v_addc_co_u32_e32 v29, vcc, 0, v61, vcc
	global_load_dword v103, v[28:29], off
	v_add_co_u32_e32 v28, vcc, v62, v31
	v_addc_co_u32_e32 v29, vcc, 0, v63, vcc
	global_load_dword v104, v[28:29], off
	v_add_co_u32_e32 v28, vcc, v64, v31
	v_addc_co_u32_e32 v29, vcc, 0, v65, vcc
	global_load_dword v105, v[28:29], off
.LBB73_122:                             ;   in Loop: Header=BB73_74 Depth=1
	v_add_f32_e32 v26, 0, v26
	v_add_f32_e32 v26, v26, v27
	v_add_f32_e32 v24, v26, v24
	v_add_f32_e32 v26, v24, v25
	ds_read_b32 v24, v73
	v_add_f32_e32 v16, 0, v16
	v_add_f32_e32 v16, v16, v17
	;; [unrolled: 1-line block ×4, first 2 shown]
	ds_read_b128 v[14:17], v70 offset:192
	s_waitcnt vmcnt(0) lgkmcnt(1)
	v_mul_f32_e32 v25, v102, v24
	v_mul_f32_e32 v28, v103, v24
	ds_write2_b32 v74, v25, v28 offset1:67
	v_mul_f32_e32 v25, v104, v24
	v_mul_f32_e32 v24, v105, v24
	ds_write2_b32 v74, v25, v24 offset0:134 offset1:201
	s_waitcnt lgkmcnt(0)
	s_barrier
	ds_read2_b32 v[24:25], v69 offset1:1
	v_add_f32_e32 v22, 0, v22
	v_add_f32_e32 v28, v22, v23
	ds_read2_b32 v[22:23], v69 offset0:2 offset1:3
	v_add_f32_e32 v20, v28, v20
	v_add_f32_e32 v20, v20, v21
	s_waitcnt lgkmcnt(1)
	v_add_f32_e32 v21, 0, v24
	v_cmp_gt_i32_e32 vcc, s17, v0
	v_add_f32_e32 v21, v21, v25
	s_or_b64 s[4:5], s[10:11], vcc
	s_waitcnt lgkmcnt(0)
	v_add_f32_e32 v21, v21, v22
	s_and_b64 s[10:11], s[2:3], s[4:5]
	v_add_f32_e32 v21, v21, v23
	s_barrier
	ds_write2_b32 v66, v20, v27 offset1:16
	ds_write2_b32 v66, v26, v21 offset0:32 offset1:48
	s_waitcnt lgkmcnt(0)
	s_barrier
	s_and_saveexec_b64 s[4:5], s[10:11]
	s_cbranch_execz .LBB73_124
; %bb.123:                              ;   in Loop: Header=BB73_74 Depth=1
	ds_read2_b32 v[20:21], v67 offset1:1
	ds_read2_b32 v[22:23], v67 offset0:2 offset1:3
	ds_read2_b32 v[24:25], v67 offset0:4 offset1:5
	;; [unrolled: 1-line block ×4, first 2 shown]
	s_waitcnt lgkmcnt(4)
	v_add_f32_e32 v20, v20, v21
	s_waitcnt lgkmcnt(3)
	v_add_f32_e32 v20, v20, v22
	v_add_f32_e32 v20, v20, v23
	s_waitcnt lgkmcnt(2)
	v_add_f32_e32 v20, v20, v24
	;; [unrolled: 3-line block ×3, first 2 shown]
	v_add_f32_e32 v24, v20, v27
	ds_read2_b32 v[20:21], v67 offset0:10 offset1:11
	ds_read2_b32 v[22:23], v67 offset0:12 offset1:13
	ds_read_b32 v25, v67 offset:56
	s_waitcnt lgkmcnt(3)
	v_add_f32_e32 v24, v24, v28
	v_add_f32_e32 v24, v24, v29
	s_waitcnt lgkmcnt(2)
	v_add_f32_e32 v20, v24, v20
	ds_read_b32 v24, v68
	v_add_f32_e32 v20, v20, v21
	s_waitcnt lgkmcnt(2)
	v_add_f32_e32 v20, v20, v22
	v_add_f32_e32 v20, v20, v23
	s_waitcnt lgkmcnt(1)
	v_add_f32_e32 v20, v20, v25
	s_waitcnt lgkmcnt(0)
	v_add_f32_e32 v22, v20, v24
	v_add_u32_e32 v20, s16, v0
	v_ashrrev_i32_e32 v21, 31, v20
	v_lshlrev_b64 v[20:21], 2, v[20:21]
	v_mov_b32_e32 v23, s14
	v_add_co_u32_e32 v20, vcc, s7, v20
	v_addc_co_u32_e32 v21, vcc, v23, v21, vcc
	global_store_dword v[20:21], v22, off
.LBB73_124:                             ;   in Loop: Header=BB73_74 Depth=1
	s_or_b64 exec, exec, s[4:5]
	v_fmac_f32_e32 v30, v90, v2
	v_mov_b32_e32 v2, s9
	v_add_co_u32_e32 v34, vcc, s8, v34
	v_addc_co_u32_e32 v35, vcc, v35, v2, vcc
	v_add_co_u32_e32 v36, vcc, s8, v36
	v_addc_co_u32_e32 v37, vcc, v37, v2, vcc
	;; [unrolled: 2-line block ×8, first 2 shown]
	v_add_co_u32_e32 v50, vcc, s8, v50
	v_fmac_f32_e32 v30, v91, v3
	v_addc_co_u32_e32 v51, vcc, v51, v2, vcc
	v_fmac_f32_e32 v30, v92, v4
	v_add_co_u32_e32 v52, vcc, s8, v52
	v_fmac_f32_e32 v30, v93, v5
	v_addc_co_u32_e32 v53, vcc, v53, v2, vcc
	v_fmac_f32_e32 v30, v94, v6
	;; [unrolled: 4-line block ×7, first 2 shown]
	s_add_i32 s4, s6, 1
	s_add_i32 s16, s16, 64
	;; [unrolled: 1-line block ×3, first 2 shown]
	v_add_co_u32_e32 v64, vcc, s8, v64
	v_fmac_f32_e32 v30, v105, v17
	s_cmp_ge_u32 s5, s33
	v_addc_co_u32_e32 v65, vcc, v65, v2, vcc
	s_waitcnt vmcnt(0)
	s_barrier
	s_cbranch_scc1 .LBB73_126
; %bb.125:                              ;   in Loop: Header=BB73_74 Depth=1
	s_mov_b32 s6, s4
	s_cmp_eq_u32 s15, s6
	s_cselect_b32 s17, s35, 0
	s_and_saveexec_b64 s[4:5], s[0:1]
	s_cbranch_execnz .LBB73_71
	s_branch .LBB73_74
.LBB73_126:
	s_movk_i32 s2, 0x10c
	v_cmp_gt_i32_e32 vcc, s24, v0
	v_mad_u32_u24 v1, v1, s2, v31
	s_or_b64 s[2:3], s[18:19], vcc
	s_and_b64 s[0:1], s[0:1], s[2:3]
	ds_write_b32 v1, v30
	s_waitcnt lgkmcnt(0)
	s_barrier
	s_and_saveexec_b64 s[2:3], s[0:1]
	s_cbranch_execz .LBB73_128
; %bb.127:
	ds_read2_b32 v[0:1], v31 offset1:67
	ds_read2_b32 v[2:3], v31 offset0:134 offset1:201
	v_lshlrev_b64 v[4:5], 2, v[18:19]
	v_mov_b32_e32 v6, s14
	s_waitcnt lgkmcnt(1)
	v_add_f32_e32 v0, v0, v1
	s_waitcnt lgkmcnt(0)
	v_add_f32_e32 v0, v0, v2
	v_add_f32_e32 v2, v0, v3
	v_add_co_u32_e32 v0, vcc, s7, v4
	v_addc_co_u32_e32 v1, vcc, v6, v5, vcc
	global_store_dword v[0:1], v2, off
.LBB73_128:
	s_endpgm
	.section	.rodata,"a",@progbits
	.p2align	6, 0x0
	.amdhsa_kernel _ZL26rocblas_hemvn_kernel_upperILb0ELi64ELi4ELi33ELi32ELi16ElfPKfPfEviT6_lT7_lT5_lS4_lS5_lS3_lT8_i
		.amdhsa_group_segment_fixed_size 4800
		.amdhsa_private_segment_fixed_size 0
		.amdhsa_kernarg_size 368
		.amdhsa_user_sgpr_count 6
		.amdhsa_user_sgpr_private_segment_buffer 1
		.amdhsa_user_sgpr_dispatch_ptr 0
		.amdhsa_user_sgpr_queue_ptr 0
		.amdhsa_user_sgpr_kernarg_segment_ptr 1
		.amdhsa_user_sgpr_dispatch_id 0
		.amdhsa_user_sgpr_flat_scratch_init 0
		.amdhsa_user_sgpr_private_segment_size 0
		.amdhsa_uses_dynamic_stack 0
		.amdhsa_system_sgpr_private_segment_wavefront_offset 0
		.amdhsa_system_sgpr_workgroup_id_x 1
		.amdhsa_system_sgpr_workgroup_id_y 0
		.amdhsa_system_sgpr_workgroup_id_z 1
		.amdhsa_system_sgpr_workgroup_info 0
		.amdhsa_system_vgpr_workitem_id 1
		.amdhsa_next_free_vgpr 108
		.amdhsa_next_free_sgpr 44
		.amdhsa_reserve_vcc 1
		.amdhsa_reserve_flat_scratch 0
		.amdhsa_float_round_mode_32 0
		.amdhsa_float_round_mode_16_64 0
		.amdhsa_float_denorm_mode_32 3
		.amdhsa_float_denorm_mode_16_64 3
		.amdhsa_dx10_clamp 1
		.amdhsa_ieee_mode 1
		.amdhsa_fp16_overflow 0
		.amdhsa_exception_fp_ieee_invalid_op 0
		.amdhsa_exception_fp_denorm_src 0
		.amdhsa_exception_fp_ieee_div_zero 0
		.amdhsa_exception_fp_ieee_overflow 0
		.amdhsa_exception_fp_ieee_underflow 0
		.amdhsa_exception_fp_ieee_inexact 0
		.amdhsa_exception_int_div_zero 0
	.end_amdhsa_kernel
	.section	.text._ZL26rocblas_hemvn_kernel_upperILb0ELi64ELi4ELi33ELi32ELi16ElfPKfPfEviT6_lT7_lT5_lS4_lS5_lS3_lT8_i,"axG",@progbits,_ZL26rocblas_hemvn_kernel_upperILb0ELi64ELi4ELi33ELi32ELi16ElfPKfPfEviT6_lT7_lT5_lS4_lS5_lS3_lT8_i,comdat
.Lfunc_end73:
	.size	_ZL26rocblas_hemvn_kernel_upperILb0ELi64ELi4ELi33ELi32ELi16ElfPKfPfEviT6_lT7_lT5_lS4_lS5_lS3_lT8_i, .Lfunc_end73-_ZL26rocblas_hemvn_kernel_upperILb0ELi64ELi4ELi33ELi32ELi16ElfPKfPfEviT6_lT7_lT5_lS4_lS5_lS3_lT8_i
                                        ; -- End function
	.set _ZL26rocblas_hemvn_kernel_upperILb0ELi64ELi4ELi33ELi32ELi16ElfPKfPfEviT6_lT7_lT5_lS4_lS5_lS3_lT8_i.num_vgpr, 108
	.set _ZL26rocblas_hemvn_kernel_upperILb0ELi64ELi4ELi33ELi32ELi16ElfPKfPfEviT6_lT7_lT5_lS4_lS5_lS3_lT8_i.num_agpr, 0
	.set _ZL26rocblas_hemvn_kernel_upperILb0ELi64ELi4ELi33ELi32ELi16ElfPKfPfEviT6_lT7_lT5_lS4_lS5_lS3_lT8_i.numbered_sgpr, 44
	.set _ZL26rocblas_hemvn_kernel_upperILb0ELi64ELi4ELi33ELi32ELi16ElfPKfPfEviT6_lT7_lT5_lS4_lS5_lS3_lT8_i.num_named_barrier, 0
	.set _ZL26rocblas_hemvn_kernel_upperILb0ELi64ELi4ELi33ELi32ELi16ElfPKfPfEviT6_lT7_lT5_lS4_lS5_lS3_lT8_i.private_seg_size, 0
	.set _ZL26rocblas_hemvn_kernel_upperILb0ELi64ELi4ELi33ELi32ELi16ElfPKfPfEviT6_lT7_lT5_lS4_lS5_lS3_lT8_i.uses_vcc, 1
	.set _ZL26rocblas_hemvn_kernel_upperILb0ELi64ELi4ELi33ELi32ELi16ElfPKfPfEviT6_lT7_lT5_lS4_lS5_lS3_lT8_i.uses_flat_scratch, 0
	.set _ZL26rocblas_hemvn_kernel_upperILb0ELi64ELi4ELi33ELi32ELi16ElfPKfPfEviT6_lT7_lT5_lS4_lS5_lS3_lT8_i.has_dyn_sized_stack, 0
	.set _ZL26rocblas_hemvn_kernel_upperILb0ELi64ELi4ELi33ELi32ELi16ElfPKfPfEviT6_lT7_lT5_lS4_lS5_lS3_lT8_i.has_recursion, 0
	.set _ZL26rocblas_hemvn_kernel_upperILb0ELi64ELi4ELi33ELi32ELi16ElfPKfPfEviT6_lT7_lT5_lS4_lS5_lS3_lT8_i.has_indirect_call, 0
	.section	.AMDGPU.csdata,"",@progbits
; Kernel info:
; codeLenInByte = 6612
; TotalNumSgprs: 48
; NumVgprs: 108
; ScratchSize: 0
; MemoryBound: 0
; FloatMode: 240
; IeeeMode: 1
; LDSByteSize: 4800 bytes/workgroup (compile time only)
; SGPRBlocks: 5
; VGPRBlocks: 26
; NumSGPRsForWavesPerEU: 48
; NumVGPRsForWavesPerEU: 108
; Occupancy: 2
; WaveLimiterHint : 1
; COMPUTE_PGM_RSRC2:SCRATCH_EN: 0
; COMPUTE_PGM_RSRC2:USER_SGPR: 6
; COMPUTE_PGM_RSRC2:TRAP_HANDLER: 0
; COMPUTE_PGM_RSRC2:TGID_X_EN: 1
; COMPUTE_PGM_RSRC2:TGID_Y_EN: 0
; COMPUTE_PGM_RSRC2:TGID_Z_EN: 1
; COMPUTE_PGM_RSRC2:TIDIG_COMP_CNT: 1
	.section	.text._ZL36rocblas_hemvn_kernel_upper_block_sumILi64ElfPffEviT1_lS1_lT2_lT0_lPT3_i,"axG",@progbits,_ZL36rocblas_hemvn_kernel_upper_block_sumILi64ElfPffEviT1_lS1_lT2_lT0_lPT3_i,comdat
	.globl	_ZL36rocblas_hemvn_kernel_upper_block_sumILi64ElfPffEviT1_lS1_lT2_lT0_lPT3_i ; -- Begin function _ZL36rocblas_hemvn_kernel_upper_block_sumILi64ElfPffEviT1_lS1_lT2_lT0_lPT3_i
	.p2align	8
	.type	_ZL36rocblas_hemvn_kernel_upper_block_sumILi64ElfPffEviT1_lS1_lT2_lT0_lPT3_i,@function
_ZL36rocblas_hemvn_kernel_upper_block_sumILi64ElfPffEviT1_lS1_lT2_lT0_lPT3_i: ; @_ZL36rocblas_hemvn_kernel_upper_block_sumILi64ElfPffEviT1_lS1_lT2_lT0_lPT3_i
; %bb.0:
	s_load_dwordx2 s[2:3], s[4:5], 0x0
	s_load_dword s20, s[4:5], 0x10
	s_waitcnt lgkmcnt(0)
	v_cmp_eq_f32_e64 s[0:1], s3, 0
	v_cmp_eq_f32_e64 s[8:9], s20, 1.0
	s_and_b64 s[0:1], s[0:1], s[8:9]
	s_and_b64 vcc, exec, s[0:1]
	s_cbranch_vccnz .LBB74_19
; %bb.1:
	s_load_dwordx8 s[8:15], s[4:5], 0x28
	s_load_dwordx2 s[0:1], s[4:5], 0x20
	v_lshl_or_b32 v0, s6, 6, v0
	s_waitcnt lgkmcnt(0)
	s_mul_i32 s13, s13, s7
	s_mul_hi_u32 s16, s12, s7
	s_mul_i32 s12, s12, s7
	s_add_i32 s13, s16, s13
	s_lshl_b64 s[12:13], s[12:13], 2
	s_add_u32 s12, s0, s12
	s_addc_u32 s13, s1, s13
	s_lshl_b64 s[0:1], s[8:9], 2
	s_add_u32 s18, s12, s0
	s_addc_u32 s19, s13, s1
	v_cmp_neq_f32_e64 s[0:1], s3, 0
	s_and_b64 vcc, exec, s[0:1]
	v_cmp_gt_i32_e64 s[0:1], s2, v0
	s_cbranch_vccnz .LBB74_6
; %bb.2:
	s_mov_b64 s[12:13], 0
	s_mov_b64 s[8:9], 0
                                        ; implicit-def: $vgpr3
                                        ; implicit-def: $vgpr1_vgpr2
	s_and_saveexec_b64 s[16:17], s[0:1]
	s_cbranch_execz .LBB74_7
; %bb.3:
	v_ashrrev_i32_e32 v1, 31, v0
	v_mul_lo_u32 v4, s11, v0
	v_mul_lo_u32 v5, s10, v1
	v_mad_u64_u32 v[1:2], s[0:1], s10, v0, 0
	v_cmp_eq_f32_e64 s[0:1], s20, 0
	v_mov_b32_e32 v3, 0
	v_add3_u32 v2, v2, v5, v4
	s_and_b64 vcc, exec, s[0:1]
	s_cbranch_vccnz .LBB74_5
; %bb.4:
	v_lshlrev_b64 v[3:4], 2, v[1:2]
	v_mov_b32_e32 v5, s19
	v_add_co_u32_e32 v3, vcc, s18, v3
	v_addc_co_u32_e32 v4, vcc, v5, v4, vcc
	global_load_dword v3, v[3:4], off
	s_waitcnt vmcnt(0)
	v_mul_f32_e32 v3, s20, v3
.LBB74_5:
	s_mov_b64 s[8:9], exec
	s_or_b64 exec, exec, s[16:17]
	s_and_b64 vcc, exec, s[12:13]
	s_cbranch_vccnz .LBB74_8
	s_branch .LBB74_17
.LBB74_6:
	s_mov_b64 s[8:9], 0
                                        ; implicit-def: $vgpr3
                                        ; implicit-def: $vgpr1_vgpr2
	s_cbranch_execnz .LBB74_8
	s_branch .LBB74_17
.LBB74_7:
	s_or_b64 exec, exec, s[16:17]
	s_and_b64 vcc, exec, s[12:13]
	s_cbranch_vccz .LBB74_17
.LBB74_8:
	v_cmp_gt_i32_e32 vcc, s2, v0
                                        ; implicit-def: $vgpr3
                                        ; implicit-def: $vgpr1_vgpr2
	s_and_saveexec_b64 s[0:1], vcc
	s_cbranch_execz .LBB74_16
; %bb.9:
	v_ashrrev_i32_e32 v1, 31, v0
	s_cmp_lt_i32 s6, 0
	v_mov_b32_e32 v4, 0
	s_cbranch_scc1 .LBB74_12
; %bb.10:
	s_load_dword s4, s[4:5], 0x50
	s_ashr_i32 s13, s2, 31
	s_mul_hi_u32 s5, s2, s7
	s_mul_i32 s16, s13, s7
	s_mov_b32 s12, s2
	s_add_i32 s5, s5, s16
	s_mul_i32 s2, s2, s7
	s_waitcnt lgkmcnt(0)
	s_mul_i32 s5, s5, s4
	s_mul_hi_u32 s7, s2, s4
	s_add_i32 s5, s7, s5
	s_mul_i32 s4, s2, s4
	s_lshl_b64 s[4:5], s[4:5], 2
	s_add_u32 s2, s14, s4
	v_lshlrev_b64 v[2:3], 2, v[0:1]
	s_addc_u32 s4, s15, s5
	v_mov_b32_e32 v4, s4
	v_add_co_u32_e32 v2, vcc, s2, v2
	s_lshl_b64 s[4:5], s[12:13], 2
	v_addc_co_u32_e32 v3, vcc, v4, v3, vcc
	s_add_i32 s2, s6, 1
	v_mov_b32_e32 v4, 0
	v_mov_b32_e32 v5, s5
.LBB74_11:                              ; =>This Inner Loop Header: Depth=1
	global_load_dword v6, v[2:3], off
	s_add_i32 s2, s2, -1
	v_add_co_u32_e32 v2, vcc, s4, v2
	v_addc_co_u32_e32 v3, vcc, v3, v5, vcc
	s_cmp_eq_u32 s2, 0
	s_waitcnt vmcnt(0)
	v_add_f32_e32 v4, v4, v6
	s_cbranch_scc0 .LBB74_11
.LBB74_12:
	v_mul_lo_u32 v5, s11, v0
	v_mul_lo_u32 v6, s10, v1
	v_cmp_eq_f32_e64 s[4:5], s20, 0
	s_and_b64 vcc, exec, s[4:5]
	s_cbranch_vccz .LBB74_20
; %bb.13:
	v_mad_u64_u32 v[1:2], s[4:5], s10, v0, 0
	v_mul_f32_e32 v3, s3, v4
	v_add3_u32 v2, v2, v6, v5
	s_cbranch_execnz .LBB74_15
.LBB74_14:
	v_mad_u64_u32 v[1:2], s[4:5], s10, v0, 0
	v_mov_b32_e32 v0, s19
	v_add3_u32 v2, v2, v6, v5
	v_lshlrev_b64 v[5:6], 2, v[1:2]
	v_add_co_u32_e32 v5, vcc, s18, v5
	v_addc_co_u32_e32 v6, vcc, v0, v6, vcc
	global_load_dword v0, v[5:6], off
	s_waitcnt vmcnt(0)
	v_mul_f32_e32 v3, s20, v0
	v_fmac_f32_e32 v3, s3, v4
.LBB74_15:
	s_or_b64 s[8:9], s[8:9], exec
.LBB74_16:
	s_or_b64 exec, exec, s[0:1]
.LBB74_17:
	s_and_saveexec_b64 s[0:1], s[8:9]
	s_cbranch_execz .LBB74_19
; %bb.18:
	v_lshlrev_b64 v[0:1], 2, v[1:2]
	v_mov_b32_e32 v2, s19
	v_add_co_u32_e32 v0, vcc, s18, v0
	v_addc_co_u32_e32 v1, vcc, v2, v1, vcc
	global_store_dword v[0:1], v3, off
.LBB74_19:
	s_endpgm
.LBB74_20:
                                        ; implicit-def: $vgpr3
                                        ; implicit-def: $vgpr1_vgpr2
	s_branch .LBB74_14
	.section	.rodata,"a",@progbits
	.p2align	6, 0x0
	.amdhsa_kernel _ZL36rocblas_hemvn_kernel_upper_block_sumILi64ElfPffEviT1_lS1_lT2_lT0_lPT3_i
		.amdhsa_group_segment_fixed_size 0
		.amdhsa_private_segment_fixed_size 0
		.amdhsa_kernarg_size 336
		.amdhsa_user_sgpr_count 6
		.amdhsa_user_sgpr_private_segment_buffer 1
		.amdhsa_user_sgpr_dispatch_ptr 0
		.amdhsa_user_sgpr_queue_ptr 0
		.amdhsa_user_sgpr_kernarg_segment_ptr 1
		.amdhsa_user_sgpr_dispatch_id 0
		.amdhsa_user_sgpr_flat_scratch_init 0
		.amdhsa_user_sgpr_private_segment_size 0
		.amdhsa_uses_dynamic_stack 0
		.amdhsa_system_sgpr_private_segment_wavefront_offset 0
		.amdhsa_system_sgpr_workgroup_id_x 1
		.amdhsa_system_sgpr_workgroup_id_y 0
		.amdhsa_system_sgpr_workgroup_id_z 1
		.amdhsa_system_sgpr_workgroup_info 0
		.amdhsa_system_vgpr_workitem_id 0
		.amdhsa_next_free_vgpr 7
		.amdhsa_next_free_sgpr 21
		.amdhsa_reserve_vcc 1
		.amdhsa_reserve_flat_scratch 0
		.amdhsa_float_round_mode_32 0
		.amdhsa_float_round_mode_16_64 0
		.amdhsa_float_denorm_mode_32 3
		.amdhsa_float_denorm_mode_16_64 3
		.amdhsa_dx10_clamp 1
		.amdhsa_ieee_mode 1
		.amdhsa_fp16_overflow 0
		.amdhsa_exception_fp_ieee_invalid_op 0
		.amdhsa_exception_fp_denorm_src 0
		.amdhsa_exception_fp_ieee_div_zero 0
		.amdhsa_exception_fp_ieee_overflow 0
		.amdhsa_exception_fp_ieee_underflow 0
		.amdhsa_exception_fp_ieee_inexact 0
		.amdhsa_exception_int_div_zero 0
	.end_amdhsa_kernel
	.section	.text._ZL36rocblas_hemvn_kernel_upper_block_sumILi64ElfPffEviT1_lS1_lT2_lT0_lPT3_i,"axG",@progbits,_ZL36rocblas_hemvn_kernel_upper_block_sumILi64ElfPffEviT1_lS1_lT2_lT0_lPT3_i,comdat
.Lfunc_end74:
	.size	_ZL36rocblas_hemvn_kernel_upper_block_sumILi64ElfPffEviT1_lS1_lT2_lT0_lPT3_i, .Lfunc_end74-_ZL36rocblas_hemvn_kernel_upper_block_sumILi64ElfPffEviT1_lS1_lT2_lT0_lPT3_i
                                        ; -- End function
	.set _ZL36rocblas_hemvn_kernel_upper_block_sumILi64ElfPffEviT1_lS1_lT2_lT0_lPT3_i.num_vgpr, 7
	.set _ZL36rocblas_hemvn_kernel_upper_block_sumILi64ElfPffEviT1_lS1_lT2_lT0_lPT3_i.num_agpr, 0
	.set _ZL36rocblas_hemvn_kernel_upper_block_sumILi64ElfPffEviT1_lS1_lT2_lT0_lPT3_i.numbered_sgpr, 21
	.set _ZL36rocblas_hemvn_kernel_upper_block_sumILi64ElfPffEviT1_lS1_lT2_lT0_lPT3_i.num_named_barrier, 0
	.set _ZL36rocblas_hemvn_kernel_upper_block_sumILi64ElfPffEviT1_lS1_lT2_lT0_lPT3_i.private_seg_size, 0
	.set _ZL36rocblas_hemvn_kernel_upper_block_sumILi64ElfPffEviT1_lS1_lT2_lT0_lPT3_i.uses_vcc, 1
	.set _ZL36rocblas_hemvn_kernel_upper_block_sumILi64ElfPffEviT1_lS1_lT2_lT0_lPT3_i.uses_flat_scratch, 0
	.set _ZL36rocblas_hemvn_kernel_upper_block_sumILi64ElfPffEviT1_lS1_lT2_lT0_lPT3_i.has_dyn_sized_stack, 0
	.set _ZL36rocblas_hemvn_kernel_upper_block_sumILi64ElfPffEviT1_lS1_lT2_lT0_lPT3_i.has_recursion, 0
	.set _ZL36rocblas_hemvn_kernel_upper_block_sumILi64ElfPffEviT1_lS1_lT2_lT0_lPT3_i.has_indirect_call, 0
	.section	.AMDGPU.csdata,"",@progbits
; Kernel info:
; codeLenInByte = 620
; TotalNumSgprs: 25
; NumVgprs: 7
; ScratchSize: 0
; MemoryBound: 0
; FloatMode: 240
; IeeeMode: 1
; LDSByteSize: 0 bytes/workgroup (compile time only)
; SGPRBlocks: 3
; VGPRBlocks: 1
; NumSGPRsForWavesPerEU: 25
; NumVGPRsForWavesPerEU: 7
; Occupancy: 10
; WaveLimiterHint : 0
; COMPUTE_PGM_RSRC2:SCRATCH_EN: 0
; COMPUTE_PGM_RSRC2:USER_SGPR: 6
; COMPUTE_PGM_RSRC2:TRAP_HANDLER: 0
; COMPUTE_PGM_RSRC2:TGID_X_EN: 1
; COMPUTE_PGM_RSRC2:TGID_Y_EN: 0
; COMPUTE_PGM_RSRC2:TGID_Z_EN: 1
; COMPUTE_PGM_RSRC2:TIDIG_COMP_CNT: 0
	.section	.text._ZL26rocblas_hemvn_kernel_upperILb0ELi64ELi4ELi33ELi32ELi16EifPKfPfEviT6_lT7_lT5_lS4_lS5_lS3_lT8_i,"axG",@progbits,_ZL26rocblas_hemvn_kernel_upperILb0ELi64ELi4ELi33ELi32ELi16EifPKfPfEviT6_lT7_lT5_lS4_lS5_lS3_lT8_i,comdat
	.globl	_ZL26rocblas_hemvn_kernel_upperILb0ELi64ELi4ELi33ELi32ELi16EifPKfPfEviT6_lT7_lT5_lS4_lS5_lS3_lT8_i ; -- Begin function _ZL26rocblas_hemvn_kernel_upperILb0ELi64ELi4ELi33ELi32ELi16EifPKfPfEviT6_lT7_lT5_lS4_lS5_lS3_lT8_i
	.p2align	8
	.type	_ZL26rocblas_hemvn_kernel_upperILb0ELi64ELi4ELi33ELi32ELi16EifPKfPfEviT6_lT7_lT5_lS4_lS5_lS3_lT8_i,@function
_ZL26rocblas_hemvn_kernel_upperILb0ELi64ELi4ELi33ELi32ELi16EifPKfPfEviT6_lT7_lT5_lS4_lS5_lS3_lT8_i: ; @_ZL26rocblas_hemvn_kernel_upperILb0ELi64ELi4ELi33ELi32ELi16EifPKfPfEviT6_lT7_lT5_lS4_lS5_lS3_lT8_i
; %bb.0:
	s_load_dwordx2 s[2:3], s[4:5], 0x7c
	s_add_u32 s0, s4, 0x70
	s_addc_u32 s1, s5, 0
	s_waitcnt lgkmcnt(0)
	s_lshr_b32 s8, s2, 16
	s_and_b32 s2, s2, 0xffff
	s_and_b32 s3, s3, 0xffff
	s_mul_i32 s2, s8, s2
	s_mul_i32 s2, s2, s3
	s_cmpk_lg_i32 s2, 0x100
	s_cbranch_scc1 .LBB75_128
; %bb.1:
	s_load_dwordx2 s[24:25], s[4:5], 0x0
	s_load_dword s8, s[4:5], 0x50
	s_waitcnt lgkmcnt(0)
	v_cmp_eq_f32_e64 s[2:3], s25, 0
	v_cmp_eq_f32_e64 s[8:9], s8, 1.0
	s_and_b64 s[8:9], s[2:3], s[8:9]
	s_and_b64 vcc, exec, s[8:9]
	s_cbranch_vccnz .LBB75_128
; %bb.2:
	s_and_b64 vcc, exec, s[2:3]
	s_cbranch_vccnz .LBB75_128
; %bb.3:
	s_load_dwordx2 s[2:3], s[4:5], 0x48
	s_load_dword s40, s[4:5], 0x40
	s_load_dword s25, s[0:1], 0x0
	s_load_dwordx4 s[8:11], s[4:5], 0x28
	s_load_dwordx2 s[12:13], s[4:5], 0x38
	s_waitcnt lgkmcnt(0)
	s_mul_i32 s0, s3, s7
	s_mul_hi_u32 s1, s2, s7
	s_add_i32 s1, s1, s0
	s_mul_i32 s0, s2, s7
	s_lshl_b64 s[0:1], s[0:1], 2
	s_add_u32 s2, s10, s0
	s_addc_u32 s3, s11, s1
	s_lshl_b64 s[0:1], s[12:13], 2
	s_add_u32 s0, s2, s0
	s_addc_u32 s1, s3, s1
	s_lshl_b32 s26, s6, 6
	v_add_u32_e32 v18, s26, v0
	v_mul_lo_u32 v2, s40, v18
	s_ashr_i32 s41, s24, 31
	s_lshr_b32 s3, s41, 26
	s_add_i32 s3, s24, s3
	v_ashrrev_i32_e32 v3, 31, v2
	s_andn2_b32 s3, s3, 63
	v_lshlrev_b64 v[2:3], 2, v[2:3]
	s_add_i32 s2, s25, -1
	s_sub_i32 s33, s24, s3
	s_cmp_eq_u32 s6, s2
	v_mov_b32_e32 v4, s1
	v_add_co_u32_e32 v8, vcc, s0, v2
	s_cselect_b32 s18, s33, 0
	v_addc_co_u32_e32 v9, vcc, v4, v3, vcc
	v_cmp_eq_u32_e64 s[0:1], 0, v1
	s_and_saveexec_b64 s[2:3], s[0:1]
	s_cbranch_execz .LBB75_7
; %bb.4:
	s_cmp_eq_u32 s18, 0
	s_cselect_b64 s[10:11], -1, 0
	v_cmp_gt_i32_e32 vcc, s18, v0
	s_or_b64 s[12:13], s[10:11], vcc
	v_mov_b32_e32 v2, 0
	s_and_saveexec_b64 s[10:11], s[12:13]
	s_cbranch_execz .LBB75_6
; %bb.5:
	global_load_dword v2, v[8:9], off
.LBB75_6:
	s_or_b64 exec, exec, s[10:11]
	v_lshlrev_b32_e32 v3, 2, v0
	s_waitcnt vmcnt(0)
	ds_write_b32 v3, v2 offset:4544
.LBB75_7:
	s_or_b64 exec, exec, s[2:3]
	s_load_dwordx4 s[12:15], s[4:5], 0x10
	s_load_dword s22, s[4:5], 0x20
	s_mul_i32 s2, s9, s7
	s_mul_hi_u32 s3, s8, s7
	s_add_i32 s3, s3, s2
	s_mul_i32 s2, s8, s7
	s_lshl_b64 s[2:3], s[2:3], 2
	s_waitcnt lgkmcnt(0)
	s_add_u32 s8, s12, s2
	v_lshl_add_u32 v14, v1, 6, v0
	s_addc_u32 s9, s13, s3
	s_lshl_b64 s[2:3], s[14:15], 2
	v_and_b32_e32 v2, 31, v0
	v_lshrrev_b32_e32 v5, 5, v14
	s_add_u32 s8, s8, s2
	s_addc_u32 s9, s9, s3
	v_mad_u64_u32 v[3:4], s[2:3], s22, v5, v[2:3]
	s_ashr_i32 s27, s26, 31
	s_lshl_b64 s[2:3], s[26:27], 2
	v_ashrrev_i32_e32 v4, 31, v3
	v_lshlrev_b64 v[6:7], 2, v[3:4]
	s_add_u32 s2, s8, s2
	s_addc_u32 s3, s9, s3
	v_add_co_u32_e32 v4, vcc, s2, v6
	s_mul_i32 s2, s22, s26
	v_mov_b32_e32 v3, s3
	s_ashr_i32 s3, s2, 31
	s_lshl_b64 s[2:3], s[2:3], 2
	v_addc_co_u32_e32 v10, vcc, v3, v7, vcc
	s_cmp_eq_u32 s18, 0
	v_mov_b32_e32 v11, s3
	v_add_co_u32_e32 v3, vcc, s2, v4
	s_cselect_b64 s[20:21], -1, 0
	s_cmp_lg_u32 s18, 0
	v_addc_co_u32_e32 v4, vcc, v10, v11, vcc
	s_cselect_b64 s[34:35], -1, 0
	s_and_b64 vcc, exec, s[34:35]
	v_cmp_gt_i32_e64 s[2:3], s18, v2
	v_lshlrev_b32_e32 v15, 2, v2
	s_cbranch_vccz .LBB75_17
; %bb.8:
	v_sub_co_u32_e32 v10, vcc, v3, v15
	s_ashr_i32 s19, s18, 31
	v_subbrev_co_u32_e32 v11, vcc, 0, v4, vcc
	s_lshl_b64 s[8:9], s[18:19], 2
	v_mov_b32_e32 v12, s9
	v_add_co_u32_e32 v10, vcc, s8, v10
	v_addc_co_u32_e32 v11, vcc, v11, v12, vcc
	v_add_co_u32_e32 v10, vcc, -4, v10
	v_addc_co_u32_e32 v11, vcc, -1, v11, vcc
	v_mov_b32_e32 v13, 0
	v_cndmask_b32_e64 v11, v11, v4, s[2:3]
	v_cndmask_b32_e64 v10, v10, v3, s[2:3]
	v_cmp_gt_i32_e32 vcc, s18, v5
	v_mov_b32_e32 v16, 0
	s_and_saveexec_b64 s[10:11], vcc
	s_cbranch_execz .LBB75_10
; %bb.9:
	global_load_dword v16, v[10:11], off
.LBB75_10:
	s_or_b64 exec, exec, s[10:11]
	s_movk_i32 s10, 0x84
	v_mad_u32_u24 v17, v5, s10, v15
	s_waitcnt vmcnt(0)
	ds_write_b32 v17, v16
	v_add_u32_e32 v16, 8, v5
	v_mul_u32_u24_e32 v12, 0x84, v5
	v_cmp_gt_i32_e32 vcc, s18, v16
	s_and_saveexec_b64 s[10:11], vcc
	s_cbranch_execz .LBB75_12
; %bb.11:
	s_lshl_b32 s12, s22, 3
	s_ashr_i32 s13, s12, 31
	s_lshl_b64 s[12:13], s[12:13], 2
	v_mov_b32_e32 v13, s13
	v_add_co_u32_e32 v16, vcc, s12, v10
	v_addc_co_u32_e32 v17, vcc, v11, v13, vcc
	global_load_dword v13, v[16:17], off
.LBB75_12:
	s_or_b64 exec, exec, s[10:11]
	v_add_u32_e32 v12, v12, v15
	s_waitcnt vmcnt(0)
	ds_write_b32 v12, v13 offset:1056
	v_add_u32_e32 v13, 16, v5
	v_cmp_gt_i32_e32 vcc, s18, v13
	v_mov_b32_e32 v13, 0
	v_mov_b32_e32 v16, 0
	s_and_saveexec_b64 s[10:11], vcc
	s_cbranch_execz .LBB75_14
; %bb.13:
	s_lshl_b32 s12, s22, 4
	s_ashr_i32 s13, s12, 31
	s_lshl_b64 s[12:13], s[12:13], 2
	v_mov_b32_e32 v17, s13
	v_add_co_u32_e32 v16, vcc, s12, v10
	v_addc_co_u32_e32 v17, vcc, v11, v17, vcc
	global_load_dword v16, v[16:17], off
.LBB75_14:
	s_or_b64 exec, exec, s[10:11]
	s_waitcnt vmcnt(0)
	ds_write_b32 v12, v16 offset:2112
	v_add_u32_e32 v16, 24, v5
	v_cmp_gt_i32_e32 vcc, s18, v16
	s_and_saveexec_b64 s[10:11], vcc
	s_cbranch_execz .LBB75_16
; %bb.15:
	s_mul_i32 s12, s22, 24
	s_ashr_i32 s13, s12, 31
	s_lshl_b64 s[12:13], s[12:13], 2
	v_mov_b32_e32 v13, s13
	v_add_co_u32_e32 v16, vcc, s12, v10
	v_addc_co_u32_e32 v17, vcc, v11, v13, vcc
	global_load_dword v13, v[16:17], off
.LBB75_16:
	s_or_b64 exec, exec, s[10:11]
	v_add_co_u32_e32 v10, vcc, v10, v15
	v_addc_co_u32_e32 v11, vcc, 0, v11, vcc
	s_waitcnt vmcnt(0)
	ds_write_b32 v12, v13 offset:3168
	v_mov_b32_e32 v12, s9
	v_subrev_co_u32_e32 v10, vcc, s8, v10
	v_subb_co_u32_e32 v11, vcc, v11, v12, vcc
	v_add_co_u32_e32 v10, vcc, 4, v10
	v_addc_co_u32_e32 v11, vcc, 0, v11, vcc
	v_cndmask_b32_e64 v11, v11, v4, s[2:3]
	v_cndmask_b32_e64 v10, v10, v3, s[2:3]
	s_branch .LBB75_19
.LBB75_17:
                                        ; implicit-def: $vgpr10_vgpr11
	s_cbranch_execz .LBB75_19
; %bb.18:
	s_lshl_b32 s2, s22, 3
	s_ashr_i32 s3, s2, 31
	s_lshl_b64 s[2:3], s[2:3], 2
	v_mov_b32_e32 v11, s3
	v_add_co_u32_e32 v10, vcc, s2, v3
	s_ashr_i32 s23, s22, 31
	v_addc_co_u32_e32 v11, vcc, v4, v11, vcc
	s_lshl_b64 s[2:3], s[22:23], 5
	v_mov_b32_e32 v17, s3
	v_add_co_u32_e32 v12, vcc, s2, v10
	v_addc_co_u32_e32 v13, vcc, v11, v17, vcc
	v_add_co_u32_e32 v16, vcc, s2, v12
	v_addc_co_u32_e32 v17, vcc, v13, v17, vcc
	global_load_dword v19, v[3:4], off
	global_load_dword v20, v[10:11], off
	;; [unrolled: 1-line block ×4, first 2 shown]
	v_mul_u32_u24_e32 v10, 0x84, v5
	v_lshl_add_u32 v10, v2, 2, v10
	s_waitcnt vmcnt(3)
	ds_write_b32 v10, v19
	s_waitcnt vmcnt(2)
	ds_write_b32 v10, v20 offset:1056
	s_waitcnt vmcnt(1)
	ds_write_b32 v10, v21 offset:2112
	;; [unrolled: 2-line block ×3, first 2 shown]
	v_mov_b32_e32 v11, v4
	v_mov_b32_e32 v10, v3
.LBB75_19:
	v_lshlrev_b32_e32 v16, 2, v5
	v_lshl_or_b32 v3, v2, 7, v15
	v_cmp_gt_u32_e64 s[16:17], v16, v2
	v_lshl_add_u32 v3, v16, 2, v3
	s_waitcnt lgkmcnt(0)
	s_barrier
	s_and_saveexec_b64 s[2:3], s[16:17]
	s_cbranch_execz .LBB75_21
; %bb.20:
	s_movk_i32 s8, 0x210
	v_mad_u32_u24 v4, v5, s8, v15
	ds_read_b32 v4, v4
	s_waitcnt lgkmcnt(0)
	ds_write_b32 v3, v4
.LBB75_21:
	s_or_b64 exec, exec, s[2:3]
	v_or_b32_e32 v21, 1, v16
	v_cmp_ge_u32_e64 s[8:9], v16, v2
	s_and_saveexec_b64 s[2:3], s[8:9]
	s_cbranch_execz .LBB75_23
; %bb.22:
	s_movk_i32 s10, 0x84
	v_mad_u32_u24 v4, v21, s10, v15
	ds_read_b32 v4, v4
	s_waitcnt lgkmcnt(0)
	ds_write_b32 v3, v4 offset:4
.LBB75_23:
	s_or_b64 exec, exec, s[2:3]
	v_or_b32_e32 v4, 2, v16
	v_cmp_gt_u32_e64 s[10:11], v4, v2
	s_and_saveexec_b64 s[2:3], s[10:11]
	s_cbranch_execz .LBB75_25
; %bb.24:
	s_movk_i32 s12, 0x84
	v_mad_u32_u24 v4, v4, s12, v15
	ds_read_b32 v4, v4
	s_waitcnt lgkmcnt(0)
	ds_write_b32 v3, v4 offset:8
.LBB75_25:
	s_or_b64 exec, exec, s[2:3]
	v_or_b32_e32 v12, 3, v16
	v_cmp_gt_u32_e64 s[12:13], v12, v2
	v_cmp_le_u32_e32 vcc, v12, v2
                                        ; implicit-def: $vgpr4
	s_and_saveexec_b64 s[2:3], vcc
	s_xor_b64 s[2:3], exec, s[2:3]
; %bb.26:
	v_mul_u32_u24_e32 v4, 0x84, v12
                                        ; implicit-def: $vgpr12
                                        ; implicit-def: $vgpr3
; %bb.27:
	s_andn2_saveexec_b64 s[2:3], s[2:3]
	s_cbranch_execz .LBB75_29
; %bb.28:
	s_movk_i32 s14, 0x84
	v_mad_u32_u24 v4, v12, s14, v15
	ds_read_b32 v13, v4
	v_mul_u32_u24_e32 v4, 0x84, v12
	s_waitcnt lgkmcnt(0)
	ds_write_b32 v3, v13 offset:12
.LBB75_29:
	s_or_b64 exec, exec, s[2:3]
	s_movk_i32 s2, 0x210
	v_mad_u32_u24 v3, v5, s2, v15
	s_movk_i32 s2, 0x84
	s_waitcnt lgkmcnt(0)
	s_barrier
	v_lshlrev_b32_e32 v23, 2, v16
	ds_read_b32 v3, v3
	ds_read_b128 v[24:27], v23 offset:4544
	v_mad_u32_u24 v12, v21, s2, v15
	ds_read2_b32 v[12:13], v12 offset1:33
	v_add_u32_e32 v20, v15, v4
	ds_read_b32 v4, v20
	s_waitcnt lgkmcnt(2)
	v_fma_f32 v3, v3, v24, 0
	v_mov_b32_e32 v30, 0
	s_waitcnt lgkmcnt(1)
	v_fmac_f32_e32 v3, v12, v25
	v_fmac_f32_e32 v3, v13, v26
	s_waitcnt lgkmcnt(0)
	v_fmac_f32_e32 v3, v4, v27
	v_mul_u32_u24_e32 v4, 33, v2
	v_lshlrev_b32_e32 v17, 2, v4
	v_lshl_add_u32 v19, v5, 2, v17
	v_cmp_gt_u32_e64 s[2:3], 32, v14
	s_barrier
	ds_write_b32 v19, v3
	s_waitcnt lgkmcnt(0)
	s_barrier
	s_and_saveexec_b64 s[14:15], s[2:3]
	s_cbranch_execz .LBB75_31
; %bb.30:
	ds_read2_b32 v[3:4], v17 offset1:1
	ds_read2_b32 v[12:13], v17 offset0:2 offset1:3
	ds_read2_b32 v[24:25], v17 offset0:4 offset1:5
	;; [unrolled: 1-line block ×3, first 2 shown]
	s_waitcnt lgkmcnt(3)
	v_add_f32_e32 v3, v3, v4
	s_waitcnt lgkmcnt(2)
	v_add_f32_e32 v3, v3, v12
	v_add_f32_e32 v3, v3, v13
	s_waitcnt lgkmcnt(1)
	v_add_f32_e32 v3, v3, v24
	;; [unrolled: 3-line block ×3, first 2 shown]
	v_add_f32_e32 v30, v3, v27
.LBB75_31:
	s_or_b64 exec, exec, s[14:15]
	s_lshl_b32 s30, s22, 5
	s_ashr_i32 s31, s30, 31
	s_lshl_b64 s[28:29], s[30:31], 2
	v_mov_b32_e32 v3, s29
	v_add_co_u32_e32 v12, vcc, s28, v10
	v_addc_co_u32_e32 v13, vcc, v11, v3, vcc
	v_add_co_u32_e32 v10, vcc, 0x80, v12
	v_addc_co_u32_e32 v11, vcc, 0, v13, vcc
	s_and_b64 vcc, exec, s[34:35]
	s_barrier
	s_cbranch_vccz .LBB75_41
; %bb.32:
	v_sub_co_u32_e32 v4, vcc, v12, v15
	s_ashr_i32 s19, s18, 31
	v_subbrev_co_u32_e32 v22, vcc, 0, v13, vcc
	s_lshl_b64 s[36:37], s[18:19], 2
	v_mov_b32_e32 v25, s37
	v_add_co_u32_e32 v4, vcc, s36, v4
	v_addc_co_u32_e32 v22, vcc, v22, v25, vcc
	v_or_b32_e32 v3, 32, v2
	v_add_co_u32_e32 v25, vcc, -4, v4
	v_addc_co_u32_e32 v4, vcc, -1, v22, vcc
	v_cmp_gt_i32_e64 s[14:15], s18, v3
	s_sub_i32 s19, s18, 32
	v_mov_b32_e32 v24, 0
	v_cndmask_b32_e64 v4, v4, v11, s[14:15]
	v_cndmask_b32_e64 v3, v25, v10, s[14:15]
	v_cmp_gt_i32_e32 vcc, s19, v5
	v_mov_b32_e32 v25, 0
	s_and_saveexec_b64 s[38:39], vcc
	s_cbranch_execz .LBB75_34
; %bb.33:
	global_load_dword v25, v[3:4], off
.LBB75_34:
	s_or_b64 exec, exec, s[38:39]
	s_movk_i32 s23, 0x84
	v_mad_u32_u24 v26, v5, s23, v15
	s_waitcnt vmcnt(0)
	ds_write_b32 v26, v25
	v_add_u32_e32 v25, 8, v5
	v_mul_u32_u24_e32 v22, 0x84, v5
	v_cmp_gt_i32_e32 vcc, s19, v25
	s_and_saveexec_b64 s[38:39], vcc
	s_cbranch_execz .LBB75_36
; %bb.35:
	s_lshl_b32 s42, s22, 3
	s_ashr_i32 s43, s42, 31
	s_lshl_b64 s[42:43], s[42:43], 2
	v_mov_b32_e32 v25, s43
	v_add_co_u32_e32 v24, vcc, s42, v3
	v_addc_co_u32_e32 v25, vcc, v4, v25, vcc
	global_load_dword v24, v[24:25], off
.LBB75_36:
	s_or_b64 exec, exec, s[38:39]
	v_add_u32_e32 v22, v22, v15
	s_waitcnt vmcnt(0)
	ds_write_b32 v22, v24 offset:1056
	v_add_u32_e32 v24, 16, v5
	v_cmp_gt_i32_e32 vcc, s19, v24
	v_mov_b32_e32 v24, 0
	v_mov_b32_e32 v25, 0
	s_and_saveexec_b64 s[38:39], vcc
	s_cbranch_execz .LBB75_38
; %bb.37:
	s_lshl_b32 s42, s22, 4
	s_ashr_i32 s43, s42, 31
	s_lshl_b64 s[42:43], s[42:43], 2
	v_mov_b32_e32 v26, s43
	v_add_co_u32_e32 v25, vcc, s42, v3
	v_addc_co_u32_e32 v26, vcc, v4, v26, vcc
	global_load_dword v25, v[25:26], off
.LBB75_38:
	s_or_b64 exec, exec, s[38:39]
	s_waitcnt vmcnt(0)
	ds_write_b32 v22, v25 offset:2112
	v_add_u32_e32 v25, 24, v5
	v_cmp_gt_i32_e32 vcc, s19, v25
	s_and_saveexec_b64 s[38:39], vcc
	s_cbranch_execz .LBB75_40
; %bb.39:
	s_mul_i32 s42, s22, 24
	s_ashr_i32 s43, s42, 31
	s_lshl_b64 s[42:43], s[42:43], 2
	v_mov_b32_e32 v25, s43
	v_add_co_u32_e32 v24, vcc, s42, v3
	v_addc_co_u32_e32 v25, vcc, v4, v25, vcc
	global_load_dword v24, v[24:25], off
.LBB75_40:
	s_or_b64 exec, exec, s[38:39]
	v_add_co_u32_e32 v3, vcc, v3, v15
	v_addc_co_u32_e32 v4, vcc, 0, v4, vcc
	s_waitcnt vmcnt(0)
	ds_write_b32 v22, v24 offset:3168
	v_mov_b32_e32 v22, s37
	v_subrev_co_u32_e32 v3, vcc, s36, v3
	v_subb_co_u32_e32 v4, vcc, v4, v22, vcc
	v_add_co_u32_e32 v3, vcc, 0x84, v3
	v_addc_co_u32_e32 v4, vcc, 0, v4, vcc
	v_cndmask_b32_e64 v4, v4, v11, s[14:15]
	v_cndmask_b32_e64 v3, v3, v10, s[14:15]
	v_mul_u32_u24_e32 v22, 0x210, v5
	s_branch .LBB75_43
.LBB75_41:
                                        ; implicit-def: $vgpr3_vgpr4
	v_mul_u32_u24_e32 v22, 0x210, v5
	s_cbranch_execz .LBB75_43
; %bb.42:
	s_lshl_b32 s14, s22, 3
	s_ashr_i32 s15, s14, 31
	s_lshl_b64 s[14:15], s[14:15], 2
	v_mov_b32_e32 v4, s15
	v_add_co_u32_e32 v3, vcc, s14, v12
	s_ashr_i32 s23, s22, 31
	v_addc_co_u32_e32 v4, vcc, v13, v4, vcc
	s_lshl_b64 s[14:15], s[22:23], 5
	v_mov_b32_e32 v27, s15
	v_add_co_u32_e32 v24, vcc, s14, v3
	v_addc_co_u32_e32 v25, vcc, v4, v27, vcc
	v_add_co_u32_e32 v26, vcc, s14, v24
	v_addc_co_u32_e32 v27, vcc, v25, v27, vcc
	global_load_dword v28, v[12:13], off offset:128
	global_load_dword v29, v[3:4], off offset:128
	;; [unrolled: 1-line block ×4, first 2 shown]
	s_movk_i32 s14, 0x84
	v_mad_u32_u24 v3, v5, s14, v15
	s_waitcnt vmcnt(3)
	ds_write_b32 v3, v28
	s_waitcnt vmcnt(2)
	ds_write_b32 v3, v29 offset:1056
	s_waitcnt vmcnt(1)
	ds_write_b32 v3, v31 offset:2112
	;; [unrolled: 2-line block ×3, first 2 shown]
	v_mov_b32_e32 v3, v10
	v_mov_b32_e32 v4, v11
.LBB75_43:
	v_mul_u32_u24_e32 v11, 0x84, v21
	v_add_u32_e32 v21, v15, v22
	v_lshl_add_u32 v10, v16, 2, v17
	s_waitcnt lgkmcnt(0)
	s_barrier
	s_and_saveexec_b64 s[14:15], s[16:17]
	s_cbranch_execnz .LBB75_60
; %bb.44:
	s_or_b64 exec, exec, s[14:15]
	v_add_u32_e32 v22, v15, v11
	s_and_saveexec_b64 s[14:15], s[8:9]
	s_cbranch_execnz .LBB75_61
.LBB75_45:
	s_or_b64 exec, exec, s[14:15]
	s_and_saveexec_b64 s[8:9], s[10:11]
	s_cbranch_execnz .LBB75_62
.LBB75_46:
	s_or_b64 exec, exec, s[8:9]
	v_add_u32_e32 v23, 0x11c0, v23
	s_and_saveexec_b64 s[8:9], s[12:13]
	s_cbranch_execz .LBB75_48
.LBB75_47:
	ds_read_b32 v11, v20
	s_waitcnt lgkmcnt(0)
	ds_write_b32 v10, v11 offset:12
.LBB75_48:
	s_or_b64 exec, exec, s[8:9]
	s_waitcnt lgkmcnt(0)
	s_barrier
	ds_read_b32 v26, v21
	ds_read_b128 v[10:13], v23 offset:128
	ds_read2_b32 v[24:25], v22 offset1:33
	ds_read_b32 v27, v20
	v_cmp_eq_u32_e64 s[8:9], 1, v5
	s_waitcnt lgkmcnt(0)
	v_fma_f32 v10, v26, v10, 0
	v_fmac_f32_e32 v10, v24, v11
	v_fmac_f32_e32 v10, v25, v12
	;; [unrolled: 1-line block ×3, first 2 shown]
	s_barrier
	ds_write_b32 v19, v10
	s_waitcnt lgkmcnt(0)
	s_barrier
	s_and_saveexec_b64 s[10:11], s[8:9]
	s_cbranch_execz .LBB75_50
; %bb.49:
	ds_read2_b32 v[10:11], v17 offset1:1
	ds_read2_b32 v[12:13], v17 offset0:2 offset1:3
	ds_read2_b32 v[24:25], v17 offset0:4 offset1:5
	ds_read2_b32 v[26:27], v17 offset0:6 offset1:7
	s_waitcnt lgkmcnt(3)
	v_add_f32_e32 v10, v10, v11
	s_waitcnt lgkmcnt(2)
	v_add_f32_e32 v10, v10, v12
	v_add_f32_e32 v10, v10, v13
	s_waitcnt lgkmcnt(1)
	v_add_f32_e32 v10, v10, v24
	v_add_f32_e32 v10, v10, v25
	s_waitcnt lgkmcnt(0)
	v_add_f32_e32 v10, v10, v26
	v_add_f32_e32 v30, v10, v27
.LBB75_50:
	s_or_b64 exec, exec, s[10:11]
	v_add_co_u32_e32 v12, vcc, 0xffffff80, v3
	v_addc_co_u32_e32 v13, vcc, -1, v4, vcc
	s_and_b64 vcc, exec, s[34:35]
	s_barrier
	s_cbranch_vccz .LBB75_63
; %bb.51:
	v_sub_co_u32_e32 v10, vcc, v3, v15
	s_ashr_i32 s19, s18, 31
	v_subbrev_co_u32_e32 v11, vcc, 0, v4, vcc
	s_lshl_b64 s[12:13], s[18:19], 2
	v_mov_b32_e32 v25, s13
	v_add_co_u32_e32 v10, vcc, s12, v10
	v_addc_co_u32_e32 v11, vcc, v11, v25, vcc
	v_add_co_u32_e32 v10, vcc, 0xffffff7c, v10
	v_addc_co_u32_e32 v11, vcc, -1, v11, vcc
	v_cmp_gt_i32_e32 vcc, s18, v2
	s_sub_i32 s16, s18, 32
	v_mov_b32_e32 v24, 0
	v_cndmask_b32_e32 v11, v11, v13, vcc
	v_cndmask_b32_e32 v10, v10, v12, vcc
	v_cmp_gt_i32_e64 s[10:11], s16, v5
	v_mov_b32_e32 v2, 0
	s_and_saveexec_b64 s[14:15], s[10:11]
	s_cbranch_execz .LBB75_53
; %bb.52:
	global_load_dword v2, v[10:11], off
.LBB75_53:
	s_or_b64 exec, exec, s[14:15]
	s_movk_i32 s10, 0x84
	v_mad_u32_u24 v26, v5, s10, v15
	s_waitcnt vmcnt(0)
	ds_write_b32 v26, v2
	v_add_u32_e32 v2, 8, v5
	v_mul_u32_u24_e32 v25, 0x84, v5
	v_cmp_gt_i32_e64 s[10:11], s16, v2
	s_and_saveexec_b64 s[14:15], s[10:11]
	s_cbranch_execz .LBB75_55
; %bb.54:
	s_lshl_b32 s10, s22, 3
	s_ashr_i32 s11, s10, 31
	s_lshl_b64 s[10:11], s[10:11], 2
	v_mov_b32_e32 v24, s11
	v_add_co_u32_e64 v26, s[10:11], s10, v10
	v_addc_co_u32_e64 v27, s[10:11], v11, v24, s[10:11]
	global_load_dword v24, v[26:27], off
.LBB75_55:
	s_or_b64 exec, exec, s[14:15]
	v_add_u32_e32 v26, v25, v15
	s_waitcnt vmcnt(0)
	ds_write_b32 v26, v24 offset:1056
	v_add_u32_e32 v24, 16, v5
	v_cmp_gt_i32_e64 s[10:11], s16, v24
	v_mov_b32_e32 v27, 0
	v_mov_b32_e32 v25, 0
	s_and_saveexec_b64 s[14:15], s[10:11]
	s_cbranch_execz .LBB75_57
; %bb.56:
	s_lshl_b32 s10, s22, 4
	s_ashr_i32 s11, s10, 31
	s_lshl_b64 s[10:11], s[10:11], 2
	v_mov_b32_e32 v25, s11
	v_add_co_u32_e64 v28, s[10:11], s10, v10
	v_addc_co_u32_e64 v29, s[10:11], v11, v25, s[10:11]
	global_load_dword v25, v[28:29], off
.LBB75_57:
	s_or_b64 exec, exec, s[14:15]
	s_waitcnt vmcnt(0)
	ds_write_b32 v26, v25 offset:2112
	v_add_u32_e32 v25, 24, v5
	v_cmp_gt_i32_e64 s[10:11], s16, v25
	s_and_saveexec_b64 s[14:15], s[10:11]
	s_cbranch_execz .LBB75_59
; %bb.58:
	s_mul_i32 s10, s22, 24
	s_ashr_i32 s11, s10, 31
	s_lshl_b64 s[10:11], s[10:11], 2
	v_mov_b32_e32 v28, s11
	v_add_co_u32_e64 v27, s[10:11], s10, v10
	v_addc_co_u32_e64 v28, s[10:11], v11, v28, s[10:11]
	global_load_dword v27, v[27:28], off
.LBB75_59:
	s_or_b64 exec, exec, s[14:15]
	v_add_co_u32_e64 v10, s[10:11], v10, v15
	v_addc_co_u32_e64 v11, s[10:11], 0, v11, s[10:11]
	s_waitcnt vmcnt(0)
	ds_write_b32 v26, v27 offset:3168
	v_mov_b32_e32 v26, s13
	v_subrev_co_u32_e64 v10, s[10:11], s12, v10
	v_subb_co_u32_e64 v11, s[10:11], v11, v26, s[10:11]
	v_add_co_u32_e64 v10, s[10:11], 4, v10
	v_addc_co_u32_e64 v11, s[10:11], 0, v11, s[10:11]
	v_cndmask_b32_e32 v11, v11, v13, vcc
	v_cndmask_b32_e32 v10, v10, v12, vcc
	s_branch .LBB75_65
.LBB75_60:
	ds_read_b32 v12, v21
	s_waitcnt lgkmcnt(0)
	ds_write_b32 v10, v12
	s_or_b64 exec, exec, s[14:15]
	v_add_u32_e32 v22, v15, v11
	s_and_saveexec_b64 s[14:15], s[8:9]
	s_cbranch_execz .LBB75_45
.LBB75_61:
	ds_read_b32 v11, v22
	s_waitcnt lgkmcnt(0)
	ds_write_b32 v10, v11 offset:4
	s_or_b64 exec, exec, s[14:15]
	s_and_saveexec_b64 s[8:9], s[10:11]
	s_cbranch_execz .LBB75_46
.LBB75_62:
	ds_read_b32 v11, v22 offset:132
	s_waitcnt lgkmcnt(0)
	ds_write_b32 v10, v11 offset:8
	s_or_b64 exec, exec, s[8:9]
	v_add_u32_e32 v23, 0x11c0, v23
	s_and_saveexec_b64 s[8:9], s[12:13]
	s_cbranch_execnz .LBB75_47
	s_branch .LBB75_48
.LBB75_63:
                                        ; implicit-def: $vgpr10_vgpr11
                                        ; implicit-def: $vgpr2
                                        ; implicit-def: $vgpr24
                                        ; implicit-def: $vgpr25
	s_cbranch_execz .LBB75_65
; %bb.64:
	s_lshl_b32 s10, s22, 3
	s_ashr_i32 s11, s10, 31
	s_lshl_b64 s[10:11], s[10:11], 2
	v_mov_b32_e32 v2, s11
	v_add_co_u32_e32 v10, vcc, s10, v3
	s_ashr_i32 s23, s22, 31
	v_addc_co_u32_e32 v11, vcc, v4, v2, vcc
	s_lshl_b64 s[10:11], s[22:23], 5
	v_mov_b32_e32 v2, s11
	v_add_co_u32_e32 v24, vcc, s10, v10
	v_addc_co_u32_e32 v25, vcc, v11, v2, vcc
	v_add_co_u32_e32 v26, vcc, s10, v24
	v_addc_co_u32_e32 v27, vcc, v25, v2, vcc
	global_load_dword v28, v[3:4], off offset:-128
	global_load_dword v29, v[10:11], off offset:-128
	;; [unrolled: 1-line block ×4, first 2 shown]
	s_movk_i32 s10, 0x84
	v_mov_b32_e32 v10, v12
	v_add_u32_e32 v2, 8, v5
	v_add_u32_e32 v24, 16, v5
	;; [unrolled: 1-line block ×3, first 2 shown]
	v_mad_u32_u24 v3, v5, s10, v15
	v_mov_b32_e32 v11, v13
	s_waitcnt vmcnt(3)
	ds_write_b32 v3, v28
	s_waitcnt vmcnt(2)
	ds_write_b32 v3, v29 offset:1056
	s_waitcnt vmcnt(1)
	ds_write_b32 v3, v31 offset:2112
	;; [unrolled: 2-line block ×3, first 2 shown]
.LBB75_65:
	v_add_u32_e32 v3, v17, v16
	s_waitcnt lgkmcnt(0)
	s_barrier
	ds_read_b32 v26, v3
	ds_read_b32 v27, v16 offset:4544
	v_lshlrev_b32_e32 v2, 2, v2
	v_lshlrev_b32_e32 v4, 2, v24
	;; [unrolled: 1-line block ×3, first 2 shown]
	v_add_u32_e32 v3, v17, v2
	v_add_u32_e32 v5, v17, v4
	;; [unrolled: 1-line block ×3, first 2 shown]
	ds_read_b32 v24, v3
	ds_read_b32 v25, v5
	;; [unrolled: 1-line block ×4, first 2 shown]
	ds_read_b32 v21, v12 offset:4544
	ds_read_b32 v29, v4 offset:4544
	;; [unrolled: 1-line block ×3, first 2 shown]
	ds_read2_b32 v[12:13], v22 offset1:33
	ds_read_b128 v[2:5], v23 offset:128
	ds_read_b32 v16, v20
	s_waitcnt lgkmcnt(10)
	v_fma_f32 v20, v26, v27, 0
	s_waitcnt lgkmcnt(3)
	v_fmac_f32_e32 v20, v24, v31
	v_fmac_f32_e32 v20, v25, v29
	;; [unrolled: 1-line block ×3, first 2 shown]
	s_waitcnt lgkmcnt(0)
	s_barrier
	ds_write_b32 v19, v20
	s_waitcnt lgkmcnt(0)
	s_barrier
	s_and_saveexec_b64 s[10:11], s[8:9]
	s_cbranch_execz .LBB75_67
; %bb.66:
	ds_read2_b32 v[20:21], v17 offset1:1
	ds_read2_b32 v[22:23], v17 offset0:2 offset1:3
	ds_read2_b32 v[24:25], v17 offset0:4 offset1:5
	;; [unrolled: 1-line block ×3, first 2 shown]
	s_waitcnt lgkmcnt(3)
	v_add_f32_e32 v20, v30, v20
	v_add_f32_e32 v20, v20, v21
	s_waitcnt lgkmcnt(2)
	v_add_f32_e32 v20, v20, v22
	v_add_f32_e32 v20, v20, v23
	;; [unrolled: 3-line block ×4, first 2 shown]
.LBB75_67:
	s_or_b64 exec, exec, s[10:11]
	v_fma_f32 v2, v15, v2, 0
	v_fmac_f32_e32 v2, v12, v3
	v_fmac_f32_e32 v2, v13, v4
	;; [unrolled: 1-line block ×3, first 2 shown]
	s_barrier
	ds_write_b32 v19, v2
	s_waitcnt lgkmcnt(0)
	s_barrier
	s_and_saveexec_b64 s[8:9], s[2:3]
	s_cbranch_execz .LBB75_69
; %bb.68:
	ds_read2_b32 v[2:3], v17 offset1:1
	ds_read2_b32 v[4:5], v17 offset0:2 offset1:3
	ds_read2_b32 v[12:13], v17 offset0:4 offset1:5
	;; [unrolled: 1-line block ×3, first 2 shown]
	s_waitcnt lgkmcnt(3)
	v_add_f32_e32 v2, v30, v2
	v_add_f32_e32 v2, v2, v3
	s_waitcnt lgkmcnt(2)
	v_add_f32_e32 v2, v2, v4
	v_add_f32_e32 v2, v2, v5
	;; [unrolled: 3-line block ×4, first 2 shown]
.LBB75_69:
	s_or_b64 exec, exec, s[8:9]
	s_load_dwordx2 s[2:3], s[4:5], 0x60
	s_mul_hi_u32 s4, s24, s7
	s_mul_i32 s41, s41, s7
	s_add_i32 s4, s4, s41
	s_mul_i32 s7, s24, s7
	s_mul_i32 s4, s4, s25
	s_mul_hi_u32 s5, s7, s25
	s_add_i32 s5, s5, s4
	s_mul_i32 s4, s7, s25
	s_lshl_b64 s[4:5], s[4:5], 2
	s_waitcnt lgkmcnt(0)
	s_add_u32 s4, s2, s4
	s_addc_u32 s5, s3, s5
	s_mul_hi_i32 s3, s24, s6
	s_mul_i32 s2, s24, s6
	s_lshl_b64 s[2:3], s[2:3], 2
	s_add_u32 s7, s4, s2
	s_addc_u32 s19, s5, s3
	s_add_i32 s4, s6, 1
	s_cmp_ge_u32 s4, s25
	v_lshlrev_b32_e32 v31, 2, v0
	s_barrier
	s_cbranch_scc1 .LBB75_126
; %bb.70:
	s_mul_i32 s2, s40, s26
	s_ashr_i32 s3, s2, 31
	s_lshl_b64 s[2:3], s[2:3], 2
	v_lshlrev_b32_e32 v32, 2, v1
	v_subrev_co_u32_e32 v33, vcc, s2, v8
	s_lshl_b32 s2, s22, 4
	v_mov_b32_e32 v4, s3
	v_mad_u64_u32 v[2:3], s[8:9], s22, v32, v[0:1]
	s_lshl_b32 s26, s40, 6
	s_ashr_i32 s3, s2, 31
	s_ashr_i32 s23, s22, 31
	s_lshl_b32 s14, s22, 1
	s_mul_i32 s16, s22, 3
	s_mul_i32 s40, s40, s4
	s_add_i32 s24, s25, -2
	s_ashr_i32 s15, s14, 31
	s_ashr_i32 s17, s16, 31
	s_lshl_b64 s[12:13], s[22:23], 2
	s_lshl_b32 s8, s40, 6
	s_lshl_b64 s[10:11], s[2:3], 4
	s_lshl_b64 s[4:5], s[22:23], 3
	s_add_u32 s9, s4, s28
	s_addc_u32 s27, s5, s29
	s_add_u32 s34, s12, s28
	s_addc_u32 s35, s13, s29
	s_lshl_b64 s[14:15], s[14:15], 2
	s_add_u32 s36, s28, s14
	s_addc_u32 s37, s29, s15
	s_lshl_b64 s[16:17], s[16:17], 2
	;; [unrolled: 3-line block ×3, first 2 shown]
	s_add_u32 s44, s28, s40
	s_addc_u32 s45, s29, s41
	s_add_u32 s46, s34, s40
	s_addc_u32 s47, s35, s41
	;; [unrolled: 2-line block ×4, first 2 shown]
	s_add_u32 s40, s9, s40
	v_subb_co_u32_e32 v34, vcc, v9, v4, vcc
	s_addc_u32 s41, s27, s41
	v_ashrrev_i32_e32 v3, 31, v2
	v_mov_b32_e32 v5, s31
	v_add_co_u32_e32 v4, vcc, s30, v2
	s_add_u32 s30, s30, s2
	v_addc_co_u32_e32 v5, vcc, v5, v3, vcc
	s_addc_u32 s31, s31, s3
	v_lshlrev_b64 v[4:5], 2, v[4:5]
	v_mov_b32_e32 v9, s31
	v_add_co_u32_e32 v8, vcc, s30, v2
	v_addc_co_u32_e32 v9, vcc, v9, v3, vcc
	v_lshlrev_b64 v[8:9], 2, v[8:9]
	v_mad_i64_i32 v[12:13], s[30:31], s2, 12, v[4:5]
	s_mul_hi_i32 s39, s22, 12
	s_mul_i32 s42, s22, 12
	v_mov_b32_e32 v15, s39
	v_add_co_u32_e32 v16, vcc, s42, v8
	s_lshl_b64 s[30:31], s[2:3], 3
	v_addc_co_u32_e32 v15, vcc, v15, v9, vcc
	s_add_u32 s52, s30, s28
	v_mov_b32_e32 v8, s13
	v_add_co_u32_e32 v17, vcc, s12, v12
	s_addc_u32 s53, s31, s29
	v_addc_co_u32_e32 v19, vcc, v13, v8, vcc
	s_add_u32 s12, s52, s12
	v_mov_b32_e32 v8, s15
	v_add_co_u32_e32 v20, vcc, s14, v12
	s_addc_u32 s13, s53, s13
	;; [unrolled: 5-line block ×3, first 2 shown]
	v_addc_co_u32_e32 v23, vcc, v13, v8, vcc
	s_add_u32 s16, s52, s16
	v_add_co_u32_e32 v35, vcc, v10, v12
	s_addc_u32 s17, s53, s17
	v_addc_co_u32_e32 v36, vcc, v11, v13, vcc
	s_add_u32 s54, s9, s30
	v_mov_b32_e32 v8, s39
	v_add_co_u32_e32 v12, vcc, s42, v4
	s_addc_u32 s55, s27, s31
	v_addc_co_u32_e32 v13, vcc, v8, v5, vcc
	s_add_u32 s30, s42, s30
	s_addc_u32 s31, s39, s31
	v_add_co_u32_e32 v24, vcc, s30, v4
	s_mul_i32 s30, s22, 0xc0
	v_mov_b32_e32 v8, s31
	s_mul_hi_i32 s31, s2, 12
	s_add_u32 s30, s30, s4
	s_addc_u32 s4, s31, s5
	s_add_u32 s2, s22, s2
	v_addc_co_u32_e32 v25, vcc, v8, v5, vcc
	v_mov_b32_e32 v26, s4
	v_mad_u64_u32 v[8:9], s[4:5], s2, 12, v[4:5]
	v_add_co_u32_e32 v27, vcc, s30, v4
	s_addc_u32 s2, s23, s3
	v_mov_b32_e32 v4, v9
	v_addc_co_u32_e32 v26, vcc, v26, v5, vcc
	v_mad_u64_u32 v[4:5], s[2:3], s2, 12, v[4:5]
	v_add_co_u32_e32 v37, vcc, v10, v8
	v_addc_co_u32_e32 v38, vcc, v11, v4, vcc
	v_mov_b32_e32 v4, s29
	v_add_co_u32_e32 v39, vcc, s28, v10
	v_addc_co_u32_e32 v40, vcc, v11, v4, vcc
	v_mov_b32_e32 v4, s27
	v_add_co_u32_e32 v41, vcc, s9, v10
	v_addc_co_u32_e32 v42, vcc, v11, v4, vcc
	v_add_co_u32_e32 v43, vcc, v10, v12
	v_addc_co_u32_e32 v44, vcc, v11, v13, vcc
	v_mov_b32_e32 v4, s35
	v_add_co_u32_e32 v45, vcc, s34, v10
	v_addc_co_u32_e32 v46, vcc, v11, v4, vcc
	v_mov_b32_e32 v4, s37
	;; [unrolled: 3-line block ×8, first 2 shown]
	v_add_co_u32_e32 v59, vcc, s40, v10
	v_addc_co_u32_e32 v60, vcc, v11, v4, vcc
	v_add_co_u32_e32 v61, vcc, v10, v16
	v_addc_co_u32_e32 v62, vcc, v11, v15, vcc
	v_mov_b32_e32 v4, s53
	v_add_co_u32_e32 v63, vcc, s52, v10
	v_addc_co_u32_e32 v64, vcc, v11, v4, vcc
	v_mov_b32_e32 v4, s13
	;; [unrolled: 3-line block ×5, first 2 shown]
	v_add_co_u32_e32 v71, vcc, s54, v10
	v_addc_co_u32_e32 v72, vcc, v11, v4, vcc
	v_add_co_u32_e32 v73, vcc, v10, v24
	v_addc_co_u32_e32 v74, vcc, v11, v25, vcc
	v_add_co_u32_e32 v75, vcc, v10, v17
	v_addc_co_u32_e32 v76, vcc, v11, v19, vcc
	v_add_co_u32_e32 v77, vcc, v10, v20
	v_addc_co_u32_e32 v78, vcc, v11, v21, vcc
	v_add_co_u32_e32 v79, vcc, v10, v22
	v_addc_co_u32_e32 v80, vcc, v11, v23, vcc
	v_add_co_u32_e32 v81, vcc, v10, v27
	v_lshlrev_b64 v[2:3], 2, v[2:3]
	v_addc_co_u32_e32 v82, vcc, v11, v26, vcc
	v_sub_co_u32_e32 v83, vcc, v2, v6
	v_lshrrev_b32_e32 v2, 2, v14
	v_subb_co_u32_e32 v84, vcc, v3, v7, vcc
	s_movk_i32 s2, 0x10c
	v_and_b32_e32 v2, 0x1ffc, v2
	v_and_b32_e32 v3, 15, v0
	v_mad_u32_u24 v87, v3, s2, v2
	v_and_b32_e32 v2, 48, v0
	v_lshlrev_b32_e32 v2, 2, v2
	v_mad_u32_u24 v88, v3, s2, v2
	v_or_b32_e32 v2, 60, v31
	v_mad_u32_u24 v89, v3, s2, v2
	v_mul_u32_u24_e32 v2, 0x10c, v3
	v_and_b32_e32 v3, 0x7ff0, v14
	v_sub_co_u32_e32 v85, vcc, 0, v6
	v_add_u32_e32 v90, v2, v3
	v_mov_b32_e32 v2, 0x10c0
	s_movk_i32 s4, 0x430
	v_subb_co_u32_e32 v86, vcc, 0, v7, vcc
	v_cmp_gt_u32_e64 s[2:3], 64, v14
	v_lshl_add_u32 v91, v1, 4, v2
	v_add_u32_e32 v92, 0x10c0, v31
	v_add_u32_e32 v93, 0x11c0, v31
	v_mad_u32_u24 v94, v1, s4, v31
	v_or_b32_e32 v95, 1, v32
	v_or_b32_e32 v96, 2, v32
	;; [unrolled: 1-line block ×3, first 2 shown]
	v_add_u32_e32 v98, 16, v32
	v_add_u32_e32 v99, 17, v32
	;; [unrolled: 1-line block ×13, first 2 shown]
	s_cmp_eq_u32 s24, s6
	s_cselect_b32 s16, s33, 0
	s_and_saveexec_b64 s[4:5], s[0:1]
	s_cbranch_execz .LBB75_74
.LBB75_71:
	s_cmp_eq_u32 s16, 0
	s_cselect_b64 s[12:13], -1, 0
	v_cmp_gt_i32_e32 vcc, s16, v0
	s_or_b64 s[14:15], s[12:13], vcc
	v_mov_b32_e32 v2, 0
	s_and_saveexec_b64 s[12:13], s[14:15]
	s_cbranch_execz .LBB75_73
; %bb.72:
	s_ashr_i32 s9, s8, 31
	s_lshl_b64 s[14:15], s[8:9], 2
	v_mov_b32_e32 v3, s15
	v_add_co_u32_e32 v2, vcc, s14, v33
	v_addc_co_u32_e32 v3, vcc, v34, v3, vcc
	global_load_dword v2, v[2:3], off
.LBB75_73:
	s_or_b64 exec, exec, s[12:13]
	s_waitcnt vmcnt(0)
	ds_write_b32 v92, v2
.LBB75_74:                              ; =>This Inner Loop Header: Depth=1
	s_or_b64 exec, exec, s[4:5]
	s_cmp_eq_u32 s16, 0
	v_add_co_u32_e32 v2, vcc, v39, v83
	s_cselect_b64 s[12:13], -1, 0
	s_cmp_lg_u32 s16, 0
	v_addc_co_u32_e32 v3, vcc, v40, v84, vcc
	s_cselect_b64 s[14:15], -1, 0
	s_mov_b64 s[4:5], -1
	s_and_b64 vcc, exec, s[14:15]
	s_waitcnt lgkmcnt(0)
	s_barrier
                                        ; implicit-def: $vgpr113
                                        ; implicit-def: $vgpr112
                                        ; implicit-def: $vgpr111
                                        ; implicit-def: $vgpr110
	s_cbranch_vccz .LBB75_84
; %bb.75:                               ;   in Loop: Header=BB75_74 Depth=1
	v_cmp_gt_i32_e32 vcc, s16, v32
	v_mov_b32_e32 v111, 0
	v_mov_b32_e32 v110, 0
	s_and_saveexec_b64 s[4:5], vcc
	s_cbranch_execz .LBB75_77
; %bb.76:                               ;   in Loop: Header=BB75_74 Depth=1
	global_load_dword v110, v[2:3], off
.LBB75_77:                              ;   in Loop: Header=BB75_74 Depth=1
	s_or_b64 exec, exec, s[4:5]
	v_cmp_gt_i32_e32 vcc, s16, v95
	s_and_saveexec_b64 s[4:5], vcc
	s_cbranch_execz .LBB75_79
; %bb.78:                               ;   in Loop: Header=BB75_74 Depth=1
	v_add_co_u32_e32 v4, vcc, v45, v83
	v_addc_co_u32_e32 v5, vcc, v46, v84, vcc
	global_load_dword v111, v[4:5], off
.LBB75_79:                              ;   in Loop: Header=BB75_74 Depth=1
	s_or_b64 exec, exec, s[4:5]
	v_cmp_gt_i32_e32 vcc, s16, v96
	v_mov_b32_e32 v113, 0
	v_mov_b32_e32 v112, 0
	s_and_saveexec_b64 s[4:5], vcc
	s_cbranch_execz .LBB75_81
; %bb.80:                               ;   in Loop: Header=BB75_74 Depth=1
	v_add_co_u32_e32 v4, vcc, v47, v83
	v_addc_co_u32_e32 v5, vcc, v48, v84, vcc
	global_load_dword v112, v[4:5], off
.LBB75_81:                              ;   in Loop: Header=BB75_74 Depth=1
	s_or_b64 exec, exec, s[4:5]
	v_cmp_gt_i32_e32 vcc, s16, v97
	s_and_saveexec_b64 s[4:5], vcc
	s_cbranch_execz .LBB75_83
; %bb.82:                               ;   in Loop: Header=BB75_74 Depth=1
	v_add_co_u32_e32 v4, vcc, v49, v83
	v_addc_co_u32_e32 v5, vcc, v50, v84, vcc
	global_load_dword v113, v[4:5], off
.LBB75_83:                              ;   in Loop: Header=BB75_74 Depth=1
	s_or_b64 exec, exec, s[4:5]
	s_mov_b64 s[4:5], 0
.LBB75_84:                              ;   in Loop: Header=BB75_74 Depth=1
	s_and_b64 vcc, exec, s[4:5]
	s_cbranch_vccz .LBB75_86
; %bb.85:                               ;   in Loop: Header=BB75_74 Depth=1
	global_load_dword v110, v[2:3], off
	v_add_co_u32_e32 v2, vcc, v45, v83
	v_addc_co_u32_e32 v3, vcc, v46, v84, vcc
	global_load_dword v111, v[2:3], off
	v_add_co_u32_e32 v2, vcc, v41, v83
	v_addc_co_u32_e32 v3, vcc, v42, v84, vcc
	;; [unrolled: 3-line block ×3, first 2 shown]
	global_load_dword v113, v[2:3], off
.LBB75_86:                              ;   in Loop: Header=BB75_74 Depth=1
	ds_read_b32 v6, v93
	ds_read_b128 v[2:5], v91
                                        ; implicit-def: $vgpr117
                                        ; implicit-def: $vgpr116
                                        ; implicit-def: $vgpr115
                                        ; implicit-def: $vgpr114
	s_waitcnt vmcnt(0) lgkmcnt(1)
	v_mul_f32_e32 v7, v110, v6
	v_mul_f32_e32 v8, v111, v6
	;; [unrolled: 1-line block ×4, first 2 shown]
	ds_write2_b32 v94, v7, v8 offset1:67
	ds_write2_b32 v94, v9, v6 offset0:134 offset1:201
	s_waitcnt lgkmcnt(0)
	s_barrier
	ds_read2_b32 v[22:23], v90 offset1:1
	ds_read2_b32 v[20:21], v90 offset0:2 offset1:3
	v_add_co_u32_e32 v6, vcc, v51, v83
	v_addc_co_u32_e32 v7, vcc, v52, v84, vcc
	v_cndmask_b32_e64 v8, 0, 1, s[14:15]
	v_cmp_ne_u32_e64 s[4:5], 1, v8
	s_andn2_b64 vcc, exec, s[14:15]
	s_mov_b64 s[14:15], -1
	s_waitcnt lgkmcnt(0)
	s_barrier
	s_cbranch_vccnz .LBB75_96
; %bb.87:                               ;   in Loop: Header=BB75_74 Depth=1
	v_cmp_gt_i32_e32 vcc, s16, v98
	v_mov_b32_e32 v115, 0
	v_mov_b32_e32 v114, 0
	s_and_saveexec_b64 s[14:15], vcc
	s_cbranch_execz .LBB75_89
; %bb.88:                               ;   in Loop: Header=BB75_74 Depth=1
	global_load_dword v114, v[6:7], off
.LBB75_89:                              ;   in Loop: Header=BB75_74 Depth=1
	s_or_b64 exec, exec, s[14:15]
	v_cmp_gt_i32_e32 vcc, s16, v99
	s_and_saveexec_b64 s[14:15], vcc
	s_cbranch_execz .LBB75_91
; %bb.90:                               ;   in Loop: Header=BB75_74 Depth=1
	v_add_co_u32_e32 v8, vcc, v53, v83
	v_addc_co_u32_e32 v9, vcc, v54, v84, vcc
	global_load_dword v115, v[8:9], off
.LBB75_91:                              ;   in Loop: Header=BB75_74 Depth=1
	s_or_b64 exec, exec, s[14:15]
	v_cmp_gt_i32_e32 vcc, s16, v100
	v_mov_b32_e32 v117, 0
	v_mov_b32_e32 v116, 0
	s_and_saveexec_b64 s[14:15], vcc
	s_cbranch_execz .LBB75_93
; %bb.92:                               ;   in Loop: Header=BB75_74 Depth=1
	v_add_co_u32_e32 v8, vcc, v55, v83
	v_addc_co_u32_e32 v9, vcc, v56, v84, vcc
	global_load_dword v116, v[8:9], off
.LBB75_93:                              ;   in Loop: Header=BB75_74 Depth=1
	s_or_b64 exec, exec, s[14:15]
	v_cmp_gt_i32_e32 vcc, s16, v101
	s_and_saveexec_b64 s[14:15], vcc
	s_cbranch_execz .LBB75_95
; %bb.94:                               ;   in Loop: Header=BB75_74 Depth=1
	v_add_co_u32_e32 v8, vcc, v57, v83
	v_addc_co_u32_e32 v9, vcc, v58, v84, vcc
	global_load_dword v117, v[8:9], off
.LBB75_95:                              ;   in Loop: Header=BB75_74 Depth=1
	s_or_b64 exec, exec, s[14:15]
	s_mov_b64 s[14:15], 0
.LBB75_96:                              ;   in Loop: Header=BB75_74 Depth=1
	s_and_b64 vcc, exec, s[14:15]
	s_cbranch_vccz .LBB75_98
; %bb.97:                               ;   in Loop: Header=BB75_74 Depth=1
	global_load_dword v114, v[6:7], off
	v_add_co_u32_e32 v6, vcc, v53, v83
	v_addc_co_u32_e32 v7, vcc, v54, v84, vcc
	global_load_dword v115, v[6:7], off
	v_add_co_u32_e32 v6, vcc, v59, v83
	v_addc_co_u32_e32 v7, vcc, v60, v84, vcc
	;; [unrolled: 3-line block ×3, first 2 shown]
	global_load_dword v117, v[6:7], off
.LBB75_98:                              ;   in Loop: Header=BB75_74 Depth=1
	ds_read_b32 v10, v93
	ds_read_b128 v[6:9], v91 offset:64
	s_mov_b64 s[14:15], -1
                                        ; implicit-def: $vgpr121
                                        ; implicit-def: $vgpr120
                                        ; implicit-def: $vgpr119
                                        ; implicit-def: $vgpr118
	s_waitcnt vmcnt(0) lgkmcnt(1)
	v_mul_f32_e32 v11, v114, v10
	v_mul_f32_e32 v12, v115, v10
	;; [unrolled: 1-line block ×4, first 2 shown]
	ds_write2_b32 v94, v11, v12 offset1:67
	ds_write2_b32 v94, v13, v10 offset0:134 offset1:201
	s_waitcnt lgkmcnt(0)
	s_barrier
	ds_read2_b32 v[16:17], v90 offset1:1
	ds_read2_b32 v[14:15], v90 offset0:2 offset1:3
	v_add_co_u32_e32 v10, vcc, v63, v83
	v_addc_co_u32_e32 v11, vcc, v64, v84, vcc
	s_and_b64 vcc, exec, s[4:5]
	s_waitcnt lgkmcnt(0)
	s_barrier
	s_cbranch_vccnz .LBB75_108
; %bb.99:                               ;   in Loop: Header=BB75_74 Depth=1
	v_cmp_gt_i32_e32 vcc, s16, v102
	v_mov_b32_e32 v119, 0
	v_mov_b32_e32 v118, 0
	s_and_saveexec_b64 s[14:15], vcc
	s_cbranch_execz .LBB75_101
; %bb.100:                              ;   in Loop: Header=BB75_74 Depth=1
	global_load_dword v118, v[10:11], off
.LBB75_101:                             ;   in Loop: Header=BB75_74 Depth=1
	s_or_b64 exec, exec, s[14:15]
	v_cmp_gt_i32_e32 vcc, s16, v103
	s_and_saveexec_b64 s[14:15], vcc
	s_cbranch_execz .LBB75_103
; %bb.102:                              ;   in Loop: Header=BB75_74 Depth=1
	v_add_co_u32_e32 v12, vcc, v65, v83
	v_addc_co_u32_e32 v13, vcc, v66, v84, vcc
	global_load_dword v119, v[12:13], off
.LBB75_103:                             ;   in Loop: Header=BB75_74 Depth=1
	s_or_b64 exec, exec, s[14:15]
	v_cmp_gt_i32_e32 vcc, s16, v104
	v_mov_b32_e32 v121, 0
	v_mov_b32_e32 v120, 0
	s_and_saveexec_b64 s[14:15], vcc
	s_cbranch_execz .LBB75_105
; %bb.104:                              ;   in Loop: Header=BB75_74 Depth=1
	v_add_co_u32_e32 v12, vcc, v67, v83
	v_addc_co_u32_e32 v13, vcc, v68, v84, vcc
	global_load_dword v120, v[12:13], off
.LBB75_105:                             ;   in Loop: Header=BB75_74 Depth=1
	s_or_b64 exec, exec, s[14:15]
	v_cmp_gt_i32_e32 vcc, s16, v105
	s_and_saveexec_b64 s[14:15], vcc
	s_cbranch_execz .LBB75_107
; %bb.106:                              ;   in Loop: Header=BB75_74 Depth=1
	v_add_co_u32_e32 v12, vcc, v69, v83
	v_addc_co_u32_e32 v13, vcc, v70, v84, vcc
	global_load_dword v121, v[12:13], off
.LBB75_107:                             ;   in Loop: Header=BB75_74 Depth=1
	s_or_b64 exec, exec, s[14:15]
	s_mov_b64 s[14:15], 0
.LBB75_108:                             ;   in Loop: Header=BB75_74 Depth=1
	s_and_b64 vcc, exec, s[14:15]
	s_cbranch_vccz .LBB75_110
; %bb.109:                              ;   in Loop: Header=BB75_74 Depth=1
	global_load_dword v118, v[10:11], off
	v_add_co_u32_e32 v10, vcc, v65, v83
	v_addc_co_u32_e32 v11, vcc, v66, v84, vcc
	global_load_dword v119, v[10:11], off
	v_add_co_u32_e32 v10, vcc, v71, v83
	v_addc_co_u32_e32 v11, vcc, v72, v84, vcc
	;; [unrolled: 3-line block ×3, first 2 shown]
	global_load_dword v121, v[10:11], off
.LBB75_110:                             ;   in Loop: Header=BB75_74 Depth=1
	ds_read_b32 v24, v93
	ds_read_b128 v[10:13], v91 offset:128
	v_add_co_u32_e32 v28, vcc, v35, v85
	v_addc_co_u32_e32 v29, vcc, v36, v86, vcc
	s_waitcnt vmcnt(0) lgkmcnt(1)
	v_mul_f32_e32 v25, v118, v24
	v_mul_f32_e32 v26, v119, v24
	;; [unrolled: 1-line block ×4, first 2 shown]
	ds_write2_b32 v94, v25, v26 offset1:67
	ds_write2_b32 v94, v27, v24 offset0:134 offset1:201
	s_waitcnt lgkmcnt(0)
	s_barrier
	ds_read2_b32 v[26:27], v90 offset1:1
	ds_read2_b32 v[24:25], v90 offset0:2 offset1:3
	s_and_b64 vcc, exec, s[4:5]
	s_mov_b64 s[4:5], -1
	s_waitcnt lgkmcnt(0)
	s_barrier
                                        ; implicit-def: $vgpr125
                                        ; implicit-def: $vgpr124
                                        ; implicit-def: $vgpr123
                                        ; implicit-def: $vgpr122
	s_cbranch_vccnz .LBB75_120
; %bb.111:                              ;   in Loop: Header=BB75_74 Depth=1
	v_cmp_gt_i32_e32 vcc, s16, v106
	v_mov_b32_e32 v123, 0
	v_mov_b32_e32 v122, 0
	s_and_saveexec_b64 s[4:5], vcc
	s_cbranch_execz .LBB75_113
; %bb.112:                              ;   in Loop: Header=BB75_74 Depth=1
	global_load_dword v122, v[28:29], off
.LBB75_113:                             ;   in Loop: Header=BB75_74 Depth=1
	s_or_b64 exec, exec, s[4:5]
	v_cmp_gt_i32_e32 vcc, s16, v107
	s_and_saveexec_b64 s[4:5], vcc
	s_cbranch_execz .LBB75_115
; %bb.114:                              ;   in Loop: Header=BB75_74 Depth=1
	v_add_co_u32_e32 v123, vcc, v75, v85
	v_addc_co_u32_e32 v124, vcc, v76, v86, vcc
	global_load_dword v123, v[123:124], off
.LBB75_115:                             ;   in Loop: Header=BB75_74 Depth=1
	s_or_b64 exec, exec, s[4:5]
	v_cmp_gt_i32_e32 vcc, s16, v108
	v_mov_b32_e32 v125, 0
	v_mov_b32_e32 v124, 0
	s_and_saveexec_b64 s[4:5], vcc
	s_cbranch_execz .LBB75_117
; %bb.116:                              ;   in Loop: Header=BB75_74 Depth=1
	v_add_co_u32_e32 v126, vcc, v77, v85
	v_addc_co_u32_e32 v127, vcc, v78, v86, vcc
	global_load_dword v124, v[126:127], off
.LBB75_117:                             ;   in Loop: Header=BB75_74 Depth=1
	s_or_b64 exec, exec, s[4:5]
	v_cmp_gt_i32_e32 vcc, s16, v109
	s_and_saveexec_b64 s[4:5], vcc
	s_cbranch_execz .LBB75_119
; %bb.118:                              ;   in Loop: Header=BB75_74 Depth=1
	v_add_co_u32_e32 v125, vcc, v79, v85
	v_addc_co_u32_e32 v126, vcc, v80, v86, vcc
	global_load_dword v125, v[125:126], off
.LBB75_119:                             ;   in Loop: Header=BB75_74 Depth=1
	s_or_b64 exec, exec, s[4:5]
	s_mov_b64 s[4:5], 0
.LBB75_120:                             ;   in Loop: Header=BB75_74 Depth=1
	s_and_b64 vcc, exec, s[4:5]
	s_cbranch_vccz .LBB75_122
; %bb.121:                              ;   in Loop: Header=BB75_74 Depth=1
	global_load_dword v122, v[28:29], off
	v_add_co_u32_e32 v28, vcc, v75, v85
	v_addc_co_u32_e32 v29, vcc, v76, v86, vcc
	global_load_dword v123, v[28:29], off
	v_add_co_u32_e32 v28, vcc, v81, v85
	v_addc_co_u32_e32 v29, vcc, v82, v86, vcc
	;; [unrolled: 3-line block ×3, first 2 shown]
	global_load_dword v125, v[28:29], off
.LBB75_122:                             ;   in Loop: Header=BB75_74 Depth=1
	v_add_f32_e32 v26, 0, v26
	v_add_f32_e32 v26, v26, v27
	;; [unrolled: 1-line block ×4, first 2 shown]
	ds_read_b32 v24, v93
	v_add_f32_e32 v16, 0, v16
	v_add_f32_e32 v16, v16, v17
	;; [unrolled: 1-line block ×4, first 2 shown]
	ds_read_b128 v[14:17], v91 offset:192
	s_waitcnt vmcnt(0) lgkmcnt(1)
	v_mul_f32_e32 v25, v122, v24
	v_mul_f32_e32 v28, v123, v24
	ds_write2_b32 v94, v25, v28 offset1:67
	v_mul_f32_e32 v25, v124, v24
	v_mul_f32_e32 v24, v125, v24
	ds_write2_b32 v94, v25, v24 offset0:134 offset1:201
	s_waitcnt lgkmcnt(0)
	s_barrier
	ds_read2_b32 v[24:25], v90 offset1:1
	v_add_f32_e32 v22, 0, v22
	v_add_f32_e32 v28, v22, v23
	ds_read2_b32 v[22:23], v90 offset0:2 offset1:3
	v_add_f32_e32 v20, v28, v20
	v_add_f32_e32 v20, v20, v21
	s_waitcnt lgkmcnt(1)
	v_add_f32_e32 v21, 0, v24
	v_cmp_gt_i32_e32 vcc, s16, v0
	v_add_f32_e32 v21, v21, v25
	s_or_b64 s[4:5], s[12:13], vcc
	s_waitcnt lgkmcnt(0)
	v_add_f32_e32 v21, v21, v22
	s_and_b64 s[12:13], s[2:3], s[4:5]
	v_add_f32_e32 v21, v21, v23
	s_barrier
	ds_write2_b32 v87, v20, v27 offset1:16
	ds_write2_b32 v87, v26, v21 offset0:32 offset1:48
	s_waitcnt lgkmcnt(0)
	s_barrier
	s_and_saveexec_b64 s[4:5], s[12:13]
	s_cbranch_execz .LBB75_124
; %bb.123:                              ;   in Loop: Header=BB75_74 Depth=1
	ds_read2_b32 v[20:21], v88 offset1:1
	ds_read2_b32 v[22:23], v88 offset0:2 offset1:3
	ds_read2_b32 v[24:25], v88 offset0:4 offset1:5
	;; [unrolled: 1-line block ×4, first 2 shown]
	s_waitcnt lgkmcnt(4)
	v_add_f32_e32 v20, v20, v21
	s_waitcnt lgkmcnt(3)
	v_add_f32_e32 v20, v20, v22
	v_add_f32_e32 v20, v20, v23
	s_waitcnt lgkmcnt(2)
	v_add_f32_e32 v20, v20, v24
	;; [unrolled: 3-line block ×3, first 2 shown]
	v_add_f32_e32 v24, v20, v27
	ds_read2_b32 v[20:21], v88 offset0:10 offset1:11
	ds_read2_b32 v[22:23], v88 offset0:12 offset1:13
	ds_read_b32 v25, v88 offset:56
	s_waitcnt lgkmcnt(3)
	v_add_f32_e32 v24, v24, v28
	v_add_f32_e32 v24, v24, v29
	s_waitcnt lgkmcnt(2)
	v_add_f32_e32 v20, v24, v20
	ds_read_b32 v24, v89
	v_add_f32_e32 v20, v20, v21
	s_waitcnt lgkmcnt(2)
	v_add_f32_e32 v20, v20, v22
	v_add_f32_e32 v20, v20, v23
	s_waitcnt lgkmcnt(1)
	v_add_f32_e32 v20, v20, v25
	s_waitcnt lgkmcnt(0)
	v_add_f32_e32 v22, v20, v24
	v_ashrrev_i32_e32 v20, 31, v19
	v_lshlrev_b64 v[20:21], 2, v[19:20]
	v_mov_b32_e32 v23, s19
	v_add_co_u32_e32 v20, vcc, s7, v20
	v_addc_co_u32_e32 v21, vcc, v23, v21, vcc
	global_store_dword v[20:21], v22, off
.LBB75_124:                             ;   in Loop: Header=BB75_74 Depth=1
	s_or_b64 exec, exec, s[4:5]
	v_fmac_f32_e32 v30, v110, v2
	v_mov_b32_e32 v2, s11
	v_add_co_u32_e32 v39, vcc, s10, v39
	v_addc_co_u32_e32 v40, vcc, v40, v2, vcc
	v_add_co_u32_e32 v41, vcc, s10, v41
	v_addc_co_u32_e32 v42, vcc, v42, v2, vcc
	;; [unrolled: 2-line block ×16, first 2 shown]
	v_add_co_u32_e32 v71, vcc, s10, v71
	v_fmac_f32_e32 v30, v111, v3
	v_addc_co_u32_e32 v72, vcc, v72, v2, vcc
	v_fmac_f32_e32 v30, v112, v4
	v_add_co_u32_e32 v73, vcc, s10, v73
	v_fmac_f32_e32 v30, v113, v5
	v_addc_co_u32_e32 v74, vcc, v74, v2, vcc
	v_fmac_f32_e32 v30, v114, v6
	;; [unrolled: 4-line block ×7, first 2 shown]
	s_add_i32 s4, s6, 1
	s_add_i32 s8, s8, s26
	s_add_i32 s5, s6, 2
	v_add_co_u32_e32 v37, vcc, s10, v37
	v_fmac_f32_e32 v30, v125, v17
	v_add_u32_e32 v19, 64, v19
	s_cmp_ge_u32 s5, s25
	v_addc_co_u32_e32 v38, vcc, v38, v2, vcc
	s_waitcnt vmcnt(0)
	s_barrier
	s_cbranch_scc1 .LBB75_126
; %bb.125:                              ;   in Loop: Header=BB75_74 Depth=1
	s_mov_b32 s6, s4
	s_cmp_eq_u32 s24, s6
	s_cselect_b32 s16, s33, 0
	s_and_saveexec_b64 s[4:5], s[0:1]
	s_cbranch_execnz .LBB75_71
	s_branch .LBB75_74
.LBB75_126:
	s_movk_i32 s2, 0x10c
	v_cmp_gt_i32_e32 vcc, s18, v0
	v_mad_u32_u24 v1, v1, s2, v31
	s_or_b64 s[2:3], s[20:21], vcc
	s_and_b64 s[0:1], s[0:1], s[2:3]
	ds_write_b32 v1, v30
	s_waitcnt lgkmcnt(0)
	s_barrier
	s_and_saveexec_b64 s[2:3], s[0:1]
	s_cbranch_execz .LBB75_128
; %bb.127:
	ds_read2_b32 v[0:1], v31 offset1:67
	ds_read2_b32 v[2:3], v31 offset0:134 offset1:201
	v_ashrrev_i32_e32 v19, 31, v18
	v_lshlrev_b64 v[4:5], 2, v[18:19]
	v_mov_b32_e32 v6, s19
	s_waitcnt lgkmcnt(1)
	v_add_f32_e32 v0, v0, v1
	s_waitcnt lgkmcnt(0)
	v_add_f32_e32 v0, v0, v2
	v_add_f32_e32 v2, v0, v3
	v_add_co_u32_e32 v0, vcc, s7, v4
	v_addc_co_u32_e32 v1, vcc, v6, v5, vcc
	global_store_dword v[0:1], v2, off
.LBB75_128:
	s_endpgm
	.section	.rodata,"a",@progbits
	.p2align	6, 0x0
	.amdhsa_kernel _ZL26rocblas_hemvn_kernel_upperILb0ELi64ELi4ELi33ELi32ELi16EifPKfPfEviT6_lT7_lT5_lS4_lS5_lS3_lT8_i
		.amdhsa_group_segment_fixed_size 4800
		.amdhsa_private_segment_fixed_size 0
		.amdhsa_kernarg_size 368
		.amdhsa_user_sgpr_count 6
		.amdhsa_user_sgpr_private_segment_buffer 1
		.amdhsa_user_sgpr_dispatch_ptr 0
		.amdhsa_user_sgpr_queue_ptr 0
		.amdhsa_user_sgpr_kernarg_segment_ptr 1
		.amdhsa_user_sgpr_dispatch_id 0
		.amdhsa_user_sgpr_flat_scratch_init 0
		.amdhsa_user_sgpr_private_segment_size 0
		.amdhsa_uses_dynamic_stack 0
		.amdhsa_system_sgpr_private_segment_wavefront_offset 0
		.amdhsa_system_sgpr_workgroup_id_x 1
		.amdhsa_system_sgpr_workgroup_id_y 0
		.amdhsa_system_sgpr_workgroup_id_z 1
		.amdhsa_system_sgpr_workgroup_info 0
		.amdhsa_system_vgpr_workitem_id 1
		.amdhsa_next_free_vgpr 128
		.amdhsa_next_free_sgpr 56
		.amdhsa_reserve_vcc 1
		.amdhsa_reserve_flat_scratch 0
		.amdhsa_float_round_mode_32 0
		.amdhsa_float_round_mode_16_64 0
		.amdhsa_float_denorm_mode_32 3
		.amdhsa_float_denorm_mode_16_64 3
		.amdhsa_dx10_clamp 1
		.amdhsa_ieee_mode 1
		.amdhsa_fp16_overflow 0
		.amdhsa_exception_fp_ieee_invalid_op 0
		.amdhsa_exception_fp_denorm_src 0
		.amdhsa_exception_fp_ieee_div_zero 0
		.amdhsa_exception_fp_ieee_overflow 0
		.amdhsa_exception_fp_ieee_underflow 0
		.amdhsa_exception_fp_ieee_inexact 0
		.amdhsa_exception_int_div_zero 0
	.end_amdhsa_kernel
	.section	.text._ZL26rocblas_hemvn_kernel_upperILb0ELi64ELi4ELi33ELi32ELi16EifPKfPfEviT6_lT7_lT5_lS4_lS5_lS3_lT8_i,"axG",@progbits,_ZL26rocblas_hemvn_kernel_upperILb0ELi64ELi4ELi33ELi32ELi16EifPKfPfEviT6_lT7_lT5_lS4_lS5_lS3_lT8_i,comdat
.Lfunc_end75:
	.size	_ZL26rocblas_hemvn_kernel_upperILb0ELi64ELi4ELi33ELi32ELi16EifPKfPfEviT6_lT7_lT5_lS4_lS5_lS3_lT8_i, .Lfunc_end75-_ZL26rocblas_hemvn_kernel_upperILb0ELi64ELi4ELi33ELi32ELi16EifPKfPfEviT6_lT7_lT5_lS4_lS5_lS3_lT8_i
                                        ; -- End function
	.set _ZL26rocblas_hemvn_kernel_upperILb0ELi64ELi4ELi33ELi32ELi16EifPKfPfEviT6_lT7_lT5_lS4_lS5_lS3_lT8_i.num_vgpr, 128
	.set _ZL26rocblas_hemvn_kernel_upperILb0ELi64ELi4ELi33ELi32ELi16EifPKfPfEviT6_lT7_lT5_lS4_lS5_lS3_lT8_i.num_agpr, 0
	.set _ZL26rocblas_hemvn_kernel_upperILb0ELi64ELi4ELi33ELi32ELi16EifPKfPfEviT6_lT7_lT5_lS4_lS5_lS3_lT8_i.numbered_sgpr, 56
	.set _ZL26rocblas_hemvn_kernel_upperILb0ELi64ELi4ELi33ELi32ELi16EifPKfPfEviT6_lT7_lT5_lS4_lS5_lS3_lT8_i.num_named_barrier, 0
	.set _ZL26rocblas_hemvn_kernel_upperILb0ELi64ELi4ELi33ELi32ELi16EifPKfPfEviT6_lT7_lT5_lS4_lS5_lS3_lT8_i.private_seg_size, 0
	.set _ZL26rocblas_hemvn_kernel_upperILb0ELi64ELi4ELi33ELi32ELi16EifPKfPfEviT6_lT7_lT5_lS4_lS5_lS3_lT8_i.uses_vcc, 1
	.set _ZL26rocblas_hemvn_kernel_upperILb0ELi64ELi4ELi33ELi32ELi16EifPKfPfEviT6_lT7_lT5_lS4_lS5_lS3_lT8_i.uses_flat_scratch, 0
	.set _ZL26rocblas_hemvn_kernel_upperILb0ELi64ELi4ELi33ELi32ELi16EifPKfPfEviT6_lT7_lT5_lS4_lS5_lS3_lT8_i.has_dyn_sized_stack, 0
	.set _ZL26rocblas_hemvn_kernel_upperILb0ELi64ELi4ELi33ELi32ELi16EifPKfPfEviT6_lT7_lT5_lS4_lS5_lS3_lT8_i.has_recursion, 0
	.set _ZL26rocblas_hemvn_kernel_upperILb0ELi64ELi4ELi33ELi32ELi16EifPKfPfEviT6_lT7_lT5_lS4_lS5_lS3_lT8_i.has_indirect_call, 0
	.section	.AMDGPU.csdata,"",@progbits
; Kernel info:
; codeLenInByte = 6720
; TotalNumSgprs: 60
; NumVgprs: 128
; ScratchSize: 0
; MemoryBound: 0
; FloatMode: 240
; IeeeMode: 1
; LDSByteSize: 4800 bytes/workgroup (compile time only)
; SGPRBlocks: 7
; VGPRBlocks: 31
; NumSGPRsForWavesPerEU: 60
; NumVGPRsForWavesPerEU: 128
; Occupancy: 2
; WaveLimiterHint : 1
; COMPUTE_PGM_RSRC2:SCRATCH_EN: 0
; COMPUTE_PGM_RSRC2:USER_SGPR: 6
; COMPUTE_PGM_RSRC2:TRAP_HANDLER: 0
; COMPUTE_PGM_RSRC2:TGID_X_EN: 1
; COMPUTE_PGM_RSRC2:TGID_Y_EN: 0
; COMPUTE_PGM_RSRC2:TGID_Z_EN: 1
; COMPUTE_PGM_RSRC2:TIDIG_COMP_CNT: 1
	.section	.text._ZL36rocblas_hemvn_kernel_upper_block_sumILi64EifPffEviT1_lS1_lT2_lT0_lPT3_i,"axG",@progbits,_ZL36rocblas_hemvn_kernel_upper_block_sumILi64EifPffEviT1_lS1_lT2_lT0_lPT3_i,comdat
	.globl	_ZL36rocblas_hemvn_kernel_upper_block_sumILi64EifPffEviT1_lS1_lT2_lT0_lPT3_i ; -- Begin function _ZL36rocblas_hemvn_kernel_upper_block_sumILi64EifPffEviT1_lS1_lT2_lT0_lPT3_i
	.p2align	8
	.type	_ZL36rocblas_hemvn_kernel_upper_block_sumILi64EifPffEviT1_lS1_lT2_lT0_lPT3_i,@function
_ZL36rocblas_hemvn_kernel_upper_block_sumILi64EifPffEviT1_lS1_lT2_lT0_lPT3_i: ; @_ZL36rocblas_hemvn_kernel_upper_block_sumILi64EifPffEviT1_lS1_lT2_lT0_lPT3_i
; %bb.0:
	s_load_dwordx2 s[8:9], s[4:5], 0x0
	s_load_dword s18, s[4:5], 0x10
	s_waitcnt lgkmcnt(0)
	v_cmp_eq_f32_e64 s[0:1], s9, 0
	v_cmp_eq_f32_e64 s[2:3], s18, 1.0
	s_and_b64 s[0:1], s[0:1], s[2:3]
	s_and_b64 vcc, exec, s[0:1]
	s_cbranch_vccnz .LBB76_19
; %bb.1:
	s_load_dwordx4 s[0:3], s[4:5], 0x38
	s_load_dwordx4 s[12:15], s[4:5], 0x20
	s_load_dword s19, s[4:5], 0x30
	v_lshl_or_b32 v0, s6, 6, v0
	s_waitcnt lgkmcnt(0)
	s_mul_i32 s1, s1, s7
	s_mul_hi_u32 s10, s0, s7
	s_mul_i32 s0, s0, s7
	s_add_i32 s1, s10, s1
	s_lshl_b64 s[0:1], s[0:1], 2
	s_add_u32 s10, s12, s0
	s_addc_u32 s11, s13, s1
	s_lshl_b64 s[0:1], s[14:15], 2
	s_add_u32 s16, s10, s0
	s_addc_u32 s17, s11, s1
	v_cmp_neq_f32_e64 s[0:1], s9, 0
	s_and_b64 vcc, exec, s[0:1]
	v_cmp_gt_i32_e64 s[0:1], s8, v0
	s_cbranch_vccnz .LBB76_6
; %bb.2:
	s_mov_b64 s[12:13], 0
	s_mov_b64 s[10:11], 0
                                        ; implicit-def: $vgpr4
                                        ; implicit-def: $vgpr2_vgpr3
	s_and_saveexec_b64 s[14:15], s[0:1]
	s_cbranch_execz .LBB76_7
; %bb.3:
	v_mul_lo_u32 v2, s19, v0
	v_cmp_eq_f32_e64 s[0:1], s18, 0
	v_mov_b32_e32 v4, 0
	s_and_b64 vcc, exec, s[0:1]
	v_ashrrev_i32_e32 v3, 31, v2
	s_cbranch_vccnz .LBB76_5
; %bb.4:
	v_lshlrev_b64 v[4:5], 2, v[2:3]
	v_mov_b32_e32 v1, s17
	v_add_co_u32_e32 v4, vcc, s16, v4
	v_addc_co_u32_e32 v5, vcc, v1, v5, vcc
	global_load_dword v1, v[4:5], off
	s_waitcnt vmcnt(0)
	v_mul_f32_e32 v4, s18, v1
.LBB76_5:
	s_mov_b64 s[10:11], exec
	s_or_b64 exec, exec, s[14:15]
	s_and_b64 vcc, exec, s[12:13]
	s_cbranch_vccnz .LBB76_8
	s_branch .LBB76_17
.LBB76_6:
	s_mov_b64 s[10:11], 0
                                        ; implicit-def: $vgpr4
                                        ; implicit-def: $vgpr2_vgpr3
	s_cbranch_execnz .LBB76_8
	s_branch .LBB76_17
.LBB76_7:
	s_or_b64 exec, exec, s[14:15]
	s_and_b64 vcc, exec, s[12:13]
	s_cbranch_vccz .LBB76_17
.LBB76_8:
	v_cmp_gt_i32_e32 vcc, s8, v0
                                        ; implicit-def: $vgpr4
                                        ; implicit-def: $vgpr2_vgpr3
	s_and_saveexec_b64 s[0:1], vcc
	s_cbranch_execz .LBB76_16
; %bb.9:
	s_cmp_lt_i32 s6, 0
	v_mov_b32_e32 v1, 0
	s_cbranch_scc1 .LBB76_12
; %bb.10:
	s_load_dword s4, s[4:5], 0x50
	s_ashr_i32 s13, s8, 31
	s_mul_hi_u32 s5, s8, s7
	s_mul_i32 s14, s13, s7
	s_add_i32 s5, s5, s14
	s_mul_i32 s7, s8, s7
	s_mov_b32 s12, s8
	s_waitcnt lgkmcnt(0)
	s_mul_i32 s5, s5, s4
	s_mul_hi_u32 s8, s7, s4
	s_add_i32 s5, s8, s5
	s_mul_i32 s4, s7, s4
	s_lshl_b64 s[4:5], s[4:5], 2
	v_mov_b32_e32 v1, 0
	s_add_u32 s2, s2, s4
	v_lshlrev_b64 v[2:3], 2, v[0:1]
	s_addc_u32 s3, s3, s5
	v_mov_b32_e32 v4, s3
	v_add_co_u32_e32 v2, vcc, s2, v2
	s_lshl_b64 s[2:3], s[12:13], 2
	v_addc_co_u32_e32 v3, vcc, v4, v3, vcc
	s_add_i32 s4, s6, 1
	v_mov_b32_e32 v4, s3
.LBB76_11:                              ; =>This Inner Loop Header: Depth=1
	global_load_dword v5, v[2:3], off
	s_add_i32 s4, s4, -1
	v_add_co_u32_e32 v2, vcc, s2, v2
	v_addc_co_u32_e32 v3, vcc, v3, v4, vcc
	s_cmp_eq_u32 s4, 0
	s_waitcnt vmcnt(0)
	v_add_f32_e32 v1, v1, v5
	s_cbranch_scc0 .LBB76_11
.LBB76_12:
	v_mul_lo_u32 v2, s19, v0
	v_cmp_eq_f32_e64 s[2:3], s18, 0
	s_and_b64 vcc, exec, s[2:3]
	v_ashrrev_i32_e32 v3, 31, v2
	s_cbranch_vccz .LBB76_20
; %bb.13:
	v_mul_f32_e32 v4, s9, v1
	s_cbranch_execnz .LBB76_15
.LBB76_14:
	v_lshlrev_b64 v[4:5], 2, v[2:3]
	v_mov_b32_e32 v0, s17
	v_add_co_u32_e32 v4, vcc, s16, v4
	v_addc_co_u32_e32 v5, vcc, v0, v5, vcc
	global_load_dword v0, v[4:5], off
	s_waitcnt vmcnt(0)
	v_mul_f32_e32 v4, s18, v0
	v_fmac_f32_e32 v4, s9, v1
.LBB76_15:
	s_or_b64 s[10:11], s[10:11], exec
.LBB76_16:
	s_or_b64 exec, exec, s[0:1]
.LBB76_17:
	s_and_saveexec_b64 s[0:1], s[10:11]
	s_cbranch_execz .LBB76_19
; %bb.18:
	v_lshlrev_b64 v[0:1], 2, v[2:3]
	v_mov_b32_e32 v2, s17
	v_add_co_u32_e32 v0, vcc, s16, v0
	v_addc_co_u32_e32 v1, vcc, v2, v1, vcc
	global_store_dword v[0:1], v4, off
.LBB76_19:
	s_endpgm
.LBB76_20:
                                        ; implicit-def: $vgpr4
	s_branch .LBB76_14
	.section	.rodata,"a",@progbits
	.p2align	6, 0x0
	.amdhsa_kernel _ZL36rocblas_hemvn_kernel_upper_block_sumILi64EifPffEviT1_lS1_lT2_lT0_lPT3_i
		.amdhsa_group_segment_fixed_size 0
		.amdhsa_private_segment_fixed_size 0
		.amdhsa_kernarg_size 336
		.amdhsa_user_sgpr_count 6
		.amdhsa_user_sgpr_private_segment_buffer 1
		.amdhsa_user_sgpr_dispatch_ptr 0
		.amdhsa_user_sgpr_queue_ptr 0
		.amdhsa_user_sgpr_kernarg_segment_ptr 1
		.amdhsa_user_sgpr_dispatch_id 0
		.amdhsa_user_sgpr_flat_scratch_init 0
		.amdhsa_user_sgpr_private_segment_size 0
		.amdhsa_uses_dynamic_stack 0
		.amdhsa_system_sgpr_private_segment_wavefront_offset 0
		.amdhsa_system_sgpr_workgroup_id_x 1
		.amdhsa_system_sgpr_workgroup_id_y 0
		.amdhsa_system_sgpr_workgroup_id_z 1
		.amdhsa_system_sgpr_workgroup_info 0
		.amdhsa_system_vgpr_workitem_id 0
		.amdhsa_next_free_vgpr 6
		.amdhsa_next_free_sgpr 20
		.amdhsa_reserve_vcc 1
		.amdhsa_reserve_flat_scratch 0
		.amdhsa_float_round_mode_32 0
		.amdhsa_float_round_mode_16_64 0
		.amdhsa_float_denorm_mode_32 3
		.amdhsa_float_denorm_mode_16_64 3
		.amdhsa_dx10_clamp 1
		.amdhsa_ieee_mode 1
		.amdhsa_fp16_overflow 0
		.amdhsa_exception_fp_ieee_invalid_op 0
		.amdhsa_exception_fp_denorm_src 0
		.amdhsa_exception_fp_ieee_div_zero 0
		.amdhsa_exception_fp_ieee_overflow 0
		.amdhsa_exception_fp_ieee_underflow 0
		.amdhsa_exception_fp_ieee_inexact 0
		.amdhsa_exception_int_div_zero 0
	.end_amdhsa_kernel
	.section	.text._ZL36rocblas_hemvn_kernel_upper_block_sumILi64EifPffEviT1_lS1_lT2_lT0_lPT3_i,"axG",@progbits,_ZL36rocblas_hemvn_kernel_upper_block_sumILi64EifPffEviT1_lS1_lT2_lT0_lPT3_i,comdat
.Lfunc_end76:
	.size	_ZL36rocblas_hemvn_kernel_upper_block_sumILi64EifPffEviT1_lS1_lT2_lT0_lPT3_i, .Lfunc_end76-_ZL36rocblas_hemvn_kernel_upper_block_sumILi64EifPffEviT1_lS1_lT2_lT0_lPT3_i
                                        ; -- End function
	.set _ZL36rocblas_hemvn_kernel_upper_block_sumILi64EifPffEviT1_lS1_lT2_lT0_lPT3_i.num_vgpr, 6
	.set _ZL36rocblas_hemvn_kernel_upper_block_sumILi64EifPffEviT1_lS1_lT2_lT0_lPT3_i.num_agpr, 0
	.set _ZL36rocblas_hemvn_kernel_upper_block_sumILi64EifPffEviT1_lS1_lT2_lT0_lPT3_i.numbered_sgpr, 20
	.set _ZL36rocblas_hemvn_kernel_upper_block_sumILi64EifPffEviT1_lS1_lT2_lT0_lPT3_i.num_named_barrier, 0
	.set _ZL36rocblas_hemvn_kernel_upper_block_sumILi64EifPffEviT1_lS1_lT2_lT0_lPT3_i.private_seg_size, 0
	.set _ZL36rocblas_hemvn_kernel_upper_block_sumILi64EifPffEviT1_lS1_lT2_lT0_lPT3_i.uses_vcc, 1
	.set _ZL36rocblas_hemvn_kernel_upper_block_sumILi64EifPffEviT1_lS1_lT2_lT0_lPT3_i.uses_flat_scratch, 0
	.set _ZL36rocblas_hemvn_kernel_upper_block_sumILi64EifPffEviT1_lS1_lT2_lT0_lPT3_i.has_dyn_sized_stack, 0
	.set _ZL36rocblas_hemvn_kernel_upper_block_sumILi64EifPffEviT1_lS1_lT2_lT0_lPT3_i.has_recursion, 0
	.set _ZL36rocblas_hemvn_kernel_upper_block_sumILi64EifPffEviT1_lS1_lT2_lT0_lPT3_i.has_indirect_call, 0
	.section	.AMDGPU.csdata,"",@progbits
; Kernel info:
; codeLenInByte = 564
; TotalNumSgprs: 24
; NumVgprs: 6
; ScratchSize: 0
; MemoryBound: 0
; FloatMode: 240
; IeeeMode: 1
; LDSByteSize: 0 bytes/workgroup (compile time only)
; SGPRBlocks: 2
; VGPRBlocks: 1
; NumSGPRsForWavesPerEU: 24
; NumVGPRsForWavesPerEU: 6
; Occupancy: 10
; WaveLimiterHint : 0
; COMPUTE_PGM_RSRC2:SCRATCH_EN: 0
; COMPUTE_PGM_RSRC2:USER_SGPR: 6
; COMPUTE_PGM_RSRC2:TRAP_HANDLER: 0
; COMPUTE_PGM_RSRC2:TGID_X_EN: 1
; COMPUTE_PGM_RSRC2:TGID_Y_EN: 0
; COMPUTE_PGM_RSRC2:TGID_Z_EN: 1
; COMPUTE_PGM_RSRC2:TIDIG_COMP_CNT: 0
	.section	.text._ZL50rocblas_symv_kernel_lower_double_buffered_diagonalILi32ELi4E24rocblas_internal_val_ptrIfEPKfPfEvbiT1_lT2_lllS6_lllS5_lT3_llli,"axG",@progbits,_ZL50rocblas_symv_kernel_lower_double_buffered_diagonalILi32ELi4E24rocblas_internal_val_ptrIfEPKfPfEvbiT1_lT2_lllS6_lllS5_lT3_llli,comdat
	.globl	_ZL50rocblas_symv_kernel_lower_double_buffered_diagonalILi32ELi4E24rocblas_internal_val_ptrIfEPKfPfEvbiT1_lT2_lllS6_lllS5_lT3_llli ; -- Begin function _ZL50rocblas_symv_kernel_lower_double_buffered_diagonalILi32ELi4E24rocblas_internal_val_ptrIfEPKfPfEvbiT1_lT2_lllS6_lllS5_lT3_llli
	.p2align	8
	.type	_ZL50rocblas_symv_kernel_lower_double_buffered_diagonalILi32ELi4E24rocblas_internal_val_ptrIfEPKfPfEvbiT1_lT2_lllS6_lllS5_lT3_llli,@function
_ZL50rocblas_symv_kernel_lower_double_buffered_diagonalILi32ELi4E24rocblas_internal_val_ptrIfEPKfPfEvbiT1_lT2_lllS6_lllS5_lT3_llli: ; @_ZL50rocblas_symv_kernel_lower_double_buffered_diagonalILi32ELi4E24rocblas_internal_val_ptrIfEPKfPfEvbiT1_lT2_lllS6_lllS5_lT3_llli
; %bb.0:
	s_load_dword s0, s[4:5], 0x0
	s_load_dwordx16 s[8:23], s[4:5], 0x8
	s_mov_b64 s[2:3], -1
                                        ; implicit-def: $sgpr33
	s_waitcnt lgkmcnt(0)
	s_bitcmp1_b32 s0, 0
	s_cselect_b64 s[0:1], -1, 0
	s_xor_b64 s[0:1], s[0:1], -1
	s_and_b64 vcc, exec, s[0:1]
	s_cbranch_vccnz .LBB77_10
; %bb.1:
	s_load_dwordx8 s[24:31], s[4:5], 0x48
	s_andn2_b64 vcc, exec, s[2:3]
	s_cbranch_vccz .LBB77_11
.LBB77_2:
	s_andn2_b64 vcc, exec, s[0:1]
	s_cbranch_vccnz .LBB77_4
.LBB77_3:
	s_waitcnt lgkmcnt(0)
	s_mul_i32 s0, s31, s7
	s_mul_hi_u32 s1, s30, s7
	s_add_i32 s1, s1, s0
	s_mul_i32 s0, s30, s7
	s_lshl_b64 s[0:1], s[0:1], 2
	s_add_u32 s0, s28, s0
	s_addc_u32 s1, s29, s1
	s_load_dword s28, s[0:1], 0x0
.LBB77_4:
	s_waitcnt lgkmcnt(0)
	v_cmp_eq_f32_e64 s[0:1], s33, 0
	v_cmp_eq_f32_e64 s[2:3], s28, 1.0
	s_and_b64 s[0:1], s[0:1], s[2:3]
	s_and_b64 vcc, exec, s[0:1]
	s_cbranch_vccnz .LBB77_9
; %bb.5:
	s_load_dwordx2 s[8:9], s[4:5], 0x80
	s_load_dwordx2 s[10:11], s[4:5], 0x68
	s_load_dwordx4 s[0:3], s[4:5], 0x70
	s_waitcnt lgkmcnt(0)
	s_mul_i32 s5, s9, s7
	s_mul_hi_u32 s9, s8, s7
	s_mul_i32 s4, s8, s7
	s_add_i32 s5, s9, s5
	s_lshl_b64 s[4:5], s[4:5], 2
	s_add_u32 s4, s10, s4
	s_addc_u32 s5, s11, s5
	s_lshl_b64 s[0:1], s[0:1], 2
	s_add_u32 s4, s4, s0
	s_addc_u32 s5, s5, s1
	s_lshl_b32 s6, s6, 5
	s_ashr_i32 s10, s6, 31
	s_mul_i32 s0, s2, s10
	s_mul_hi_u32 s1, s2, s6
	s_add_i32 s0, s1, s0
	s_mul_i32 s1, s3, s6
	s_add_i32 s1, s0, s1
	s_mul_i32 s0, s2, s6
	s_lshl_b64 s[0:1], s[0:1], 2
	s_add_u32 s8, s4, s0
	s_addc_u32 s9, s5, s1
	v_cmp_neq_f32_e64 s[0:1], s33, 0
	s_and_b64 vcc, exec, s[0:1]
	v_cmp_eq_u32_e64 s[0:1], 0, v1
	s_cbranch_vccnz .LBB77_12
; %bb.6:
	s_and_saveexec_b64 s[4:5], s[0:1]
	s_cbranch_execz .LBB77_8
; %bb.7:
	v_mad_u64_u32 v[2:3], s[0:1], s2, v0, 0
	v_mad_u64_u32 v[3:4], s[0:1], s3, v0, v[3:4]
	v_mov_b32_e32 v4, s9
	v_lshlrev_b64 v[2:3], 2, v[2:3]
	v_add_co_u32_e32 v2, vcc, s8, v2
	v_addc_co_u32_e32 v3, vcc, v4, v3, vcc
	global_load_dword v4, v[2:3], off
	s_waitcnt vmcnt(0)
	v_mul_f32_e32 v4, s28, v4
	global_store_dword v[2:3], v4, off
.LBB77_8:
	s_or_b64 exec, exec, s[4:5]
	s_cbranch_execz .LBB77_13
.LBB77_9:
	s_endpgm
.LBB77_10:
	s_mul_i32 s2, s11, s7
	s_mul_hi_u32 s3, s10, s7
	s_add_i32 s3, s3, s2
	s_mul_i32 s2, s10, s7
	s_lshl_b64 s[2:3], s[2:3], 2
	s_add_u32 s2, s8, s2
	s_addc_u32 s3, s9, s3
	s_load_dword s33, s[2:3], 0x0
	s_load_dwordx8 s[24:31], s[4:5], 0x48
	s_cbranch_execnz .LBB77_2
.LBB77_11:
	s_waitcnt lgkmcnt(0)
	s_mov_b32 s33, s8
	s_andn2_b64 vcc, exec, s[0:1]
	s_cbranch_vccz .LBB77_3
	s_branch .LBB77_4
.LBB77_12:
.LBB77_13:
	v_mov_b32_e32 v4, 0
	v_cmp_eq_u32_e64 s[0:1], 0, v1
	s_and_saveexec_b64 s[4:5], s[0:1]
	s_cbranch_execz .LBB77_17
; %bb.14:
	v_cmp_eq_f32_e64 s[30:31], s28, 0
	v_mov_b32_e32 v4, 0
	s_and_b64 vcc, exec, s[30:31]
	s_cbranch_vccnz .LBB77_16
; %bb.15:
	v_mad_u64_u32 v[2:3], s[30:31], s2, v0, 0
	v_mad_u64_u32 v[3:4], s[30:31], s3, v0, v[3:4]
	v_mov_b32_e32 v4, s9
	v_lshlrev_b64 v[2:3], 2, v[2:3]
	v_add_co_u32_e32 v2, vcc, s8, v2
	v_addc_co_u32_e32 v3, vcc, v4, v3, vcc
	global_load_dword v2, v[2:3], off
	s_waitcnt vmcnt(0)
	v_mul_f32_e32 v4, s28, v2
.LBB77_16:
	s_mul_i32 s11, s27, s7
	s_mul_hi_u32 s27, s26, s7
	s_add_i32 s27, s27, s11
	s_mul_i32 s26, s26, s7
	s_lshl_b64 s[26:27], s[26:27], 2
	s_add_u32 s11, s20, s26
	s_addc_u32 s26, s21, s27
	s_lshl_b64 s[20:21], s[22:23], 2
	s_add_u32 s11, s11, s20
	s_addc_u32 s26, s26, s21
	s_mul_i32 s20, s24, s10
	s_mul_hi_u32 s21, s24, s6
	s_add_i32 s22, s21, s20
	v_mad_u64_u32 v[2:3], s[20:21], s24, v0, 0
	s_mul_i32 s20, s25, s6
	s_add_i32 s21, s22, s20
	v_mad_u64_u32 v[5:6], s[22:23], s25, v0, v[3:4]
	s_mul_i32 s20, s24, s6
	s_lshl_b64 s[20:21], s[20:21], 2
	v_mov_b32_e32 v3, v5
	s_add_u32 s11, s11, s20
	v_lshlrev_b64 v[2:3], 2, v[2:3]
	s_addc_u32 s20, s26, s21
	v_mov_b32_e32 v5, s20
	v_add_co_u32_e32 v2, vcc, s11, v2
	v_addc_co_u32_e32 v3, vcc, v5, v3, vcc
	global_load_dword v2, v[2:3], off
	v_lshlrev_b32_e32 v3, 2, v0
	s_waitcnt vmcnt(0)
	ds_write_b32 v3, v2 offset:5120
.LBB77_17:
	s_or_b64 exec, exec, s[4:5]
	s_mul_i32 s4, s19, s7
	s_mul_hi_u32 s5, s18, s7
	s_add_i32 s5, s5, s4
	s_mul_i32 s4, s18, s7
	s_lshl_b64 s[4:5], s[4:5], 2
	s_add_u32 s7, s12, s4
	s_addc_u32 s11, s13, s5
	s_lshl_b64 s[4:5], s[14:15], 2
	s_add_u32 s12, s7, s4
	s_addc_u32 s11, s11, s5
	s_add_u32 s7, s16, 1
	s_mul_i32 s4, s7, s10
	s_mul_hi_u32 s5, s7, s6
	s_addc_u32 s13, s17, 0
	s_add_i32 s10, s5, s4
	v_mad_u64_u32 v[2:3], s[4:5], s16, v1, 0
	s_mul_i32 s13, s13, s6
	s_mul_i32 s4, s7, s6
	v_mad_u64_u32 v[5:6], s[6:7], s17, v1, v[3:4]
	s_add_i32 s5, s10, s13
	s_lshl_b64 s[4:5], s[4:5], 2
	v_mov_b32_e32 v3, v5
	s_add_u32 s4, s12, s4
	v_lshlrev_b64 v[2:3], 2, v[2:3]
	s_addc_u32 s5, s11, s5
	v_mov_b32_e32 v5, s5
	v_add_co_u32_e32 v2, vcc, s4, v2
	v_addc_co_u32_e32 v3, vcc, v5, v3, vcc
	v_lshlrev_b32_e32 v5, 2, v0
	v_add_co_u32_e32 v6, vcc, v2, v5
	v_addc_co_u32_e32 v7, vcc, 0, v3, vcc
	s_lshl_b64 s[4:5], s[16:17], 4
	v_mov_b32_e32 v3, s5
	v_add_co_u32_e32 v8, vcc, s4, v6
	v_addc_co_u32_e32 v9, vcc, v7, v3, vcc
	v_add_co_u32_e32 v10, vcc, s4, v8
	v_addc_co_u32_e32 v11, vcc, v9, v3, vcc
	;; [unrolled: 2-line block ×3, first 2 shown]
	global_load_dword v12, v[6:7], off
	global_load_dword v13, v[8:9], off
	global_load_dword v14, v[10:11], off
	global_load_dword v15, v[2:3], off
	v_lshlrev_b32_e32 v7, 7, v1
	v_add_u32_e32 v8, 0x200, v7
	v_add_u32_e32 v9, 0x400, v7
	;; [unrolled: 1-line block ×7, first 2 shown]
	v_cmp_lt_u32_e32 vcc, 15, v0
	s_waitcnt vmcnt(3)
	ds_write_b32 v6, v12
	s_waitcnt vmcnt(2)
	ds_write_b32 v7, v13
	;; [unrolled: 2-line block ×4, first 2 shown]
	s_and_saveexec_b64 s[6:7], vcc
	s_cbranch_execz .LBB77_19
; %bb.18:
	s_lshl_b64 s[10:11], s[16:17], 2
	v_mov_b32_e32 v12, s5
	v_add_co_u32_e32 v2, vcc, s4, v2
	v_addc_co_u32_e32 v3, vcc, v3, v12, vcc
	s_lshl_b64 s[10:11], s[10:11], 2
	v_mov_b32_e32 v11, s11
	v_add_co_u32_e32 v10, vcc, s10, v2
	v_addc_co_u32_e32 v11, vcc, v3, v11, vcc
	global_load_dword v13, v[2:3], off
	global_load_dword v14, v[10:11], off
	v_add_co_u32_e32 v2, vcc, s4, v10
	v_addc_co_u32_e32 v3, vcc, v11, v12, vcc
	global_load_dword v10, v[2:3], off
	v_add_co_u32_e32 v2, vcc, s4, v2
	v_addc_co_u32_e32 v3, vcc, v3, v12, vcc
	global_load_dword v2, v[2:3], off
	s_waitcnt vmcnt(2)
	ds_write2st64_b32 v6, v13, v14 offset0:8 offset1:10
	s_waitcnt vmcnt(0)
	ds_write2st64_b32 v6, v10, v2 offset0:12 offset1:14
.LBB77_19:
	s_or_b64 exec, exec, s[6:7]
	v_cmp_ge_u32_e32 vcc, v0, v1
	v_lshlrev_b32_e32 v10, 7, v0
	s_waitcnt lgkmcnt(0)
	s_barrier
	s_and_saveexec_b64 s[4:5], vcc
	s_xor_b64 s[4:5], exec, s[4:5]
; %bb.20:
	v_lshlrev_b32_e32 v10, 7, v0
; %bb.21:
	s_or_saveexec_b64 s[4:5], s[4:5]
	v_lshlrev_b32_e32 v2, 5, v1
	v_lshlrev_b32_e32 v3, 2, v1
	s_xor_b64 exec, exec, s[4:5]
	s_cbranch_execz .LBB77_23
; %bb.22:
	v_mul_u32_u24_e32 v11, 0x7c, v0
	v_add3_u32 v11, v5, v11, v3
	ds_read_b32 v11, v11
	v_lshl_add_u32 v12, v2, 2, v5
	s_waitcnt lgkmcnt(0)
	ds_write_b32 v12, v11
.LBB77_23:
	s_or_b64 exec, exec, s[4:5]
	v_sub_u32_e32 v11, v0, v1
	v_sub_u32_e32 v12, 0, v11
	v_max_i32_e32 v11, v11, v12
	v_cmp_gt_u32_e32 vcc, 4, v11
	v_lshl_add_u32 v10, v1, 2, v10
	s_and_saveexec_b64 s[4:5], vcc
	s_cbranch_execnz .LBB77_36
; %bb.24:
	s_or_b64 exec, exec, s[4:5]
	v_cmp_gt_u32_e32 vcc, 8, v11
	s_and_saveexec_b64 s[4:5], vcc
	s_cbranch_execnz .LBB77_37
.LBB77_25:
	s_or_b64 exec, exec, s[4:5]
	v_cmp_gt_u32_e32 vcc, 12, v11
	s_and_saveexec_b64 s[4:5], vcc
	s_cbranch_execnz .LBB77_38
.LBB77_26:
	s_or_b64 exec, exec, s[4:5]
	v_cmp_gt_u32_e32 vcc, 16, v11
	s_and_saveexec_b64 s[4:5], vcc
	s_cbranch_execnz .LBB77_39
.LBB77_27:
	s_or_b64 exec, exec, s[4:5]
	v_cmp_gt_u32_e32 vcc, 20, v11
	s_and_saveexec_b64 s[4:5], vcc
	s_cbranch_execnz .LBB77_40
.LBB77_28:
	s_or_b64 exec, exec, s[4:5]
	v_cmp_gt_u32_e32 vcc, 24, v11
	s_and_saveexec_b64 s[4:5], vcc
	s_cbranch_execz .LBB77_30
.LBB77_29:
	ds_read_b32 v12, v10 offset:96
	s_waitcnt lgkmcnt(0)
	ds_write_b32 v6, v12 offset:3072
.LBB77_30:
	s_or_b64 exec, exec, s[4:5]
	v_cmp_lt_u32_e32 vcc, 27, v11
	v_add_u32_e32 v11, 28, v1
                                        ; implicit-def: $vgpr12
	s_and_saveexec_b64 s[4:5], vcc
	s_xor_b64 s[4:5], exec, s[4:5]
; %bb.31:
	v_add_u32_e32 v11, 28, v1
	v_lshlrev_b32_e32 v12, 7, v11
                                        ; implicit-def: $vgpr10
; %bb.32:
	s_andn2_saveexec_b64 s[4:5], s[4:5]
	s_cbranch_execz .LBB77_34
; %bb.33:
	ds_read_b32 v10, v10 offset:112
	v_lshlrev_b32_e32 v12, 7, v11
	v_add_u32_e32 v13, v5, v12
	s_waitcnt lgkmcnt(0)
	ds_write_b32 v13, v10
.LBB77_34:
	s_or_b64 exec, exec, s[4:5]
	v_add_u32_e32 v10, 0x1400, v3
	s_waitcnt lgkmcnt(0)
	s_barrier
	ds_read2_b32 v[13:14], v10 offset1:4
	ds_read2_b32 v[15:16], v10 offset0:8 offset1:12
	v_lshl_add_u32 v1, v1, 7, v5
	ds_read2st64_b32 v[17:18], v1 offset0:8 offset1:10
	ds_read2_b32 v[19:20], v10 offset0:16 offset1:20
	v_add_u32_e32 v10, v5, v12
	v_lshlrev_b32_e32 v11, 2, v11
	ds_read_b32 v6, v6
	ds_read_b32 v7, v7
	;; [unrolled: 1-line block ×4, first 2 shown]
	ds_read_b32 v1, v1 offset:3072
	ds_read_b32 v3, v3 offset:5216
	ds_read_b32 v10, v10
	ds_read_b32 v11, v11 offset:5120
	s_waitcnt lgkmcnt(7)
	v_fma_f32 v6, v6, v13, 0
	s_waitcnt lgkmcnt(6)
	v_fmac_f32_e32 v6, v7, v14
	s_waitcnt lgkmcnt(5)
	v_fmac_f32_e32 v6, v8, v15
	;; [unrolled: 2-line block ×3, first 2 shown]
	v_fmac_f32_e32 v6, v17, v19
	v_fmac_f32_e32 v6, v18, v20
	s_waitcnt lgkmcnt(2)
	v_fmac_f32_e32 v6, v1, v3
	s_waitcnt lgkmcnt(0)
	v_fmac_f32_e32 v6, v10, v11
	v_add_lshl_u32 v1, v2, v0, 2
	ds_write_b32 v1, v6 offset:4096
	s_waitcnt lgkmcnt(0)
	s_barrier
	s_and_saveexec_b64 s[4:5], s[0:1]
	s_cbranch_execz .LBB77_9
; %bb.35:
	v_add_u32_e32 v3, 0x1000, v5
	ds_read2_b32 v[1:2], v3 offset1:32
	ds_read2_b32 v[7:8], v3 offset0:64 offset1:96
	v_mad_u64_u32 v[5:6], s[0:1], s2, v0, 0
	v_cmp_neq_f32_e64 vcc, s28, 0
	s_waitcnt lgkmcnt(1)
	v_add_f32_e32 v1, 0, v1
	v_add_f32_e32 v1, v1, v2
	v_mov_b32_e32 v3, v6
	s_waitcnt lgkmcnt(0)
	v_add_f32_e32 v1, v1, v7
	v_add_f32_e32 v2, v1, v8
	v_mad_u64_u32 v[0:1], s[0:1], s3, v0, v[3:4]
	v_mul_f32_e32 v6, s33, v2
	v_fmac_f32_e32 v4, s33, v2
	v_cndmask_b32_e32 v2, v6, v4, vcc
	v_mov_b32_e32 v6, v0
	v_lshlrev_b64 v[0:1], 2, v[5:6]
	v_mov_b32_e32 v3, s9
	v_add_co_u32_e32 v0, vcc, s8, v0
	v_addc_co_u32_e32 v1, vcc, v3, v1, vcc
	global_store_dword v[0:1], v2, off
	s_endpgm
.LBB77_36:
	ds_read_b32 v12, v10 offset:16
	s_waitcnt lgkmcnt(0)
	ds_write_b32 v7, v12
	s_or_b64 exec, exec, s[4:5]
	v_cmp_gt_u32_e32 vcc, 8, v11
	s_and_saveexec_b64 s[4:5], vcc
	s_cbranch_execz .LBB77_25
.LBB77_37:
	ds_read_b32 v12, v10 offset:32
	s_waitcnt lgkmcnt(0)
	ds_write_b32 v8, v12
	s_or_b64 exec, exec, s[4:5]
	v_cmp_gt_u32_e32 vcc, 12, v11
	s_and_saveexec_b64 s[4:5], vcc
	s_cbranch_execz .LBB77_26
.LBB77_38:
	ds_read_b32 v12, v10 offset:48
	s_waitcnt lgkmcnt(0)
	ds_write_b32 v9, v12
	s_or_b64 exec, exec, s[4:5]
	v_cmp_gt_u32_e32 vcc, 16, v11
	s_and_saveexec_b64 s[4:5], vcc
	s_cbranch_execz .LBB77_27
.LBB77_39:
	ds_read_b32 v12, v10 offset:64
	s_waitcnt lgkmcnt(0)
	ds_write_b32 v6, v12 offset:2048
	s_or_b64 exec, exec, s[4:5]
	v_cmp_gt_u32_e32 vcc, 20, v11
	s_and_saveexec_b64 s[4:5], vcc
	s_cbranch_execz .LBB77_28
.LBB77_40:
	ds_read_b32 v12, v10 offset:80
	s_waitcnt lgkmcnt(0)
	ds_write_b32 v6, v12 offset:2560
	s_or_b64 exec, exec, s[4:5]
	v_cmp_gt_u32_e32 vcc, 24, v11
	s_and_saveexec_b64 s[4:5], vcc
	s_cbranch_execnz .LBB77_29
	s_branch .LBB77_30
	.section	.rodata,"a",@progbits
	.p2align	6, 0x0
	.amdhsa_kernel _ZL50rocblas_symv_kernel_lower_double_buffered_diagonalILi32ELi4E24rocblas_internal_val_ptrIfEPKfPfEvbiT1_lT2_lllS6_lllS5_lT3_llli
		.amdhsa_group_segment_fixed_size 5248
		.amdhsa_private_segment_fixed_size 0
		.amdhsa_kernarg_size 140
		.amdhsa_user_sgpr_count 6
		.amdhsa_user_sgpr_private_segment_buffer 1
		.amdhsa_user_sgpr_dispatch_ptr 0
		.amdhsa_user_sgpr_queue_ptr 0
		.amdhsa_user_sgpr_kernarg_segment_ptr 1
		.amdhsa_user_sgpr_dispatch_id 0
		.amdhsa_user_sgpr_flat_scratch_init 0
		.amdhsa_user_sgpr_private_segment_size 0
		.amdhsa_uses_dynamic_stack 0
		.amdhsa_system_sgpr_private_segment_wavefront_offset 0
		.amdhsa_system_sgpr_workgroup_id_x 1
		.amdhsa_system_sgpr_workgroup_id_y 0
		.amdhsa_system_sgpr_workgroup_id_z 1
		.amdhsa_system_sgpr_workgroup_info 0
		.amdhsa_system_vgpr_workitem_id 1
		.amdhsa_next_free_vgpr 37
		.amdhsa_next_free_sgpr 93
		.amdhsa_reserve_vcc 1
		.amdhsa_reserve_flat_scratch 0
		.amdhsa_float_round_mode_32 0
		.amdhsa_float_round_mode_16_64 0
		.amdhsa_float_denorm_mode_32 3
		.amdhsa_float_denorm_mode_16_64 3
		.amdhsa_dx10_clamp 1
		.amdhsa_ieee_mode 1
		.amdhsa_fp16_overflow 0
		.amdhsa_exception_fp_ieee_invalid_op 0
		.amdhsa_exception_fp_denorm_src 0
		.amdhsa_exception_fp_ieee_div_zero 0
		.amdhsa_exception_fp_ieee_overflow 0
		.amdhsa_exception_fp_ieee_underflow 0
		.amdhsa_exception_fp_ieee_inexact 0
		.amdhsa_exception_int_div_zero 0
	.end_amdhsa_kernel
	.section	.text._ZL50rocblas_symv_kernel_lower_double_buffered_diagonalILi32ELi4E24rocblas_internal_val_ptrIfEPKfPfEvbiT1_lT2_lllS6_lllS5_lT3_llli,"axG",@progbits,_ZL50rocblas_symv_kernel_lower_double_buffered_diagonalILi32ELi4E24rocblas_internal_val_ptrIfEPKfPfEvbiT1_lT2_lllS6_lllS5_lT3_llli,comdat
.Lfunc_end77:
	.size	_ZL50rocblas_symv_kernel_lower_double_buffered_diagonalILi32ELi4E24rocblas_internal_val_ptrIfEPKfPfEvbiT1_lT2_lllS6_lllS5_lT3_llli, .Lfunc_end77-_ZL50rocblas_symv_kernel_lower_double_buffered_diagonalILi32ELi4E24rocblas_internal_val_ptrIfEPKfPfEvbiT1_lT2_lllS6_lllS5_lT3_llli
                                        ; -- End function
	.set _ZL50rocblas_symv_kernel_lower_double_buffered_diagonalILi32ELi4E24rocblas_internal_val_ptrIfEPKfPfEvbiT1_lT2_lllS6_lllS5_lT3_llli.num_vgpr, 21
	.set _ZL50rocblas_symv_kernel_lower_double_buffered_diagonalILi32ELi4E24rocblas_internal_val_ptrIfEPKfPfEvbiT1_lT2_lllS6_lllS5_lT3_llli.num_agpr, 0
	.set _ZL50rocblas_symv_kernel_lower_double_buffered_diagonalILi32ELi4E24rocblas_internal_val_ptrIfEPKfPfEvbiT1_lT2_lllS6_lllS5_lT3_llli.numbered_sgpr, 34
	.set _ZL50rocblas_symv_kernel_lower_double_buffered_diagonalILi32ELi4E24rocblas_internal_val_ptrIfEPKfPfEvbiT1_lT2_lllS6_lllS5_lT3_llli.num_named_barrier, 0
	.set _ZL50rocblas_symv_kernel_lower_double_buffered_diagonalILi32ELi4E24rocblas_internal_val_ptrIfEPKfPfEvbiT1_lT2_lllS6_lllS5_lT3_llli.private_seg_size, 0
	.set _ZL50rocblas_symv_kernel_lower_double_buffered_diagonalILi32ELi4E24rocblas_internal_val_ptrIfEPKfPfEvbiT1_lT2_lllS6_lllS5_lT3_llli.uses_vcc, 1
	.set _ZL50rocblas_symv_kernel_lower_double_buffered_diagonalILi32ELi4E24rocblas_internal_val_ptrIfEPKfPfEvbiT1_lT2_lllS6_lllS5_lT3_llli.uses_flat_scratch, 0
	.set _ZL50rocblas_symv_kernel_lower_double_buffered_diagonalILi32ELi4E24rocblas_internal_val_ptrIfEPKfPfEvbiT1_lT2_lllS6_lllS5_lT3_llli.has_dyn_sized_stack, 0
	.set _ZL50rocblas_symv_kernel_lower_double_buffered_diagonalILi32ELi4E24rocblas_internal_val_ptrIfEPKfPfEvbiT1_lT2_lllS6_lllS5_lT3_llli.has_recursion, 0
	.set _ZL50rocblas_symv_kernel_lower_double_buffered_diagonalILi32ELi4E24rocblas_internal_val_ptrIfEPKfPfEvbiT1_lT2_lllS6_lllS5_lT3_llli.has_indirect_call, 0
	.section	.AMDGPU.csdata,"",@progbits
; Kernel info:
; codeLenInByte = 1896
; TotalNumSgprs: 38
; NumVgprs: 21
; ScratchSize: 0
; MemoryBound: 0
; FloatMode: 240
; IeeeMode: 1
; LDSByteSize: 5248 bytes/workgroup (compile time only)
; SGPRBlocks: 12
; VGPRBlocks: 9
; NumSGPRsForWavesPerEU: 97
; NumVGPRsForWavesPerEU: 37
; Occupancy: 6
; WaveLimiterHint : 0
; COMPUTE_PGM_RSRC2:SCRATCH_EN: 0
; COMPUTE_PGM_RSRC2:USER_SGPR: 6
; COMPUTE_PGM_RSRC2:TRAP_HANDLER: 0
; COMPUTE_PGM_RSRC2:TGID_X_EN: 1
; COMPUTE_PGM_RSRC2:TGID_Y_EN: 0
; COMPUTE_PGM_RSRC2:TGID_Z_EN: 1
; COMPUTE_PGM_RSRC2:TIDIG_COMP_CNT: 1
	.section	.text._ZL54rocblas_symv_kernel_lower_double_buffered_non_diagonalILi32ELi4ELi4E24rocblas_internal_val_ptrIfEPKfPfEvbiT2_lT3_lllS6_lllT4_llli,"axG",@progbits,_ZL54rocblas_symv_kernel_lower_double_buffered_non_diagonalILi32ELi4ELi4E24rocblas_internal_val_ptrIfEPKfPfEvbiT2_lT3_lllS6_lllT4_llli,comdat
	.globl	_ZL54rocblas_symv_kernel_lower_double_buffered_non_diagonalILi32ELi4ELi4E24rocblas_internal_val_ptrIfEPKfPfEvbiT2_lT3_lllS6_lllT4_llli ; -- Begin function _ZL54rocblas_symv_kernel_lower_double_buffered_non_diagonalILi32ELi4ELi4E24rocblas_internal_val_ptrIfEPKfPfEvbiT2_lT3_lllS6_lllT4_llli
	.p2align	8
	.type	_ZL54rocblas_symv_kernel_lower_double_buffered_non_diagonalILi32ELi4ELi4E24rocblas_internal_val_ptrIfEPKfPfEvbiT2_lT3_lllS6_lllT4_llli,@function
_ZL54rocblas_symv_kernel_lower_double_buffered_non_diagonalILi32ELi4ELi4E24rocblas_internal_val_ptrIfEPKfPfEvbiT2_lT3_lllS6_lllT4_llli: ; @_ZL54rocblas_symv_kernel_lower_double_buffered_non_diagonalILi32ELi4ELi4E24rocblas_internal_val_ptrIfEPKfPfEvbiT2_lT3_lllS6_lllT4_llli
; %bb.0:
	s_load_dword s0, s[4:5], 0x0
	s_load_dwordx16 s[12:27], s[4:5], 0x8
	s_waitcnt lgkmcnt(0)
	s_bitcmp0_b32 s0, 0
	s_cbranch_scc0 .LBB78_2
; %bb.1:
	s_mul_i32 s0, s15, s8
	s_mul_hi_u32 s1, s14, s8
	s_add_i32 s1, s1, s0
	s_mul_i32 s0, s14, s8
	s_lshl_b64 s[0:1], s[0:1], 2
	s_add_u32 s0, s12, s0
	s_addc_u32 s1, s13, s1
	s_load_dword s28, s[0:1], 0x0
	s_cbranch_execz .LBB78_3
	s_branch .LBB78_4
.LBB78_2:
                                        ; implicit-def: $sgpr28
.LBB78_3:
	s_waitcnt lgkmcnt(0)
	s_mov_b32 s28, s12
.LBB78_4:
	s_waitcnt lgkmcnt(0)
	v_cmp_eq_f32_e64 s[0:1], s28, 0
	s_and_b64 vcc, exec, s[0:1]
	s_cbranch_vccnz .LBB78_29
; %bb.5:
	s_load_dwordx2 s[2:3], s[4:5], 0x80
	s_waitcnt lgkmcnt(0)
	v_cvt_f32_u32_e32 v2, s3
	s_add_i32 s0, s2, -1
	s_cmp_eq_u32 s6, s0
	v_rcp_iflag_f32_e32 v2, v2
	v_mul_f32_e32 v2, 0x4f7ffffe, v2
	v_cvt_u32_f32_e32 v2, v2
	v_readfirstlane_b32 s0, v2
	s_cbranch_scc1 .LBB78_29
; %bb.6:
	s_not_b32 s1, s6
	s_load_dwordx4 s[12:15], s[4:5], 0x48
	s_add_i32 s2, s2, s1
	s_sub_i32 s1, 0, s3
	s_mul_i32 s1, s1, s0
	s_mul_hi_u32 s1, s0, s1
	s_add_i32 s0, s0, s1
	s_mul_hi_u32 s29, s2, s0
	s_waitcnt lgkmcnt(0)
	s_mul_i32 s0, s15, s8
	s_mul_hi_u32 s1, s14, s8
	s_add_i32 s1, s1, s0
	s_mul_i32 s0, s14, s8
	s_lshl_b64 s[0:1], s[0:1], 2
	s_add_u32 s9, s24, s0
	s_addc_u32 s10, s25, s1
	s_lshl_b64 s[0:1], s[26:27], 2
	s_add_u32 s11, s9, s0
	s_addc_u32 s10, s10, s1
	s_lshl_b32 s9, s6, 5
	s_ashr_i32 s27, s9, 31
	s_mul_i32 s0, s12, s27
	s_mul_hi_u32 s1, s12, s9
	s_add_i32 s0, s1, s0
	s_mul_i32 s1, s13, s9
	s_add_i32 s1, s0, s1
	s_mul_i32 s0, s12, s9
	s_lshl_b64 s[0:1], s[0:1], 2
	s_add_u32 s14, s11, s0
	s_addc_u32 s15, s10, s1
	v_cmp_eq_u32_e32 vcc, 0, v1
	s_and_saveexec_b64 s[10:11], vcc
	s_cbranch_execz .LBB78_8
; %bb.7:
	v_mad_u64_u32 v[2:3], s[0:1], s12, v0, 0
	v_mad_u64_u32 v[3:4], s[0:1], s13, v0, v[3:4]
	v_mov_b32_e32 v4, s15
	v_lshlrev_b64 v[2:3], 2, v[2:3]
	v_add_co_u32_e64 v2, s[0:1], s14, v2
	v_addc_co_u32_e64 v3, s[0:1], v4, v3, s[0:1]
	global_load_dword v2, v[2:3], off
	v_lshlrev_b32_e32 v3, 2, v0
	s_waitcnt vmcnt(0)
	ds_write_b32 v3, v2 offset:3072
.LBB78_8:
	s_or_b64 exec, exec, s[10:11]
	s_mul_i32 s0, s29, s3
	s_sub_i32 s0, s2, s0
	s_add_i32 s1, s29, 1
	s_sub_i32 s6, s0, s3
	s_cmp_ge_u32 s0, s3
	s_cselect_b32 s1, s1, s29
	s_cselect_b32 s0, s6, s0
	s_add_i32 s6, s1, 1
	s_cmp_ge_u32 s0, s3
	s_cselect_b32 s6, s6, s1
	s_add_i32 s0, s3, -1
	s_cmp_lg_u32 s7, s0
	s_mov_b32 s26, s6
	s_cbranch_scc1 .LBB78_10
; %bb.9:
	s_mul_i32 s0, s6, s3
	s_sub_i32 s0, s2, s0
	s_add_i32 s26, s0, s6
.LBB78_10:
	s_cmp_eq_u32 s26, 0
	s_cbranch_scc1 .LBB78_29
; %bb.11:
	s_load_dwordx2 s[10:11], s[4:5], 0x70
	s_load_dwordx2 s[24:25], s[4:5], 0x58
	s_load_dwordx4 s[0:3], s[4:5], 0x60
	v_lshl_add_u32 v2, v1, 5, v0
	v_and_b32_e32 v1, 15, v0
	s_waitcnt lgkmcnt(0)
	s_mul_i32 s5, s11, s8
	s_mul_hi_u32 s11, s10, s8
	s_mul_i32 s4, s10, s8
	s_add_i32 s5, s11, s5
	s_lshl_b64 s[4:5], s[4:5], 2
	s_add_u32 s4, s24, s4
	s_addc_u32 s5, s25, s5
	s_lshl_b64 s[0:1], s[0:1], 2
	s_add_u32 s4, s4, s0
	s_addc_u32 s5, s5, s1
	s_mul_i32 s0, s2, s27
	s_mul_hi_u32 s1, s2, s9
	s_add_i32 s0, s1, s0
	s_mul_i32 s1, s3, s9
	s_add_i32 s1, s0, s1
	s_mul_i32 s0, s2, s9
	s_lshl_b64 s[0:1], s[0:1], 2
	s_add_u32 s24, s4, s0
	s_addc_u32 s25, s5, s1
	v_lshrrev_b32_e32 v17, 4, v2
	s_cmp_lt_i32 s26, 1
	s_barrier
	s_cbranch_scc1 .LBB78_20
; %bb.12:
	s_mul_i32 s7, s7, s6
	s_mul_i32 s0, s23, s8
	s_mul_hi_u32 s1, s22, s8
	s_lshl_b32 s6, s7, 5
	s_add_i32 s1, s1, s0
	s_mul_i32 s0, s22, s8
	s_ashr_i32 s7, s6, 31
	s_lshl_b64 s[0:1], s[0:1], 2
	s_add_u32 s4, s16, s0
	s_addc_u32 s5, s17, s1
	s_lshl_b64 s[0:1], s[18:19], 2
	s_add_u32 s8, s4, s0
	s_addc_u32 s10, s5, s1
	s_add_u32 s0, s20, 1
	s_addc_u32 s1, s21, 0
	s_mul_i32 s4, s0, s27
	s_mul_hi_u32 s5, s0, s9
	s_add_i32 s4, s5, s4
	s_mul_i32 s1, s1, s9
	v_lshlrev_b32_e32 v5, 2, v17
	v_mov_b32_e32 v2, 0
	s_add_i32 s1, s4, s1
	v_mad_u64_u32 v[3:4], s[4:5], s20, v5, v[1:2]
	s_mul_i32 s0, s0, s9
	s_lshl_b64 s[0:1], s[0:1], 2
	s_add_u32 s4, s8, s0
	s_addc_u32 s5, s10, s1
	v_mad_u64_u32 v[4:5], s[0:1], s21, v5, v[4:5]
	s_lshl_b64 s[0:1], s[6:7], 2
	s_add_u32 s8, s4, s0
	v_lshlrev_b64 v[5:6], 2, v[3:4]
	s_addc_u32 s9, s5, s1
	v_mov_b32_e32 v4, s9
	v_add_co_u32_e64 v3, s[0:1], s8, v5
	v_addc_co_u32_e64 v4, s[0:1], v4, v6, s[0:1]
	s_lshl_b64 s[4:5], s[20:21], 2
	v_mov_b32_e32 v12, s5
	v_add_co_u32_e64 v7, s[0:1], s4, v3
	v_addc_co_u32_e64 v8, s[0:1], v4, v12, s[0:1]
	v_add_co_u32_e64 v9, s[0:1], s4, v7
	v_addc_co_u32_e64 v10, s[0:1], v8, v12, s[0:1]
	;; [unrolled: 2-line block ×3, first 2 shown]
	global_load_dword v25, v[3:4], off offset:128
	global_load_dword v26, v[7:8], off offset:128
	;; [unrolled: 1-line block ×4, first 2 shown]
	s_mul_i32 s0, s2, s7
	s_mul_hi_u32 s1, s2, s6
	s_add_i32 s0, s1, s0
	s_mul_i32 s1, s3, s6
	s_add_i32 s1, s0, s1
	s_mul_i32 s0, s2, s6
	s_lshl_b64 s[10:11], s[12:13], 7
	s_lshl_b64 s[0:1], s[0:1], 2
	s_add_u32 s0, s24, s0
	s_mul_i32 s7, s12, s7
	s_mul_hi_u32 s16, s12, s6
	s_addc_u32 s1, s25, s1
	s_add_i32 s7, s16, s7
	s_mul_i32 s16, s13, s6
	s_add_i32 s7, s7, s16
	s_mul_i32 s6, s12, s6
	s_lshl_b64 s[6:7], s[6:7], 2
	s_add_u32 s16, s14, s6
	s_addc_u32 s17, s15, s7
	v_mad_u64_u32 v[11:12], s[6:7], s12, v1, 0
	v_or_b32_e32 v7, 16, v1
	v_mad_u64_u32 v[9:10], s[6:7], s12, v7, 0
	v_mov_b32_e32 v3, v12
	v_mad_u64_u32 v[3:4], s[6:7], s13, v1, v[3:4]
	v_mov_b32_e32 v4, v10
	;; [unrolled: 2-line block ×4, first 2 shown]
	v_mov_b32_e32 v7, 0xc00
	v_lshl_add_u32 v24, v17, 4, v7
	v_mad_u64_u32 v[7:8], s[6:7], s3, v0, v[4:5]
	v_mov_b32_e32 v13, 0x800
	s_lshl_b64 s[6:7], s[2:3], 7
	v_lshl_or_b32 v22, v1, 2, v13
	v_lshlrev_b32_e32 v23, 7, v17
	v_lshl_or_b32 v21, v0, 2, v13
	v_mov_b32_e32 v4, v7
	s_cmp_eq_u32 s26, 1
	s_cbranch_scc1 .LBB78_21
; %bb.13:
	s_add_u32 s8, s8, 0x80
	s_addc_u32 s9, s9, 0
	s_add_i32 s18, s26, -2
	s_lshl_b64 s[12:13], s[20:21], 3
	s_sub_u32 s19, 0, s12
	v_mov_b32_e32 v18, 0
	v_mov_b32_e32 v8, s1
	s_subb_u32 s20, 0, s13
	s_mov_b32 s21, 0
	v_mov_b32_e32 v7, s0
	v_mov_b32_e32 v20, 0
	;; [unrolled: 1-line block ×4, first 2 shown]
.LBB78_14:                              ; =>This Loop Header: Depth=1
                                        ;     Child Loop BB78_16 Depth 2
	v_mov_b32_e32 v14, s9
	v_add_co_u32_e64 v13, s[0:1], s8, v5
	v_addc_co_u32_e64 v14, s[0:1], v14, v6, s[0:1]
	v_mov_b32_e32 v16, s5
	v_add_co_u32_e64 v15, s[0:1], s4, v13
	v_addc_co_u32_e64 v16, s[0:1], v14, v16, s[0:1]
	;; [unrolled: 3-line block ×3, first 2 shown]
	v_add_co_u32_e64 v31, s[0:1], s4, v29
	v_addc_co_u32_e64 v32, s[0:1], v30, v37, s[0:1]
	global_load_dword v36, v[13:14], off offset:64
	global_load_dword v34, v[15:16], off offset:64
	;; [unrolled: 1-line block ×4, first 2 shown]
	v_mov_b32_e32 v16, s20
	v_add_co_u32_e64 v15, s[0:1], s19, v31
	v_addc_co_u32_e64 v16, s[0:1], v32, v16, s[0:1]
	v_add_co_u32_e64 v39, s[0:1], s4, v15
	v_addc_co_u32_e64 v40, s[0:1], v16, v37, s[0:1]
	v_add_co_u32_e64 v41, s[0:1], s4, v39
	s_add_u32 s16, s16, s10
	v_lshlrev_b64 v[29:30], 2, v[11:12]
	v_addc_co_u32_e64 v42, s[0:1], v40, v37, s[0:1]
	s_addc_u32 s17, s17, s11
	v_mov_b32_e32 v31, s17
	v_add_co_u32_e64 v43, s[0:1], s16, v29
	v_addc_co_u32_e64 v44, s[0:1], v31, v30, s[0:1]
	v_lshlrev_b64 v[29:30], 2, v[9:10]
	v_add_co_u32_e64 v45, s[0:1], s16, v29
	v_addc_co_u32_e64 v46, s[0:1], v31, v30, s[0:1]
	global_load_dword v38, v[43:44], off
	global_load_dword v37, v[45:46], off
	global_load_dword v31, v[15:16], off offset:128
	global_load_dword v30, v[39:40], off offset:128
	global_load_dword v29, v[41:42], off offset:128
	global_load_dword v32, v[13:14], off offset:128
	ds_read_b128 v[13:16], v24
	v_add_u32_e32 v39, v22, v23
	s_waitcnt vmcnt(0) lgkmcnt(0)
	s_barrier
	v_fma_f32 v40, v25, v13, 0
	v_fmac_f32_e32 v40, v26, v14
	v_fmac_f32_e32 v40, v27, v15
	;; [unrolled: 1-line block ×3, first 2 shown]
	v_fma_f32 v13, v36, v13, 0
	v_fmac_f32_e32 v13, v34, v14
	v_fmac_f32_e32 v13, v33, v15
	;; [unrolled: 1-line block ×3, first 2 shown]
	ds_write2_b32 v39, v40, v13 offset1:16
	s_waitcnt lgkmcnt(0)
	s_barrier
	s_and_saveexec_b64 s[12:13], vcc
	s_cbranch_execz .LBB78_18
; %bb.15:                               ;   in Loop: Header=BB78_14 Depth=1
	v_mov_b32_e32 v13, s7
	v_add_co_u32_e64 v7, s[0:1], s6, v7
	v_addc_co_u32_e64 v8, s[0:1], v8, v13, s[0:1]
	v_lshlrev_b64 v[13:14], 2, v[3:4]
	s_mov_b64 s[14:15], 0
	v_add_co_u32_e64 v13, s[0:1], v7, v13
	v_addc_co_u32_e64 v14, s[0:1], v8, v14, s[0:1]
	global_load_dword v16, v[13:14], off
	ds_read2_b32 v[39:40], v21 offset1:32
	ds_read2_b32 v[41:42], v21 offset0:64 offset1:96
	ds_read2_b32 v[43:44], v21 offset0:128 offset1:160
	s_waitcnt lgkmcnt(2)
	v_add_f32_e32 v15, 0, v39
	v_add_f32_e32 v15, v15, v40
	ds_read2_b32 v[39:40], v21 offset0:192 offset1:224
	s_waitcnt lgkmcnt(2)
	v_add_f32_e32 v15, v15, v41
	v_add_f32_e32 v15, v15, v42
	s_waitcnt lgkmcnt(1)
	v_add_f32_e32 v15, v15, v43
	v_add_f32_e32 v15, v15, v44
	;; [unrolled: 3-line block ×3, first 2 shown]
	v_mul_f32_e32 v39, s28, v15
.LBB78_16:                              ;   Parent Loop BB78_14 Depth=1
                                        ; =>  This Inner Loop Header: Depth=2
	s_waitcnt vmcnt(0)
	v_add_f32_e32 v15, v16, v39
	global_atomic_cmpswap v15, v[13:14], v[15:16], off glc
	s_waitcnt vmcnt(0)
	v_cmp_eq_u32_e64 s[0:1], v15, v16
	s_or_b64 s[14:15], s[0:1], s[14:15]
	v_mov_b32_e32 v16, v15
	s_andn2_b64 exec, exec, s[14:15]
	s_cbranch_execnz .LBB78_16
; %bb.17:                               ;   in Loop: Header=BB78_14 Depth=1
	s_or_b64 exec, exec, s[14:15]
.LBB78_18:                              ;   in Loop: Header=BB78_14 Depth=1
	s_or_b64 exec, exec, s[12:13]
	s_add_u32 s0, s8, 0x80
	v_fmac_f32_e32 v18, v38, v25
	v_fmac_f32_e32 v20, v38, v26
	;; [unrolled: 1-line block ×4, first 2 shown]
	s_addc_u32 s1, s9, 0
	s_add_i32 s12, s21, 1
	v_fmac_f32_e32 v18, v37, v36
	v_fmac_f32_e32 v20, v37, v34
	;; [unrolled: 1-line block ×4, first 2 shown]
	s_cmp_eq_u32 s21, s18
	s_cbranch_scc1 .LBB78_22
; %bb.19:                               ;   in Loop: Header=BB78_14 Depth=1
	s_mov_b32 s21, s12
	s_mov_b64 s[8:9], s[0:1]
	v_mov_b32_e32 v25, v32
	v_mov_b32_e32 v26, v31
	;; [unrolled: 1-line block ×4, first 2 shown]
	s_branch .LBB78_14
.LBB78_20:
	v_mov_b32_e32 v2, 0
	v_mov_b32_e32 v19, v2
	;; [unrolled: 1-line block ×4, first 2 shown]
	s_branch .LBB78_26
.LBB78_21:
	v_mov_b32_e32 v8, s1
	v_mov_b32_e32 v7, s0
	s_waitcnt vmcnt(0)
	v_mov_b32_e32 v29, v28
	v_mov_b32_e32 v30, v27
	;; [unrolled: 1-line block ×7, first 2 shown]
.LBB78_22:
	s_add_u32 s10, s16, s10
	v_lshlrev_b64 v[11:12], 2, v[11:12]
	s_addc_u32 s11, s17, s11
	v_mov_b32_e32 v13, s11
	v_add_co_u32_e64 v11, s[0:1], s10, v11
	v_addc_co_u32_e64 v12, s[0:1], v13, v12, s[0:1]
	v_lshlrev_b64 v[13:14], 2, v[9:10]
	v_mov_b32_e32 v9, s9
	v_add_co_u32_e64 v5, s[0:1], s8, v5
	v_addc_co_u32_e64 v6, s[0:1], v9, v6, s[0:1]
	global_load_dword v28, v[11:12], off
	v_mov_b32_e32 v9, s5
	v_add_co_u32_e64 v11, s[0:1], s4, v5
	v_addc_co_u32_e64 v12, s[0:1], v6, v9, s[0:1]
	global_load_dword v9, v[5:6], off offset:192
	global_load_dword v10, v[11:12], off offset:192
	v_mov_b32_e32 v16, s5
	v_add_co_u32_e64 v5, s[0:1], s4, v11
	v_addc_co_u32_e64 v6, s[0:1], v12, v16, s[0:1]
	v_add_co_u32_e64 v15, s[0:1], s4, v5
	v_addc_co_u32_e64 v16, s[0:1], v6, v16, s[0:1]
	v_mov_b32_e32 v25, s11
	global_load_dword v11, v[5:6], off offset:192
	global_load_dword v12, v[15:16], off offset:192
	v_add_co_u32_e64 v5, s[0:1], s10, v13
	v_addc_co_u32_e64 v6, s[0:1], v25, v14, s[0:1]
	global_load_dword v13, v[5:6], off
	ds_read_b128 v[24:27], v24
	v_add_u32_e32 v5, v22, v23
	s_waitcnt vmcnt(0) lgkmcnt(0)
	s_barrier
	v_fma_f32 v6, v32, v24, 0
	v_fmac_f32_e32 v6, v31, v25
	v_fmac_f32_e32 v6, v30, v26
	;; [unrolled: 1-line block ×7, first 2 shown]
	v_fma_f32 v14, v9, v24, 0
	v_fmac_f32_e32 v14, v10, v25
	v_fmac_f32_e32 v14, v11, v26
	;; [unrolled: 1-line block ×3, first 2 shown]
	ds_write2_b32 v5, v6, v14 offset1:16
	s_waitcnt lgkmcnt(0)
	s_barrier
	s_and_saveexec_b64 s[4:5], vcc
	s_cbranch_execz .LBB78_25
; %bb.23:
	v_mov_b32_e32 v5, s7
	v_add_co_u32_e64 v6, s[0:1], s6, v7
	v_lshlrev_b64 v[3:4], 2, v[3:4]
	v_addc_co_u32_e64 v5, s[0:1], v8, v5, s[0:1]
	v_add_co_u32_e64 v3, s[0:1], v6, v3
	v_addc_co_u32_e64 v4, s[0:1], v5, v4, s[0:1]
	global_load_dword v6, v[3:4], off
	ds_read2_b32 v[7:8], v21 offset1:32
	ds_read2_b32 v[14:15], v21 offset0:64 offset1:96
	ds_read2_b32 v[22:23], v21 offset0:128 offset1:160
	s_mov_b64 s[6:7], 0
	s_waitcnt lgkmcnt(2)
	v_add_f32_e32 v5, 0, v7
	v_add_f32_e32 v5, v5, v8
	ds_read2_b32 v[7:8], v21 offset0:192 offset1:224
	s_waitcnt lgkmcnt(2)
	v_add_f32_e32 v5, v5, v14
	v_add_f32_e32 v5, v5, v15
	s_waitcnt lgkmcnt(1)
	v_add_f32_e32 v5, v5, v22
	v_add_f32_e32 v5, v5, v23
	;; [unrolled: 3-line block ×3, first 2 shown]
	v_mul_f32_e32 v7, s28, v5
.LBB78_24:                              ; =>This Inner Loop Header: Depth=1
	s_waitcnt vmcnt(0)
	v_add_f32_e32 v5, v6, v7
	global_atomic_cmpswap v5, v[3:4], v[5:6], off glc
	s_waitcnt vmcnt(0)
	v_cmp_eq_u32_e64 s[0:1], v5, v6
	s_or_b64 s[6:7], s[0:1], s[6:7]
	v_mov_b32_e32 v6, v5
	s_andn2_b64 exec, exec, s[6:7]
	s_cbranch_execnz .LBB78_24
.LBB78_25:
	s_or_b64 exec, exec, s[4:5]
	v_fmac_f32_e32 v18, v13, v9
	v_fmac_f32_e32 v20, v13, v10
	;; [unrolled: 1-line block ×4, first 2 shown]
.LBB78_26:
	v_lshlrev_b32_e32 v3, 8, v17
	v_lshl_or_b32 v3, v1, 2, v3
	ds_write2_b32 v3, v18, v20 offset1:16
	ds_write2_b32 v3, v19, v2 offset0:32 offset1:48
	s_waitcnt lgkmcnt(0)
	s_barrier
	s_and_saveexec_b64 s[0:1], vcc
	s_cbranch_execz .LBB78_29
; %bb.27:
	v_mad_u64_u32 v[2:3], s[0:1], s2, v0, 0
	v_mov_b32_e32 v5, s25
	v_add_u32_e32 v7, 1, v0
	v_mad_u64_u32 v[3:4], s[0:1], s3, v0, v[3:4]
	v_add_u32_e32 v8, 2, v0
	v_add_u32_e32 v9, 3, v0
	v_lshlrev_b64 v[2:3], 2, v[2:3]
	v_add_u32_e32 v10, 4, v0
	v_add_co_u32_e32 v2, vcc, s24, v2
	v_addc_co_u32_e32 v3, vcc, v5, v3, vcc
	global_load_dword v5, v[2:3], off
	v_add_u32_e32 v11, 5, v0
	v_add_u32_e32 v12, 6, v0
	;; [unrolled: 1-line block ×3, first 2 shown]
	v_lshlrev_b32_e32 v4, 6, v0
	v_and_b32_e32 v7, 15, v7
	v_and_b32_e32 v8, 15, v8
	;; [unrolled: 1-line block ×7, first 2 shown]
	v_lshl_or_b32 v6, v1, 2, v4
	v_lshl_or_b32 v7, v7, 2, v4
	;; [unrolled: 1-line block ×8, first 2 shown]
	ds_read_b32 v6, v6
	ds_read_b32 v7, v7
	;; [unrolled: 1-line block ×8, first 2 shown]
	s_waitcnt lgkmcnt(7)
	v_add_f32_e32 v6, 0, v6
	s_waitcnt lgkmcnt(6)
	v_add_f32_e32 v6, v6, v7
	;; [unrolled: 2-line block ×7, first 2 shown]
	v_add_u32_e32 v7, 9, v0
	v_add_u32_e32 v8, 10, v0
	;; [unrolled: 1-line block ×6, first 2 shown]
	v_add_u32_e32 v0, -1, v0
	v_xor_b32_e32 v1, 8, v1
	v_and_b32_e32 v7, 15, v7
	v_and_b32_e32 v8, 15, v8
	;; [unrolled: 1-line block ×6, first 2 shown]
	v_lshl_or_b32 v1, v1, 2, v4
	v_lshl_or_b32 v7, v7, 2, v4
	;; [unrolled: 1-line block ×6, first 2 shown]
	v_and_b32_e32 v12, 15, v12
	v_lshl_or_b32 v0, v0, 2, v4
	s_waitcnt lgkmcnt(0)
	v_add_f32_e32 v6, v6, v13
	v_lshl_or_b32 v12, v12, 2, v4
	ds_read_b32 v1, v1
	ds_read_b32 v4, v7
	;; [unrolled: 1-line block ×8, first 2 shown]
	s_waitcnt lgkmcnt(7)
	v_add_f32_e32 v1, v6, v1
	s_waitcnt lgkmcnt(6)
	v_add_f32_e32 v1, v1, v4
	;; [unrolled: 2-line block ×8, first 2 shown]
	v_mul_f32_e32 v0, s28, v0
	s_mov_b64 s[0:1], 0
.LBB78_28:                              ; =>This Inner Loop Header: Depth=1
	s_waitcnt vmcnt(0)
	v_add_f32_e32 v4, v5, v0
	global_atomic_cmpswap v1, v[2:3], v[4:5], off glc
	s_waitcnt vmcnt(0)
	v_cmp_eq_u32_e32 vcc, v1, v5
	s_or_b64 s[0:1], vcc, s[0:1]
	v_mov_b32_e32 v5, v1
	s_andn2_b64 exec, exec, s[0:1]
	s_cbranch_execnz .LBB78_28
.LBB78_29:
	s_endpgm
	.section	.rodata,"a",@progbits
	.p2align	6, 0x0
	.amdhsa_kernel _ZL54rocblas_symv_kernel_lower_double_buffered_non_diagonalILi32ELi4ELi4E24rocblas_internal_val_ptrIfEPKfPfEvbiT2_lT3_lllS6_lllT4_llli
		.amdhsa_group_segment_fixed_size 3200
		.amdhsa_private_segment_fixed_size 0
		.amdhsa_kernarg_size 384
		.amdhsa_user_sgpr_count 6
		.amdhsa_user_sgpr_private_segment_buffer 1
		.amdhsa_user_sgpr_dispatch_ptr 0
		.amdhsa_user_sgpr_queue_ptr 0
		.amdhsa_user_sgpr_kernarg_segment_ptr 1
		.amdhsa_user_sgpr_dispatch_id 0
		.amdhsa_user_sgpr_flat_scratch_init 0
		.amdhsa_user_sgpr_private_segment_size 0
		.amdhsa_uses_dynamic_stack 0
		.amdhsa_system_sgpr_private_segment_wavefront_offset 0
		.amdhsa_system_sgpr_workgroup_id_x 1
		.amdhsa_system_sgpr_workgroup_id_y 1
		.amdhsa_system_sgpr_workgroup_id_z 1
		.amdhsa_system_sgpr_workgroup_info 0
		.amdhsa_system_vgpr_workitem_id 1
		.amdhsa_next_free_vgpr 47
		.amdhsa_next_free_sgpr 61
		.amdhsa_reserve_vcc 1
		.amdhsa_reserve_flat_scratch 0
		.amdhsa_float_round_mode_32 0
		.amdhsa_float_round_mode_16_64 0
		.amdhsa_float_denorm_mode_32 3
		.amdhsa_float_denorm_mode_16_64 3
		.amdhsa_dx10_clamp 1
		.amdhsa_ieee_mode 1
		.amdhsa_fp16_overflow 0
		.amdhsa_exception_fp_ieee_invalid_op 0
		.amdhsa_exception_fp_denorm_src 0
		.amdhsa_exception_fp_ieee_div_zero 0
		.amdhsa_exception_fp_ieee_overflow 0
		.amdhsa_exception_fp_ieee_underflow 0
		.amdhsa_exception_fp_ieee_inexact 0
		.amdhsa_exception_int_div_zero 0
	.end_amdhsa_kernel
	.section	.text._ZL54rocblas_symv_kernel_lower_double_buffered_non_diagonalILi32ELi4ELi4E24rocblas_internal_val_ptrIfEPKfPfEvbiT2_lT3_lllS6_lllT4_llli,"axG",@progbits,_ZL54rocblas_symv_kernel_lower_double_buffered_non_diagonalILi32ELi4ELi4E24rocblas_internal_val_ptrIfEPKfPfEvbiT2_lT3_lllS6_lllT4_llli,comdat
.Lfunc_end78:
	.size	_ZL54rocblas_symv_kernel_lower_double_buffered_non_diagonalILi32ELi4ELi4E24rocblas_internal_val_ptrIfEPKfPfEvbiT2_lT3_lllS6_lllT4_llli, .Lfunc_end78-_ZL54rocblas_symv_kernel_lower_double_buffered_non_diagonalILi32ELi4ELi4E24rocblas_internal_val_ptrIfEPKfPfEvbiT2_lT3_lllS6_lllT4_llli
                                        ; -- End function
	.set _ZL54rocblas_symv_kernel_lower_double_buffered_non_diagonalILi32ELi4ELi4E24rocblas_internal_val_ptrIfEPKfPfEvbiT2_lT3_lllS6_lllT4_llli.num_vgpr, 47
	.set _ZL54rocblas_symv_kernel_lower_double_buffered_non_diagonalILi32ELi4ELi4E24rocblas_internal_val_ptrIfEPKfPfEvbiT2_lT3_lllS6_lllT4_llli.num_agpr, 0
	.set _ZL54rocblas_symv_kernel_lower_double_buffered_non_diagonalILi32ELi4ELi4E24rocblas_internal_val_ptrIfEPKfPfEvbiT2_lT3_lllS6_lllT4_llli.numbered_sgpr, 30
	.set _ZL54rocblas_symv_kernel_lower_double_buffered_non_diagonalILi32ELi4ELi4E24rocblas_internal_val_ptrIfEPKfPfEvbiT2_lT3_lllS6_lllT4_llli.num_named_barrier, 0
	.set _ZL54rocblas_symv_kernel_lower_double_buffered_non_diagonalILi32ELi4ELi4E24rocblas_internal_val_ptrIfEPKfPfEvbiT2_lT3_lllS6_lllT4_llli.private_seg_size, 0
	.set _ZL54rocblas_symv_kernel_lower_double_buffered_non_diagonalILi32ELi4ELi4E24rocblas_internal_val_ptrIfEPKfPfEvbiT2_lT3_lllS6_lllT4_llli.uses_vcc, 1
	.set _ZL54rocblas_symv_kernel_lower_double_buffered_non_diagonalILi32ELi4ELi4E24rocblas_internal_val_ptrIfEPKfPfEvbiT2_lT3_lllS6_lllT4_llli.uses_flat_scratch, 0
	.set _ZL54rocblas_symv_kernel_lower_double_buffered_non_diagonalILi32ELi4ELi4E24rocblas_internal_val_ptrIfEPKfPfEvbiT2_lT3_lllS6_lllT4_llli.has_dyn_sized_stack, 0
	.set _ZL54rocblas_symv_kernel_lower_double_buffered_non_diagonalILi32ELi4ELi4E24rocblas_internal_val_ptrIfEPKfPfEvbiT2_lT3_lllS6_lllT4_llli.has_recursion, 0
	.set _ZL54rocblas_symv_kernel_lower_double_buffered_non_diagonalILi32ELi4ELi4E24rocblas_internal_val_ptrIfEPKfPfEvbiT2_lT3_lllS6_lllT4_llli.has_indirect_call, 0
	.section	.AMDGPU.csdata,"",@progbits
; Kernel info:
; codeLenInByte = 2896
; TotalNumSgprs: 34
; NumVgprs: 47
; ScratchSize: 0
; MemoryBound: 0
; FloatMode: 240
; IeeeMode: 1
; LDSByteSize: 3200 bytes/workgroup (compile time only)
; SGPRBlocks: 8
; VGPRBlocks: 11
; NumSGPRsForWavesPerEU: 65
; NumVGPRsForWavesPerEU: 47
; Occupancy: 5
; WaveLimiterHint : 0
; COMPUTE_PGM_RSRC2:SCRATCH_EN: 0
; COMPUTE_PGM_RSRC2:USER_SGPR: 6
; COMPUTE_PGM_RSRC2:TRAP_HANDLER: 0
; COMPUTE_PGM_RSRC2:TGID_X_EN: 1
; COMPUTE_PGM_RSRC2:TGID_Y_EN: 1
; COMPUTE_PGM_RSRC2:TGID_Z_EN: 1
; COMPUTE_PGM_RSRC2:TIDIG_COMP_CNT: 1
	.section	.text._ZL58rocblas_symv_kernel_lower_double_buffered_diagonal_genericILi32ELi4E24rocblas_internal_val_ptrIfEPKfPfEvbiT1_lT2_lllS6_lllS5_lT3_lllii,"axG",@progbits,_ZL58rocblas_symv_kernel_lower_double_buffered_diagonal_genericILi32ELi4E24rocblas_internal_val_ptrIfEPKfPfEvbiT1_lT2_lllS6_lllS5_lT3_lllii,comdat
	.globl	_ZL58rocblas_symv_kernel_lower_double_buffered_diagonal_genericILi32ELi4E24rocblas_internal_val_ptrIfEPKfPfEvbiT1_lT2_lllS6_lllS5_lT3_lllii ; -- Begin function _ZL58rocblas_symv_kernel_lower_double_buffered_diagonal_genericILi32ELi4E24rocblas_internal_val_ptrIfEPKfPfEvbiT1_lT2_lllS6_lllS5_lT3_lllii
	.p2align	8
	.type	_ZL58rocblas_symv_kernel_lower_double_buffered_diagonal_genericILi32ELi4E24rocblas_internal_val_ptrIfEPKfPfEvbiT1_lT2_lllS6_lllS5_lT3_lllii,@function
_ZL58rocblas_symv_kernel_lower_double_buffered_diagonal_genericILi32ELi4E24rocblas_internal_val_ptrIfEPKfPfEvbiT1_lT2_lllS6_lllS5_lT3_lllii: ; @_ZL58rocblas_symv_kernel_lower_double_buffered_diagonal_genericILi32ELi4E24rocblas_internal_val_ptrIfEPKfPfEvbiT1_lT2_lllS6_lllS5_lT3_lllii
; %bb.0:
	s_load_dword s0, s[4:5], 0x0
	s_load_dwordx16 s[8:23], s[4:5], 0x8
	s_mov_b64 s[2:3], -1
                                        ; implicit-def: $sgpr33
	s_waitcnt lgkmcnt(0)
	s_bitcmp1_b32 s0, 0
	s_cselect_b64 s[0:1], -1, 0
	s_xor_b64 s[0:1], s[0:1], -1
	s_and_b64 vcc, exec, s[0:1]
	s_cbranch_vccnz .LBB79_13
; %bb.1:
	s_load_dwordx8 s[24:31], s[4:5], 0x48
	s_andn2_b64 vcc, exec, s[2:3]
	s_cbranch_vccz .LBB79_14
.LBB79_2:
	s_andn2_b64 vcc, exec, s[0:1]
	s_cbranch_vccnz .LBB79_4
.LBB79_3:
	s_waitcnt lgkmcnt(0)
	s_mul_i32 s0, s31, s7
	s_mul_hi_u32 s1, s30, s7
	s_add_i32 s1, s1, s0
	s_mul_i32 s0, s30, s7
	s_lshl_b64 s[0:1], s[0:1], 2
	s_add_u32 s0, s28, s0
	s_addc_u32 s1, s29, s1
	s_load_dword s28, s[0:1], 0x0
.LBB79_4:
	s_waitcnt lgkmcnt(0)
	v_cmp_eq_f32_e64 s[0:1], s33, 0
	v_cmp_eq_f32_e64 s[2:3], s28, 1.0
	s_and_b64 s[0:1], s[0:1], s[2:3]
	s_and_b64 vcc, exec, s[0:1]
	s_cbranch_vccnz .LBB79_12
; %bb.5:
	s_load_dwordx2 s[8:9], s[4:5], 0x80
	s_load_dwordx2 s[10:11], s[4:5], 0x68
	s_load_dwordx4 s[0:3], s[4:5], 0x70
	s_load_dword s29, s[4:5], 0x88
	s_waitcnt lgkmcnt(0)
	s_mul_i32 s9, s9, s7
	s_mul_hi_u32 s30, s8, s7
	s_add_i32 s9, s30, s9
	s_mul_i32 s8, s8, s7
	s_lshl_b64 s[8:9], s[8:9], 2
	s_add_u32 s8, s10, s8
	s_addc_u32 s9, s11, s9
	s_lshl_b64 s[0:1], s[0:1], 2
	s_add_u32 s8, s8, s0
	s_addc_u32 s9, s9, s1
	s_lshl_b32 s34, s6, 5
	s_ashr_i32 s35, s34, 31
	s_mul_i32 s0, s2, s35
	s_mul_hi_u32 s1, s2, s34
	s_add_i32 s0, s1, s0
	s_mul_i32 s1, s3, s34
	s_add_i32 s1, s0, s1
	s_mul_i32 s0, s2, s34
	s_lshl_b64 s[0:1], s[0:1], 2
	s_add_u32 s30, s8, s0
	s_addc_u32 s31, s9, s1
	v_cmp_neq_f32_e64 s[0:1], s33, 0
	s_and_b64 vcc, exec, s[0:1]
	v_cmp_eq_u32_e64 s[0:1], 0, v1
	s_cbranch_vccnz .LBB79_15
; %bb.6:
	s_and_saveexec_b64 s[8:9], s[0:1]
	s_cbranch_execz .LBB79_11
; %bb.7:
	v_cmp_gt_i32_e64 s[0:1], s29, v0
	v_cmp_le_i32_e32 vcc, s29, v0
	s_and_saveexec_b64 s[10:11], vcc
	s_cbranch_execz .LBB79_9
; %bb.8:
	s_load_dword s36, s[4:5], 0x90
	s_waitcnt lgkmcnt(0)
	s_add_i32 s36, s36, -1
	s_cmp_lt_u32 s6, s36
	s_cselect_b64 s[36:37], -1, 0
	s_andn2_b64 s[0:1], s[0:1], exec
	s_and_b64 s[36:37], s[36:37], exec
	s_or_b64 s[0:1], s[0:1], s[36:37]
.LBB79_9:
	s_or_b64 exec, exec, s[10:11]
	s_and_b64 exec, exec, s[0:1]
	s_cbranch_execz .LBB79_11
; %bb.10:
	v_mad_u64_u32 v[2:3], s[0:1], s2, v0, 0
	v_mad_u64_u32 v[3:4], s[0:1], s3, v0, v[3:4]
	v_mov_b32_e32 v4, s31
	v_lshlrev_b64 v[2:3], 2, v[2:3]
	v_add_co_u32_e32 v2, vcc, s30, v2
	v_addc_co_u32_e32 v3, vcc, v4, v3, vcc
	global_load_dword v4, v[2:3], off
	s_waitcnt vmcnt(0)
	v_mul_f32_e32 v4, s28, v4
	global_store_dword v[2:3], v4, off
.LBB79_11:
	s_or_b64 exec, exec, s[8:9]
	s_cbranch_execz .LBB79_16
.LBB79_12:
	s_endpgm
.LBB79_13:
	s_mul_i32 s2, s11, s7
	s_mul_hi_u32 s3, s10, s7
	s_add_i32 s3, s3, s2
	s_mul_i32 s2, s10, s7
	s_lshl_b64 s[2:3], s[2:3], 2
	s_add_u32 s2, s8, s2
	s_addc_u32 s3, s9, s3
	s_load_dword s33, s[2:3], 0x0
	s_load_dwordx8 s[24:31], s[4:5], 0x48
	s_cbranch_execnz .LBB79_2
.LBB79_14:
	s_waitcnt lgkmcnt(0)
	s_mov_b32 s33, s8
	s_andn2_b64 vcc, exec, s[0:1]
	s_cbranch_vccz .LBB79_3
	s_branch .LBB79_4
.LBB79_15:
.LBB79_16:
	s_mul_i32 s0, s27, s7
	s_mul_hi_u32 s1, s26, s7
	s_add_i32 s1, s1, s0
	s_mul_i32 s0, s26, s7
	s_lshl_b64 s[0:1], s[0:1], 2
	s_add_u32 s8, s20, s0
	s_addc_u32 s9, s21, s1
	s_lshl_b64 s[0:1], s[22:23], 2
	s_add_u32 s8, s8, s0
	s_addc_u32 s9, s9, s1
	s_mul_i32 s0, s24, s35
	s_mul_hi_u32 s1, s24, s34
	s_load_dword s4, s[4:5], 0x90
	s_add_i32 s0, s1, s0
	s_mul_i32 s1, s25, s34
	s_add_i32 s1, s0, s1
	s_mul_i32 s0, s24, s34
	s_lshl_b64 s[0:1], s[0:1], 2
	s_add_u32 s20, s8, s0
	s_addc_u32 s21, s9, s1
	s_waitcnt lgkmcnt(0)
	s_add_i32 s4, s4, -1
	s_cmp_lg_u32 s6, s4
	s_cselect_b64 s[4:5], -1, 0
	v_mov_b32_e32 v6, 0
	v_cmp_eq_u32_e64 s[0:1], 0, v1
	s_and_b64 vcc, exec, s[4:5]
	s_cbranch_vccz .LBB79_21
; %bb.17:
	s_and_saveexec_b64 s[8:9], s[0:1]
	s_cbranch_execz .LBB79_20
; %bb.18:
	v_mad_u64_u32 v[2:3], s[10:11], s24, v0, 0
	v_mov_b32_e32 v6, 0
	v_mad_u64_u32 v[3:4], s[10:11], s25, v0, v[3:4]
	v_mov_b32_e32 v4, s21
	v_cmp_eq_f32_e64 s[10:11], s28, 0
	v_lshlrev_b64 v[2:3], 2, v[2:3]
	v_add_co_u32_e32 v2, vcc, s20, v2
	v_addc_co_u32_e32 v3, vcc, v4, v3, vcc
	global_load_dword v2, v[2:3], off
	v_lshlrev_b32_e32 v3, 2, v0
	s_and_b64 vcc, exec, s[10:11]
	s_waitcnt vmcnt(0)
	ds_write_b32 v3, v2 offset:5120
	s_cbranch_vccnz .LBB79_20
; %bb.19:
	v_mad_u64_u32 v[2:3], s[10:11], s2, v0, 0
	v_mad_u64_u32 v[3:4], s[10:11], s3, v0, v[3:4]
	v_mov_b32_e32 v4, s31
	v_lshlrev_b64 v[2:3], 2, v[2:3]
	v_add_co_u32_e32 v2, vcc, s30, v2
	v_addc_co_u32_e32 v3, vcc, v4, v3, vcc
	global_load_dword v2, v[2:3], off
	s_waitcnt vmcnt(0)
	v_mul_f32_e32 v6, s28, v2
.LBB79_20:
	s_or_b64 exec, exec, s[8:9]
	s_cbranch_execz .LBB79_22
	s_branch .LBB79_30
.LBB79_21:
                                        ; implicit-def: $vgpr6
.LBB79_22:
	v_mov_b32_e32 v6, 0
	s_and_saveexec_b64 s[8:9], s[0:1]
	s_cbranch_execz .LBB79_29
; %bb.23:
	v_cmp_le_i32_e32 vcc, s29, v0
	s_and_saveexec_b64 s[10:11], vcc
	s_xor_b64 s[10:11], exec, s[10:11]
; %bb.24:
	v_lshlrev_b32_e32 v2, 2, v0
	v_mov_b32_e32 v3, 0
	ds_write_b32 v2, v3 offset:5120
; %bb.25:
	s_or_saveexec_b64 s[10:11], s[10:11]
	v_mov_b32_e32 v6, 0
	s_xor_b64 exec, exec, s[10:11]
	s_cbranch_execz .LBB79_28
; %bb.26:
	v_mad_u64_u32 v[2:3], s[22:23], s24, v0, 0
	v_mov_b32_e32 v6, 0
	v_mad_u64_u32 v[3:4], s[22:23], s25, v0, v[3:4]
	v_mov_b32_e32 v4, s21
	v_lshlrev_b64 v[2:3], 2, v[2:3]
	v_add_co_u32_e32 v2, vcc, s20, v2
	v_addc_co_u32_e32 v3, vcc, v4, v3, vcc
	global_load_dword v2, v[2:3], off
	v_cmp_eq_f32_e64 s[20:21], s28, 0
	v_lshlrev_b32_e32 v3, 2, v0
	s_and_b64 vcc, exec, s[20:21]
	s_waitcnt vmcnt(0)
	ds_write_b32 v3, v2 offset:5120
	s_cbranch_vccnz .LBB79_28
; %bb.27:
	v_mad_u64_u32 v[2:3], s[20:21], s2, v0, 0
	v_mad_u64_u32 v[3:4], s[20:21], s3, v0, v[3:4]
	v_mov_b32_e32 v4, s31
	v_lshlrev_b64 v[2:3], 2, v[2:3]
	v_add_co_u32_e32 v2, vcc, s30, v2
	v_addc_co_u32_e32 v3, vcc, v4, v3, vcc
	global_load_dword v2, v[2:3], off
	s_waitcnt vmcnt(0)
	v_mul_f32_e32 v6, s28, v2
.LBB79_28:
	s_or_b64 exec, exec, s[10:11]
.LBB79_29:
	s_or_b64 exec, exec, s[8:9]
.LBB79_30:
	s_mul_i32 s6, s19, s7
	s_mul_hi_u32 s8, s18, s7
	s_add_i32 s9, s8, s6
	s_mul_i32 s8, s18, s7
	s_lshl_b64 s[6:7], s[8:9], 2
	s_add_u32 s10, s12, s6
	s_addc_u32 s11, s13, s7
	s_lshl_b64 s[8:9], s[14:15], 2
	s_add_u32 s18, s10, s8
	s_addc_u32 s19, s11, s9
	s_add_u32 s14, s16, 1
	s_mul_i32 s10, s14, s35
	s_mul_hi_u32 s11, s14, s34
	s_addc_u32 s15, s17, 0
	s_add_i32 s20, s11, s10
	v_mad_u64_u32 v[2:3], s[10:11], s16, v1, 0
	s_mul_i32 s15, s15, s34
	s_add_i32 s11, s20, s15
	s_mul_i32 s10, s14, s34
	v_mad_u64_u32 v[3:4], s[14:15], s17, v1, v[3:4]
	s_lshl_b64 s[10:11], s[10:11], 2
	s_add_u32 s14, s18, s10
	v_lshlrev_b64 v[4:5], 2, v[2:3]
	s_addc_u32 s15, s19, s11
	v_mov_b32_e32 v2, s15
	v_add_co_u32_e32 v3, vcc, s14, v4
	v_addc_co_u32_e32 v8, vcc, v2, v5, vcc
	v_lshlrev_b32_e32 v7, 2, v0
	v_add_co_u32_e32 v2, vcc, v3, v7
	v_addc_co_u32_e32 v3, vcc, 0, v8, vcc
	v_lshlrev_b32_e32 v8, 7, v1
	v_lshlrev_b32_e32 v10, 5, v1
	s_mov_b64 s[14:15], -1
	s_andn2_b64 vcc, exec, s[4:5]
	v_add_u32_e32 v8, v7, v8
	s_cbranch_vccnz .LBB79_32
; %bb.31:
	s_lshl_b64 s[14:15], s[16:17], 4
	v_mov_b32_e32 v9, s15
	v_add_co_u32_e32 v11, vcc, s14, v2
	v_addc_co_u32_e32 v12, vcc, v3, v9, vcc
	v_add_co_u32_e32 v13, vcc, s14, v11
	v_addc_co_u32_e32 v14, vcc, v12, v9, vcc
	;; [unrolled: 2-line block ×5, first 2 shown]
	global_load_dword v21, v[2:3], off
	global_load_dword v22, v[11:12], off
	;; [unrolled: 1-line block ×6, first 2 shown]
	v_add_co_u32_e32 v11, vcc, s14, v19
	v_addc_co_u32_e32 v12, vcc, v20, v9, vcc
	global_load_dword v13, v[11:12], off
	v_add_co_u32_e32 v11, vcc, s14, v11
	v_addc_co_u32_e32 v12, vcc, v12, v9, vcc
	global_load_dword v9, v[11:12], off
	s_mov_b64 s[14:15], 0
	s_waitcnt vmcnt(6)
	ds_write2st64_b32 v8, v21, v22 offset1:2
	s_waitcnt vmcnt(4)
	ds_write2st64_b32 v8, v23, v24 offset0:4 offset1:6
	s_waitcnt vmcnt(2)
	ds_write2st64_b32 v8, v25, v26 offset0:8 offset1:10
	;; [unrolled: 2-line block ×3, first 2 shown]
.LBB79_32:
	s_andn2_b64 vcc, exec, s[14:15]
	v_add_u32_e32 v9, v10, v0
	s_cbranch_vccnz .LBB79_40
; %bb.33:
	v_mov_b32_e32 v11, 0
	v_cmp_gt_i32_e32 vcc, s29, v0
	ds_write2st64_b32 v8, v11, v11 offset1:2
	ds_write2st64_b32 v8, v11, v11 offset0:4 offset1:6
	ds_write2st64_b32 v8, v11, v11 offset0:8 offset1:10
	;; [unrolled: 1-line block ×3, first 2 shown]
	s_and_saveexec_b64 s[14:15], vcc
	s_cbranch_execz .LBB79_39
; %bb.34:
	s_cmp_lt_u32 s29, 4
	s_mov_b32 s18, 0
	s_cbranch_scc1 .LBB79_37
; %bb.35:
	s_lshr_b32 s18, s29, 2
	s_add_u32 s6, s10, s6
	s_addc_u32 s7, s11, s7
	s_add_u32 s6, s8, s6
	s_addc_u32 s7, s9, s7
	v_mov_b32_e32 v12, s7
	v_add_co_u32_e32 v4, vcc, s6, v4
	v_addc_co_u32_e32 v5, vcc, v12, v5, vcc
	v_add_co_u32_e32 v4, vcc, v4, v7
	v_addc_co_u32_e32 v5, vcc, 0, v5, vcc
	v_mov_b32_e32 v12, s13
	v_add_co_u32_e32 v4, vcc, s12, v4
	s_lshl_b64 s[6:7], s[16:17], 4
	v_lshl_add_u32 v11, v10, 2, v7
	v_addc_co_u32_e32 v5, vcc, v12, v5, vcc
	v_mov_b32_e32 v12, s7
	s_mov_b32 s7, s18
.LBB79_36:                              ; =>This Inner Loop Header: Depth=1
	global_load_dword v13, v[4:5], off
	s_add_i32 s7, s7, -1
	v_add_co_u32_e32 v4, vcc, s6, v4
	v_addc_co_u32_e32 v5, vcc, v5, v12, vcc
	s_cmp_lg_u32 s7, 0
	s_waitcnt vmcnt(0)
	ds_write_b32 v11, v13
	v_add_u32_e32 v11, 0x200, v11
	s_cbranch_scc1 .LBB79_36
.LBB79_37:
	s_and_b32 s6, s29, 3
	v_cmp_gt_u32_e32 vcc, s6, v1
	s_and_b64 exec, exec, vcc
	s_cbranch_execz .LBB79_39
; %bb.38:
	s_lshl_b32 s6, s18, 2
	s_mul_i32 s7, s17, s6
	s_mul_hi_u32 s8, s16, s6
	s_add_i32 s7, s8, s7
	s_mul_i32 s6, s16, s6
	s_lshl_b64 s[6:7], s[6:7], 2
	v_mov_b32_e32 v4, s7
	v_add_co_u32_e32 v2, vcc, s6, v2
	v_addc_co_u32_e32 v3, vcc, v3, v4, vcc
	global_load_dword v2, v[2:3], off
	v_lshlrev_b32_e32 v3, 2, v9
	v_lshl_add_u32 v3, s18, 9, v3
	s_waitcnt vmcnt(0)
	ds_write_b32 v3, v2
.LBB79_39:
	s_or_b64 exec, exec, s[14:15]
.LBB79_40:
	v_cmp_ge_u32_e32 vcc, v0, v1
	v_lshlrev_b32_e32 v3, 7, v0
	s_waitcnt vmcnt(0) lgkmcnt(0)
	s_barrier
	s_and_saveexec_b64 s[6:7], vcc
	s_xor_b64 s[6:7], exec, s[6:7]
; %bb.41:
	v_lshlrev_b32_e32 v3, 7, v0
                                        ; implicit-def: $vgpr10
; %bb.42:
	s_or_saveexec_b64 s[6:7], s[6:7]
	v_lshlrev_b32_e32 v2, 2, v1
	s_xor_b64 exec, exec, s[6:7]
	s_cbranch_execz .LBB79_44
; %bb.43:
	v_mul_u32_u24_e32 v4, 0x7c, v0
	v_add3_u32 v4, v7, v4, v2
	ds_read_b32 v4, v4
	v_lshl_add_u32 v5, v10, 2, v7
	s_waitcnt lgkmcnt(0)
	ds_write_b32 v5, v4
.LBB79_44:
	s_or_b64 exec, exec, s[6:7]
	v_sub_u32_e32 v4, v0, v1
	v_sub_u32_e32 v5, 0, v4
	v_max_i32_e32 v5, v4, v5
	v_cmp_gt_u32_e32 vcc, 4, v5
	v_lshl_add_u32 v4, v1, 2, v3
	v_lshl_add_u32 v3, v1, 7, v7
	s_and_saveexec_b64 s[6:7], vcc
	s_cbranch_execnz .LBB79_61
; %bb.45:
	s_or_b64 exec, exec, s[6:7]
	v_cmp_gt_u32_e32 vcc, 8, v5
	s_and_saveexec_b64 s[6:7], vcc
	s_cbranch_execnz .LBB79_62
.LBB79_46:
	s_or_b64 exec, exec, s[6:7]
	v_cmp_gt_u32_e32 vcc, 12, v5
	s_and_saveexec_b64 s[6:7], vcc
	s_cbranch_execnz .LBB79_63
.LBB79_47:
	s_or_b64 exec, exec, s[6:7]
	v_cmp_gt_u32_e32 vcc, 16, v5
	s_and_saveexec_b64 s[6:7], vcc
	s_cbranch_execnz .LBB79_64
.LBB79_48:
	s_or_b64 exec, exec, s[6:7]
	v_cmp_gt_u32_e32 vcc, 20, v5
	s_and_saveexec_b64 s[6:7], vcc
	s_cbranch_execnz .LBB79_65
.LBB79_49:
	s_or_b64 exec, exec, s[6:7]
	v_cmp_gt_u32_e32 vcc, 24, v5
	s_and_saveexec_b64 s[6:7], vcc
	s_cbranch_execz .LBB79_51
.LBB79_50:
	ds_read_b32 v10, v4 offset:96
	s_waitcnt lgkmcnt(0)
	ds_write_b32 v8, v10 offset:3072
.LBB79_51:
	s_or_b64 exec, exec, s[6:7]
	v_cmp_lt_u32_e32 vcc, 27, v5
	v_add_u32_e32 v5, 28, v1
                                        ; implicit-def: $vgpr10
	s_and_saveexec_b64 s[6:7], vcc
	s_xor_b64 s[6:7], exec, s[6:7]
; %bb.52:
	v_add_u32_e32 v5, 28, v1
	v_lshlrev_b32_e32 v10, 7, v5
                                        ; implicit-def: $vgpr4
; %bb.53:
	s_andn2_saveexec_b64 s[6:7], s[6:7]
	s_cbranch_execz .LBB79_55
; %bb.54:
	ds_read_b32 v1, v4 offset:112
	v_lshlrev_b32_e32 v10, 7, v5
	v_add_u32_e32 v4, v7, v10
	s_waitcnt lgkmcnt(0)
	ds_write_b32 v4, v1
.LBB79_55:
	s_or_b64 exec, exec, s[6:7]
	s_waitcnt lgkmcnt(0)
	s_barrier
	ds_read_b32 v1, v8
	v_add_u32_e32 v4, 0x1400, v2
	ds_read2_b32 v[11:12], v4 offset1:4
	ds_read2_b32 v[13:14], v4 offset0:8 offset1:12
	ds_read2st64_b32 v[15:16], v3 offset0:2 offset1:4
	v_add_u32_e32 v8, v7, v10
	v_lshlrev_b32_e32 v5, 2, v5
	ds_read_b32 v17, v2 offset:5216
	ds_read_b32 v8, v8
	ds_read_b32 v18, v5 offset:5120
	s_waitcnt lgkmcnt(5)
	v_fma_f32 v19, v1, v11, 0
	ds_read2st64_b32 v[1:2], v3 offset0:6 offset1:8
	ds_read2_b32 v[4:5], v4 offset0:16 offset1:20
	ds_read2st64_b32 v[10:11], v3 offset0:10 offset1:12
	s_waitcnt lgkmcnt(6)
	v_fmac_f32_e32 v19, v15, v12
	v_fmac_f32_e32 v19, v16, v13
	s_waitcnt lgkmcnt(2)
	v_fmac_f32_e32 v19, v1, v14
	s_waitcnt lgkmcnt(1)
	;; [unrolled: 2-line block ×3, first 2 shown]
	v_fmac_f32_e32 v19, v10, v5
	v_fmac_f32_e32 v19, v11, v17
	;; [unrolled: 1-line block ×3, first 2 shown]
	v_lshlrev_b32_e32 v1, 2, v9
	ds_write_b32 v1, v19 offset:4096
	s_waitcnt lgkmcnt(0)
	s_barrier
	s_and_saveexec_b64 s[6:7], s[0:1]
	s_cbranch_execz .LBB79_12
; %bb.56:
	v_add_u32_e32 v3, 0x1000, v7
	ds_read2_b32 v[1:2], v3 offset1:32
	ds_read2_b32 v[3:4], v3 offset0:64 offset1:96
	v_cmp_neq_f32_e64 vcc, s28, 0
	s_mov_b64 s[0:1], -1
	s_waitcnt lgkmcnt(1)
	v_add_f32_e32 v1, 0, v1
	v_add_f32_e32 v1, v1, v2
	s_waitcnt lgkmcnt(0)
	v_add_f32_e32 v1, v1, v3
	v_add_f32_e32 v1, v1, v4
	v_mul_f32_e32 v2, s33, v1
	v_fmac_f32_e32 v6, s33, v1
	v_cndmask_b32_e32 v1, v2, v6, vcc
	s_and_b64 vcc, exec, s[4:5]
	s_cbranch_vccz .LBB79_58
; %bb.57:
	v_mad_u64_u32 v[2:3], s[0:1], s2, v0, 0
	v_mad_u64_u32 v[3:4], s[0:1], s3, v0, v[3:4]
	v_mov_b32_e32 v4, s31
	s_mov_b64 s[0:1], 0
	v_lshlrev_b64 v[2:3], 2, v[2:3]
	v_add_co_u32_e32 v2, vcc, s30, v2
	v_addc_co_u32_e32 v3, vcc, v4, v3, vcc
	global_store_dword v[2:3], v1, off
.LBB79_58:
	s_andn2_b64 vcc, exec, s[0:1]
	s_cbranch_vccnz .LBB79_12
; %bb.59:
	v_cmp_gt_i32_e32 vcc, s29, v0
	s_and_b64 exec, exec, vcc
	s_cbranch_execz .LBB79_12
; %bb.60:
	v_mad_u64_u32 v[2:3], s[0:1], s2, v0, 0
	v_mad_u64_u32 v[3:4], s[0:1], s3, v0, v[3:4]
	v_mov_b32_e32 v0, s31
	v_lshlrev_b64 v[2:3], 2, v[2:3]
	v_add_co_u32_e32 v2, vcc, s30, v2
	v_addc_co_u32_e32 v3, vcc, v0, v3, vcc
	global_store_dword v[2:3], v1, off
	s_endpgm
.LBB79_61:
	ds_read_b32 v10, v4 offset:16
	s_waitcnt lgkmcnt(0)
	ds_write_b32 v3, v10 offset:512
	s_or_b64 exec, exec, s[6:7]
	v_cmp_gt_u32_e32 vcc, 8, v5
	s_and_saveexec_b64 s[6:7], vcc
	s_cbranch_execz .LBB79_46
.LBB79_62:
	ds_read_b32 v10, v4 offset:32
	s_waitcnt lgkmcnt(0)
	ds_write_b32 v3, v10 offset:1024
	s_or_b64 exec, exec, s[6:7]
	v_cmp_gt_u32_e32 vcc, 12, v5
	s_and_saveexec_b64 s[6:7], vcc
	s_cbranch_execz .LBB79_47
.LBB79_63:
	ds_read_b32 v10, v4 offset:48
	s_waitcnt lgkmcnt(0)
	ds_write_b32 v3, v10 offset:1536
	s_or_b64 exec, exec, s[6:7]
	v_cmp_gt_u32_e32 vcc, 16, v5
	s_and_saveexec_b64 s[6:7], vcc
	s_cbranch_execz .LBB79_48
.LBB79_64:
	ds_read_b32 v10, v4 offset:64
	s_waitcnt lgkmcnt(0)
	ds_write_b32 v8, v10 offset:2048
	s_or_b64 exec, exec, s[6:7]
	v_cmp_gt_u32_e32 vcc, 20, v5
	s_and_saveexec_b64 s[6:7], vcc
	s_cbranch_execz .LBB79_49
.LBB79_65:
	ds_read_b32 v10, v4 offset:80
	s_waitcnt lgkmcnt(0)
	ds_write_b32 v8, v10 offset:2560
	s_or_b64 exec, exec, s[6:7]
	v_cmp_gt_u32_e32 vcc, 24, v5
	s_and_saveexec_b64 s[6:7], vcc
	s_cbranch_execnz .LBB79_50
	s_branch .LBB79_51
	.section	.rodata,"a",@progbits
	.p2align	6, 0x0
	.amdhsa_kernel _ZL58rocblas_symv_kernel_lower_double_buffered_diagonal_genericILi32ELi4E24rocblas_internal_val_ptrIfEPKfPfEvbiT1_lT2_lllS6_lllS5_lT3_lllii
		.amdhsa_group_segment_fixed_size 5248
		.amdhsa_private_segment_fixed_size 0
		.amdhsa_kernarg_size 400
		.amdhsa_user_sgpr_count 6
		.amdhsa_user_sgpr_private_segment_buffer 1
		.amdhsa_user_sgpr_dispatch_ptr 0
		.amdhsa_user_sgpr_queue_ptr 0
		.amdhsa_user_sgpr_kernarg_segment_ptr 1
		.amdhsa_user_sgpr_dispatch_id 0
		.amdhsa_user_sgpr_flat_scratch_init 0
		.amdhsa_user_sgpr_private_segment_size 0
		.amdhsa_uses_dynamic_stack 0
		.amdhsa_system_sgpr_private_segment_wavefront_offset 0
		.amdhsa_system_sgpr_workgroup_id_x 1
		.amdhsa_system_sgpr_workgroup_id_y 0
		.amdhsa_system_sgpr_workgroup_id_z 1
		.amdhsa_system_sgpr_workgroup_info 0
		.amdhsa_system_vgpr_workitem_id 1
		.amdhsa_next_free_vgpr 37
		.amdhsa_next_free_sgpr 93
		.amdhsa_reserve_vcc 1
		.amdhsa_reserve_flat_scratch 0
		.amdhsa_float_round_mode_32 0
		.amdhsa_float_round_mode_16_64 0
		.amdhsa_float_denorm_mode_32 3
		.amdhsa_float_denorm_mode_16_64 3
		.amdhsa_dx10_clamp 1
		.amdhsa_ieee_mode 1
		.amdhsa_fp16_overflow 0
		.amdhsa_exception_fp_ieee_invalid_op 0
		.amdhsa_exception_fp_denorm_src 0
		.amdhsa_exception_fp_ieee_div_zero 0
		.amdhsa_exception_fp_ieee_overflow 0
		.amdhsa_exception_fp_ieee_underflow 0
		.amdhsa_exception_fp_ieee_inexact 0
		.amdhsa_exception_int_div_zero 0
	.end_amdhsa_kernel
	.section	.text._ZL58rocblas_symv_kernel_lower_double_buffered_diagonal_genericILi32ELi4E24rocblas_internal_val_ptrIfEPKfPfEvbiT1_lT2_lllS6_lllS5_lT3_lllii,"axG",@progbits,_ZL58rocblas_symv_kernel_lower_double_buffered_diagonal_genericILi32ELi4E24rocblas_internal_val_ptrIfEPKfPfEvbiT1_lT2_lllS6_lllS5_lT3_lllii,comdat
.Lfunc_end79:
	.size	_ZL58rocblas_symv_kernel_lower_double_buffered_diagonal_genericILi32ELi4E24rocblas_internal_val_ptrIfEPKfPfEvbiT1_lT2_lllS6_lllS5_lT3_lllii, .Lfunc_end79-_ZL58rocblas_symv_kernel_lower_double_buffered_diagonal_genericILi32ELi4E24rocblas_internal_val_ptrIfEPKfPfEvbiT1_lT2_lllS6_lllS5_lT3_lllii
                                        ; -- End function
	.set _ZL58rocblas_symv_kernel_lower_double_buffered_diagonal_genericILi32ELi4E24rocblas_internal_val_ptrIfEPKfPfEvbiT1_lT2_lllS6_lllS5_lT3_lllii.num_vgpr, 27
	.set _ZL58rocblas_symv_kernel_lower_double_buffered_diagonal_genericILi32ELi4E24rocblas_internal_val_ptrIfEPKfPfEvbiT1_lT2_lllS6_lllS5_lT3_lllii.num_agpr, 0
	.set _ZL58rocblas_symv_kernel_lower_double_buffered_diagonal_genericILi32ELi4E24rocblas_internal_val_ptrIfEPKfPfEvbiT1_lT2_lllS6_lllS5_lT3_lllii.numbered_sgpr, 38
	.set _ZL58rocblas_symv_kernel_lower_double_buffered_diagonal_genericILi32ELi4E24rocblas_internal_val_ptrIfEPKfPfEvbiT1_lT2_lllS6_lllS5_lT3_lllii.num_named_barrier, 0
	.set _ZL58rocblas_symv_kernel_lower_double_buffered_diagonal_genericILi32ELi4E24rocblas_internal_val_ptrIfEPKfPfEvbiT1_lT2_lllS6_lllS5_lT3_lllii.private_seg_size, 0
	.set _ZL58rocblas_symv_kernel_lower_double_buffered_diagonal_genericILi32ELi4E24rocblas_internal_val_ptrIfEPKfPfEvbiT1_lT2_lllS6_lllS5_lT3_lllii.uses_vcc, 1
	.set _ZL58rocblas_symv_kernel_lower_double_buffered_diagonal_genericILi32ELi4E24rocblas_internal_val_ptrIfEPKfPfEvbiT1_lT2_lllS6_lllS5_lT3_lllii.uses_flat_scratch, 0
	.set _ZL58rocblas_symv_kernel_lower_double_buffered_diagonal_genericILi32ELi4E24rocblas_internal_val_ptrIfEPKfPfEvbiT1_lT2_lllS6_lllS5_lT3_lllii.has_dyn_sized_stack, 0
	.set _ZL58rocblas_symv_kernel_lower_double_buffered_diagonal_genericILi32ELi4E24rocblas_internal_val_ptrIfEPKfPfEvbiT1_lT2_lllS6_lllS5_lT3_lllii.has_recursion, 0
	.set _ZL58rocblas_symv_kernel_lower_double_buffered_diagonal_genericILi32ELi4E24rocblas_internal_val_ptrIfEPKfPfEvbiT1_lT2_lllS6_lllS5_lT3_lllii.has_indirect_call, 0
	.section	.AMDGPU.csdata,"",@progbits
; Kernel info:
; codeLenInByte = 2452
; TotalNumSgprs: 42
; NumVgprs: 27
; ScratchSize: 0
; MemoryBound: 0
; FloatMode: 240
; IeeeMode: 1
; LDSByteSize: 5248 bytes/workgroup (compile time only)
; SGPRBlocks: 12
; VGPRBlocks: 9
; NumSGPRsForWavesPerEU: 97
; NumVGPRsForWavesPerEU: 37
; Occupancy: 6
; WaveLimiterHint : 0
; COMPUTE_PGM_RSRC2:SCRATCH_EN: 0
; COMPUTE_PGM_RSRC2:USER_SGPR: 6
; COMPUTE_PGM_RSRC2:TRAP_HANDLER: 0
; COMPUTE_PGM_RSRC2:TGID_X_EN: 1
; COMPUTE_PGM_RSRC2:TGID_Y_EN: 0
; COMPUTE_PGM_RSRC2:TGID_Z_EN: 1
; COMPUTE_PGM_RSRC2:TIDIG_COMP_CNT: 1
	.section	.text._ZL62rocblas_symv_kernel_lower_double_buffered_non_diagonal_genericILi32ELi4ELi4E24rocblas_internal_val_ptrIfEPKfPfEvbiT2_lT3_lllS6_lllT4_lllii,"axG",@progbits,_ZL62rocblas_symv_kernel_lower_double_buffered_non_diagonal_genericILi32ELi4ELi4E24rocblas_internal_val_ptrIfEPKfPfEvbiT2_lT3_lllS6_lllT4_lllii,comdat
	.globl	_ZL62rocblas_symv_kernel_lower_double_buffered_non_diagonal_genericILi32ELi4ELi4E24rocblas_internal_val_ptrIfEPKfPfEvbiT2_lT3_lllS6_lllT4_lllii ; -- Begin function _ZL62rocblas_symv_kernel_lower_double_buffered_non_diagonal_genericILi32ELi4ELi4E24rocblas_internal_val_ptrIfEPKfPfEvbiT2_lT3_lllS6_lllT4_lllii
	.p2align	8
	.type	_ZL62rocblas_symv_kernel_lower_double_buffered_non_diagonal_genericILi32ELi4ELi4E24rocblas_internal_val_ptrIfEPKfPfEvbiT2_lT3_lllS6_lllT4_lllii,@function
_ZL62rocblas_symv_kernel_lower_double_buffered_non_diagonal_genericILi32ELi4ELi4E24rocblas_internal_val_ptrIfEPKfPfEvbiT2_lT3_lllS6_lllT4_lllii: ; @_ZL62rocblas_symv_kernel_lower_double_buffered_non_diagonal_genericILi32ELi4ELi4E24rocblas_internal_val_ptrIfEPKfPfEvbiT2_lT3_lllS6_lllT4_lllii
; %bb.0:
	s_load_dword s0, s[4:5], 0x0
	s_load_dwordx16 s[12:27], s[4:5], 0x8
	s_waitcnt lgkmcnt(0)
	s_bitcmp0_b32 s0, 0
	s_cbranch_scc0 .LBB80_2
; %bb.1:
	s_mul_i32 s0, s15, s8
	s_mul_hi_u32 s1, s14, s8
	s_add_i32 s1, s1, s0
	s_mul_i32 s0, s14, s8
	s_lshl_b64 s[0:1], s[0:1], 2
	s_add_u32 s0, s12, s0
	s_addc_u32 s1, s13, s1
	s_load_dword s33, s[0:1], 0x0
	s_cbranch_execz .LBB80_3
	s_branch .LBB80_4
.LBB80_2:
                                        ; implicit-def: $sgpr33
.LBB80_3:
	s_waitcnt lgkmcnt(0)
	s_mov_b32 s33, s12
.LBB80_4:
	s_waitcnt lgkmcnt(0)
	v_cmp_eq_f32_e64 s[0:1], s33, 0
	s_and_b64 vcc, exec, s[0:1]
	s_cbranch_vccnz .LBB80_42
; %bb.5:
	s_load_dwordx2 s[12:13], s[4:5], 0x80
	s_waitcnt lgkmcnt(0)
	v_cvt_f32_u32_e32 v2, s13
	s_add_i32 s10, s12, -1
	s_cmp_eq_u32 s6, s10
	v_rcp_iflag_f32_e32 v2, v2
	v_mul_f32_e32 v2, 0x4f7ffffe, v2
	v_cvt_u32_f32_e32 v2, v2
	v_readfirstlane_b32 s0, v2
	s_cbranch_scc1 .LBB80_42
; %bb.6:
	s_not_b32 s1, s6
	s_load_dwordx4 s[28:31], s[4:5], 0x48
	s_add_i32 s10, s10, s1
	s_sub_i32 s1, 0, s13
	s_mul_i32 s1, s1, s0
	s_mul_hi_u32 s1, s0, s1
	s_add_i32 s0, s0, s1
	s_mul_hi_u32 s11, s10, s0
	s_waitcnt lgkmcnt(0)
	s_mul_i32 s0, s31, s8
	s_mul_hi_u32 s1, s30, s8
	s_add_i32 s1, s1, s0
	s_mul_i32 s0, s30, s8
	s_lshl_b64 s[0:1], s[0:1], 2
	s_add_u32 s2, s24, s0
	s_addc_u32 s3, s25, s1
	s_lshl_b64 s[0:1], s[26:27], 2
	s_add_u32 s2, s2, s0
	s_addc_u32 s3, s3, s1
	s_lshl_b32 s9, s6, 5
	s_ashr_i32 s31, s9, 31
	s_mul_i32 s0, s28, s31
	s_mul_hi_u32 s1, s28, s9
	s_add_i32 s0, s1, s0
	s_mul_i32 s1, s29, s9
	s_add_i32 s1, s0, s1
	s_mul_i32 s0, s28, s9
	s_lshl_b64 s[0:1], s[0:1], 2
	s_add_u32 s14, s2, s0
	s_addc_u32 s15, s3, s1
	v_cmp_eq_u32_e64 s[0:1], 0, v1
	s_and_saveexec_b64 s[2:3], s[0:1]
	s_cbranch_execz .LBB80_8
; %bb.7:
	v_mad_u64_u32 v[2:3], s[24:25], s28, v0, 0
	v_mad_u64_u32 v[3:4], s[24:25], s29, v0, v[3:4]
	v_mov_b32_e32 v4, s15
	v_lshlrev_b64 v[2:3], 2, v[2:3]
	v_add_co_u32_e32 v2, vcc, s14, v2
	v_addc_co_u32_e32 v3, vcc, v4, v3, vcc
	global_load_dword v2, v[2:3], off
	v_lshlrev_b32_e32 v3, 2, v0
	s_waitcnt vmcnt(0)
	ds_write_b32 v3, v2 offset:3072
.LBB80_8:
	s_or_b64 exec, exec, s[2:3]
	s_mul_i32 s2, s11, s13
	s_sub_i32 s2, s10, s2
	s_add_i32 s3, s11, 1
	s_sub_i32 s24, s2, s13
	s_cmp_ge_u32 s2, s13
	s_cselect_b32 s3, s3, s11
	s_cselect_b32 s2, s24, s2
	s_add_i32 s11, s3, 1
	s_cmp_ge_u32 s2, s13
	s_cselect_b32 s11, s11, s3
	s_add_i32 s24, s13, -1
	s_cmp_eq_u32 s7, s24
	s_cselect_b64 s[2:3], -1, 0
	s_cmp_lg_u32 s7, s24
	s_mov_b32 s30, s11
	s_cbranch_scc1 .LBB80_10
; %bb.9:
	s_mul_i32 s13, s11, s13
	s_sub_i32 s10, s10, s13
	s_add_i32 s30, s10, s11
.LBB80_10:
	s_cmp_lg_u32 s7, s24
	s_cselect_b64 s[24:25], -1, 0
	s_cmp_eq_u32 s30, 0
	s_cselect_b64 s[26:27], -1, 0
	s_and_b64 s[24:25], s[24:25], s[26:27]
	s_and_b64 vcc, exec, s[24:25]
	s_cbranch_vccnz .LBB80_42
; %bb.11:
	s_mul_i32 s7, s7, s11
	s_lshl_b32 s24, s7, 5
	s_mul_i32 s7, s23, s8
	s_mul_hi_u32 s10, s22, s8
	s_add_i32 s11, s10, s7
	s_mul_i32 s10, s22, s8
	s_ashr_i32 s25, s24, 31
	s_lshl_b64 s[10:11], s[10:11], 2
	s_add_u32 s7, s16, s10
	s_addc_u32 s13, s17, s11
	s_lshl_b64 s[10:11], s[18:19], 2
	s_add_u32 s7, s7, s10
	s_addc_u32 s13, s13, s11
	s_add_u32 s10, s20, 1
	s_addc_u32 s11, s21, 0
	s_mul_i32 s16, s10, s31
	s_mul_hi_u32 s17, s10, s9
	s_add_i32 s16, s17, s16
	s_mul_i32 s11, s11, s9
	s_add_i32 s11, s16, s11
	s_mul_i32 s10, s10, s9
	s_lshl_b64 s[10:11], s[10:11], 2
	v_lshl_add_u32 v2, v1, 5, v0
	s_add_u32 s7, s7, s10
	v_lshrrev_b32_e32 v19, 4, v2
	s_addc_u32 s13, s13, s11
	s_lshl_b64 s[10:11], s[24:25], 2
	v_and_b32_e32 v1, 15, v0
	v_lshlrev_b32_e32 v20, 2, v19
	v_mov_b32_e32 v2, 0
	s_add_u32 s10, s7, s10
	v_mad_u64_u32 v[3:4], s[16:17], s20, v20, v[1:2]
	s_addc_u32 s11, s13, s11
	s_mul_i32 s7, s28, s25
	s_mul_hi_u32 s13, s28, s24
	s_add_i32 s7, s13, s7
	s_mul_i32 s13, s29, s24
	s_load_dwordx2 s[26:27], s[4:5], 0x58
	s_add_i32 s17, s7, s13
	s_mul_i32 s16, s28, s24
	v_mad_u64_u32 v[4:5], s[18:19], s21, v20, v[4:5]
	s_lshl_b64 s[16:17], s[16:17], 2
	s_add_u32 s18, s14, s16
	s_addc_u32 s19, s15, s17
	s_lshl_b64 s[16:17], s[28:29], 5
	s_add_i32 s7, s12, -2
	s_cmp_ge_u32 s6, s7
	v_mov_b32_e32 v33, v2
	v_mov_b32_e32 v28, v2
	;; [unrolled: 1-line block ×5, first 2 shown]
	s_waitcnt lgkmcnt(0)
	s_barrier
	s_cbranch_scc1 .LBB80_13
; %bb.12:
	v_lshlrev_b64 v[5:6], 2, v[3:4]
	s_lshl_b64 s[6:7], s[16:17], 2
	s_add_u32 s14, s18, s6
	v_mov_b32_e32 v7, s11
	v_add_co_u32_e32 v5, vcc, s10, v5
	s_addc_u32 s15, s19, s7
	v_addc_co_u32_e32 v6, vcc, v7, v6, vcc
	s_lshl_b64 s[6:7], s[20:21], 2
	v_mov_b32_e32 v8, s7
	v_add_co_u32_e32 v7, vcc, s6, v5
	v_addc_co_u32_e32 v8, vcc, v6, v8, vcc
	s_lshl_b64 s[6:7], s[20:21], 3
	v_mov_b32_e32 v12, s7
	v_mad_u64_u32 v[9:10], s[12:13], s20, 12, v[5:6]
	v_add_co_u32_e32 v11, vcc, s6, v5
	v_mad_u64_u32 v[13:14], s[6:7], s28, v1, 0
	v_mad_u64_u32 v[15:16], s[6:7], s21, 12, v[10:11]
	v_mov_b32_e32 v10, v14
	v_mad_u64_u32 v[16:17], s[6:7], s29, v1, v[10:11]
	v_addc_co_u32_e32 v12, vcc, v6, v12, vcc
	v_mov_b32_e32 v14, v16
	global_load_dword v28, v[5:6], off offset:128
	global_load_dword v29, v[7:8], off offset:128
	;; [unrolled: 1-line block ×3, first 2 shown]
	v_lshlrev_b64 v[5:6], 2, v[13:14]
	v_mov_b32_e32 v7, s15
	v_add_co_u32_e32 v5, vcc, s14, v5
	v_mov_b32_e32 v10, v15
	v_addc_co_u32_e32 v6, vcc, v7, v6, vcc
	global_load_dword v31, v[9:10], off offset:128
	global_load_dword v33, v[5:6], off
.LBB80_13:
	s_load_dwordx2 s[6:7], s[4:5], 0x70
	s_load_dwordx4 s[12:15], s[4:5], 0x60
	v_or_b32_e32 v24, 16, v1
	s_waitcnt lgkmcnt(0)
	s_mul_i32 s7, s7, s8
	s_mul_hi_u32 s22, s6, s8
	s_mul_i32 s6, s6, s8
	s_add_i32 s7, s22, s7
	s_lshl_b64 s[6:7], s[6:7], 2
	s_add_u32 s8, s26, s6
	s_addc_u32 s22, s27, s7
	s_lshl_b64 s[6:7], s[12:13], 2
	s_add_u32 s8, s8, s6
	s_addc_u32 s12, s22, s7
	s_mul_i32 s6, s14, s31
	s_mul_hi_u32 s7, s14, s9
	s_add_i32 s6, s7, s6
	s_mul_i32 s7, s15, s9
	s_add_i32 s7, s6, s7
	s_mul_i32 s6, s14, s9
	s_lshl_b64 s[6:7], s[6:7], 2
	s_add_u32 s36, s8, s6
	s_addc_u32 s37, s12, s7
	s_mul_i32 s6, s14, s25
	s_mul_hi_u32 s7, s14, s24
	s_add_i32 s6, s7, s6
	s_mul_i32 s7, s15, s24
	s_add_i32 s7, s6, s7
	s_mul_i32 s6, s14, s24
	s_lshl_b64 s[6:7], s[6:7], 2
	s_add_u32 s22, s36, s6
	s_addc_u32 s23, s37, s7
	s_cmp_lt_i32 s30, 1
	s_cbranch_scc1 .LBB80_22
; %bb.14:
	v_mad_u64_u32 v[5:6], s[6:7], s28, v24, 0
	v_mov_b32_e32 v10, 0x800
	v_lshl_or_b32 v11, v1, 2, v10
	v_mov_b32_e32 v2, v6
	v_mad_u64_u32 v[6:7], s[6:7], s29, v24, v[2:3]
	v_mad_u64_u32 v[7:8], s[6:7], s14, v0, 0
	v_mov_b32_e32 v2, 0xc00
	v_lshl_add_u32 v32, v20, 2, v2
	v_mov_b32_e32 v2, v8
	v_mad_u64_u32 v[8:9], s[6:7], s15, v0, v[2:3]
	v_lshlrev_b32_e32 v2, 7, v19
	s_lshl_b64 s[6:7], s[14:15], 7
	v_lshl_or_b32 v26, v0, 2, v10
	v_lshlrev_b64 v[9:10], 2, v[5:6]
	s_cmp_lg_u32 s30, 1
	v_add_u32_e32 v27, v11, v2
	s_cbranch_scc0 .LBB80_23
; %bb.15:
	v_mad_u64_u32 v[13:14], s[8:9], s28, v1, 0
	s_add_i32 s38, s30, -2
	s_lshl_b64 s[12:13], s[20:21], 2
	v_mov_b32_e32 v2, v14
	v_mad_u64_u32 v[5:6], s[8:9], s29, v1, v[2:3]
	s_lshl_b64 s[8:9], s[20:21], 3
	s_sub_u32 s39, 0, s8
	v_mov_b32_e32 v14, v5
	s_subb_u32 s8, 0, s9
	v_mov_b32_e32 v21, 0
	v_mov_b32_e32 v5, s22
	v_lshlrev_b64 v[11:12], 2, v[3:4]
	v_lshlrev_b64 v[13:14], 2, v[13:14]
	s_mov_b32 s40, 0
	v_mov_b32_e32 v6, s23
	s_lshl_b64 s[26:27], s[16:17], 2
	v_mov_b32_e32 v38, s13
	v_mov_b32_e32 v39, s8
	s_mov_b64 s[8:9], s[10:11]
	s_waitcnt vmcnt(0)
	v_mov_b32_e32 v40, v33
	s_mov_b64 s[24:25], s[18:19]
	v_mov_b32_e32 v23, 0
	v_mov_b32_e32 v22, 0
	v_mov_b32_e32 v2, v21
	v_mov_b32_e32 v41, v28
	v_mov_b32_e32 v42, v29
	v_mov_b32_e32 v43, v30
	v_mov_b32_e32 v44, v31
.LBB80_16:                              ; =>This Loop Header: Depth=1
                                        ;     Child Loop BB80_18 Depth 2
	s_add_u32 s24, s24, s26
	s_addc_u32 s25, s25, s27
	v_mov_b32_e32 v16, s25
	v_add_co_u32_e32 v15, vcc, s24, v9
	v_addc_co_u32_e32 v16, vcc, v16, v10, vcc
	global_load_dword v45, v[15:16], off
	v_mov_b32_e32 v16, s9
	v_add_co_u32_e32 v15, vcc, s8, v11
	v_addc_co_u32_e32 v16, vcc, v16, v12, vcc
	v_add_co_u32_e32 v17, vcc, s12, v15
	v_addc_co_u32_e32 v18, vcc, v16, v38, vcc
	;; [unrolled: 2-line block ×4, first 2 shown]
	global_load_dword v49, v[15:16], off offset:192
	global_load_dword v47, v[17:18], off offset:192
	;; [unrolled: 1-line block ×4, first 2 shown]
	v_add_co_u32_e32 v17, vcc, s39, v36
	v_addc_co_u32_e32 v18, vcc, v37, v39, vcc
	v_add_co_u32_e32 v50, vcc, s12, v17
	v_addc_co_u32_e32 v51, vcc, v18, v38, vcc
	s_add_u32 s30, s24, s26
	v_add_co_u32_e32 v52, vcc, s12, v50
	s_addc_u32 s31, s25, s27
	v_addc_co_u32_e32 v53, vcc, v51, v38, vcc
	v_mov_b32_e32 v25, s31
	v_add_co_u32_e32 v54, vcc, s30, v13
	v_addc_co_u32_e32 v55, vcc, v25, v14, vcc
	global_load_dword v25, v[54:55], off
	global_load_dword v36, v[17:18], off offset:256
	global_load_dword v35, v[50:51], off offset:256
	;; [unrolled: 1-line block ×4, first 2 shown]
	ds_read_b128 v[15:18], v32
	s_waitcnt vmcnt(0) lgkmcnt(0)
	s_barrier
	v_fma_f32 v50, v41, v15, 0
	v_fmac_f32_e32 v50, v42, v16
	v_fmac_f32_e32 v50, v43, v17
	;; [unrolled: 1-line block ×3, first 2 shown]
	v_fma_f32 v15, v49, v15, 0
	v_fmac_f32_e32 v15, v47, v16
	v_fmac_f32_e32 v15, v46, v17
	v_fmac_f32_e32 v15, v48, v18
	ds_write2_b32 v27, v50, v15 offset1:16
	s_waitcnt lgkmcnt(0)
	s_barrier
	s_and_saveexec_b64 s[30:31], s[0:1]
	s_cbranch_execz .LBB80_20
; %bb.17:                               ;   in Loop: Header=BB80_16 Depth=1
	v_mov_b32_e32 v15, s7
	v_add_co_u32_e32 v5, vcc, s6, v5
	v_addc_co_u32_e32 v6, vcc, v6, v15, vcc
	v_lshlrev_b64 v[15:16], 2, v[7:8]
	s_mov_b64 s[34:35], 0
	v_add_co_u32_e32 v15, vcc, v5, v15
	v_addc_co_u32_e32 v16, vcc, v6, v16, vcc
	global_load_dword v18, v[15:16], off
	ds_read2_b32 v[50:51], v26 offset1:32
	ds_read2_b32 v[52:53], v26 offset0:64 offset1:96
	ds_read2_b32 v[54:55], v26 offset0:128 offset1:160
	s_waitcnt lgkmcnt(2)
	v_add_f32_e32 v17, 0, v50
	v_add_f32_e32 v17, v17, v51
	ds_read2_b32 v[50:51], v26 offset0:192 offset1:224
	s_waitcnt lgkmcnt(2)
	v_add_f32_e32 v17, v17, v52
	v_add_f32_e32 v17, v17, v53
	s_waitcnt lgkmcnt(1)
	v_add_f32_e32 v17, v17, v54
	v_add_f32_e32 v17, v17, v55
	;; [unrolled: 3-line block ×3, first 2 shown]
	v_mul_f32_e32 v50, s33, v17
.LBB80_18:                              ;   Parent Loop BB80_16 Depth=1
                                        ; =>  This Inner Loop Header: Depth=2
	s_waitcnt vmcnt(0)
	v_add_f32_e32 v17, v18, v50
	global_atomic_cmpswap v17, v[15:16], v[17:18], off glc
	s_waitcnt vmcnt(0)
	v_cmp_eq_u32_e32 vcc, v17, v18
	s_or_b64 s[34:35], vcc, s[34:35]
	v_mov_b32_e32 v18, v17
	s_andn2_b64 exec, exec, s[34:35]
	s_cbranch_execnz .LBB80_18
; %bb.19:                               ;   in Loop: Header=BB80_16 Depth=1
	s_or_b64 exec, exec, s[34:35]
.LBB80_20:                              ;   in Loop: Header=BB80_16 Depth=1
	s_or_b64 exec, exec, s[30:31]
	s_add_u32 s8, s8, 0x80
	v_fmac_f32_e32 v21, v40, v41
	v_fmac_f32_e32 v23, v40, v42
	v_fmac_f32_e32 v22, v40, v43
	v_fmac_f32_e32 v2, v40, v44
	s_addc_u32 s9, s9, 0
	s_add_i32 s30, s40, 1
	v_fmac_f32_e32 v21, v45, v49
	v_fmac_f32_e32 v23, v45, v47
	;; [unrolled: 1-line block ×4, first 2 shown]
	s_cmp_eq_u32 s40, s38
	s_cbranch_scc1 .LBB80_24
; %bb.21:                               ;   in Loop: Header=BB80_16 Depth=1
	s_mov_b32 s40, s30
	v_mov_b32_e32 v40, v25
	v_mov_b32_e32 v41, v37
	;; [unrolled: 1-line block ×5, first 2 shown]
	s_branch .LBB80_16
.LBB80_22:
	v_mov_b32_e32 v5, s22
	v_mov_b32_e32 v6, s23
	v_mov_b32_e32 v22, v2
	v_mov_b32_e32 v23, v2
	v_mov_b32_e32 v21, v2
	v_mov_b32_e32 v11, v2
	s_waitcnt vmcnt(0)
	v_mov_b32_e32 v25, v33
	s_and_b64 vcc, exec, s[2:3]
	s_cbranch_vccnz .LBB80_31
	s_branch .LBB80_39
.LBB80_23:
                                        ; implicit-def: $vgpr34
                                        ; implicit-def: $vgpr35
                                        ; implicit-def: $vgpr36
                                        ; implicit-def: $vgpr37
                                        ; implicit-def: $vgpr22
                                        ; implicit-def: $vgpr23
                                        ; implicit-def: $vgpr21
                                        ; implicit-def: $sgpr24_sgpr25
                                        ; implicit-def: $vgpr5_vgpr6
                                        ; implicit-def: $vgpr25
                                        ; implicit-def: $sgpr8_sgpr9
                                        ; implicit-def: $sgpr12_sgpr13
	s_cbranch_execnz .LBB80_25
	s_branch .LBB80_26
.LBB80_24:
	s_branch .LBB80_26
.LBB80_25:
	v_mov_b32_e32 v21, 0
	v_mov_b32_e32 v5, s22
	s_lshl_b64 s[12:13], s[20:21], 2
	v_mov_b32_e32 v6, s23
	s_mov_b64 s[8:9], s[10:11]
	s_waitcnt vmcnt(0)
	v_mov_b32_e32 v25, v33
	s_mov_b64 s[24:25], s[18:19]
	v_mov_b32_e32 v23, 0
	v_mov_b32_e32 v22, 0
	;; [unrolled: 1-line block ×7, first 2 shown]
.LBB80_26:
	v_lshlrev_b64 v[11:12], 2, v[3:4]
	v_mov_b32_e32 v13, s9
	v_add_co_u32_e32 v16, vcc, s8, v11
	v_addc_co_u32_e32 v17, vcc, v13, v12, vcc
	s_waitcnt vmcnt(3)
	v_mad_u64_u32 v[28:29], s[10:11], s20, 12, v[16:17]
	v_fmac_f32_e32 v2, v25, v34
	v_fmac_f32_e32 v22, v25, v35
	v_mov_b32_e32 v11, v29
	v_mad_u64_u32 v[11:12], s[10:11], s21, 12, v[11:12]
	s_lshl_b64 s[10:11], s[16:17], 2
	s_add_u32 s18, s24, s10
	s_addc_u32 s19, s25, s11
	s_sub_u32 s10, 0, s12
	s_subb_u32 s11, 0, s13
	v_mov_b32_e32 v12, s11
	s_waitcnt vmcnt(2)
	v_add_co_u32_e32 v30, vcc, s10, v28
	s_waitcnt vmcnt(1)
	v_addc_co_u32_e32 v31, vcc, v11, v12, vcc
	v_mov_b32_e32 v29, v11
	v_mov_b32_e32 v11, s11
	v_add_co_u32_e32 v38, vcc, s10, v30
	v_addc_co_u32_e32 v39, vcc, v31, v11, vcc
	global_load_dword v14, v[38:39], off offset:192
	global_load_dword v15, v[16:17], off offset:192
	;; [unrolled: 1-line block ×4, first 2 shown]
	v_mov_b32_e32 v11, s19
	v_add_co_u32_e32 v9, vcc, s18, v9
	v_addc_co_u32_e32 v10, vcc, v11, v10, vcc
	global_load_dword v11, v[9:10], off
	ds_read_b128 v[28:31], v32
	s_add_u32 s10, s8, 0x80
	v_fmac_f32_e32 v23, v25, v36
	v_fmac_f32_e32 v21, v25, v37
	s_mov_b64 s[12:13], 0
	s_waitcnt lgkmcnt(0)
	v_fma_f32 v9, v37, v28, 0
	v_fmac_f32_e32 v9, v36, v29
	v_fmac_f32_e32 v9, v35, v30
	s_addc_u32 s11, s9, 0
	v_fmac_f32_e32 v9, v34, v31
	s_waitcnt vmcnt(0)
	s_barrier
	v_fma_f32 v10, v15, v28, 0
	v_fmac_f32_e32 v10, v14, v29
	v_fmac_f32_e32 v10, v13, v30
	;; [unrolled: 1-line block ×3, first 2 shown]
	ds_write2_b32 v27, v9, v10 offset1:16
	s_waitcnt lgkmcnt(0)
	s_barrier
	s_and_saveexec_b64 s[8:9], s[0:1]
	s_cbranch_execz .LBB80_30
; %bb.27:
	v_mov_b32_e32 v9, s7
	v_add_co_u32_e32 v5, vcc, s6, v5
	v_lshlrev_b64 v[7:8], 2, v[7:8]
	v_addc_co_u32_e32 v6, vcc, v6, v9, vcc
	v_add_co_u32_e32 v7, vcc, v5, v7
	v_addc_co_u32_e32 v8, vcc, v6, v8, vcc
	global_load_dword v10, v[7:8], off
	ds_read2_b32 v[16:17], v26 offset1:32
	ds_read2_b32 v[27:28], v26 offset0:64 offset1:96
	ds_read2_b32 v[29:30], v26 offset0:128 offset1:160
	s_waitcnt lgkmcnt(2)
	v_add_f32_e32 v9, 0, v16
	v_add_f32_e32 v9, v9, v17
	ds_read2_b32 v[16:17], v26 offset0:192 offset1:224
	s_waitcnt lgkmcnt(2)
	v_add_f32_e32 v9, v9, v27
	v_add_f32_e32 v9, v9, v28
	s_waitcnt lgkmcnt(1)
	v_add_f32_e32 v9, v9, v29
	v_add_f32_e32 v9, v9, v30
	;; [unrolled: 3-line block ×3, first 2 shown]
	v_mul_f32_e32 v16, s33, v9
.LBB80_28:                              ; =>This Inner Loop Header: Depth=1
	s_waitcnt vmcnt(0)
	v_add_f32_e32 v9, v10, v16
	global_atomic_cmpswap v9, v[7:8], v[9:10], off glc
	s_waitcnt vmcnt(0)
	v_cmp_eq_u32_e32 vcc, v9, v10
	s_or_b64 s[12:13], vcc, s[12:13]
	v_mov_b32_e32 v10, v9
	s_andn2_b64 exec, exec, s[12:13]
	s_cbranch_execnz .LBB80_28
; %bb.29:
	s_or_b64 exec, exec, s[12:13]
.LBB80_30:
	s_or_b64 exec, exec, s[8:9]
	v_fmac_f32_e32 v21, v11, v15
	v_fmac_f32_e32 v23, v11, v14
	;; [unrolled: 1-line block ×4, first 2 shown]
	s_and_b64 vcc, exec, s[2:3]
	s_cbranch_vccz .LBB80_39
.LBB80_31:
	s_load_dword s4, s[4:5], 0x78
	s_lshl_b64 s[2:3], s[16:17], 2
	s_add_u32 s5, s18, s2
	v_mov_b32_e32 v7, 0
	s_addc_u32 s6, s19, s3
	s_waitcnt lgkmcnt(0)
	v_cmp_gt_i32_e32 vcc, s4, v1
	v_mov_b32_e32 v12, 0
	v_mov_b32_e32 v13, 0
	;; [unrolled: 1-line block ×4, first 2 shown]
	s_and_saveexec_b64 s[2:3], vcc
	s_cbranch_execz .LBB80_33
; %bb.32:
	v_lshlrev_b64 v[8:9], 2, v[3:4]
	v_mov_b32_e32 v10, s11
	v_add_co_u32_e32 v8, vcc, s10, v8
	v_addc_co_u32_e32 v9, vcc, v10, v9, vcc
	s_lshl_b64 s[8:9], s[20:21], 2
	v_mov_b32_e32 v10, s9
	v_add_co_u32_e32 v15, vcc, s8, v8
	v_addc_co_u32_e32 v16, vcc, v9, v10, vcc
	s_lshl_b64 s[8:9], s[20:21], 3
	v_mad_u64_u32 v[17:18], s[12:13], s20, 12, v[8:9]
	v_mov_b32_e32 v10, s9
	v_add_co_u32_e32 v25, vcc, s8, v8
	v_mad_u64_u32 v[27:28], s[8:9], s28, v1, 0
	v_addc_co_u32_e32 v26, vcc, v9, v10, vcc
	v_mov_b32_e32 v10, v18
	v_mad_u64_u32 v[29:30], s[8:9], s21, 12, v[10:11]
	v_mov_b32_e32 v10, v28
	v_mad_u64_u32 v[30:31], s[8:9], s29, v1, v[10:11]
	global_load_dword v12, v[8:9], off offset:128
	global_load_dword v13, v[15:16], off offset:128
	;; [unrolled: 1-line block ×3, first 2 shown]
	v_mov_b32_e32 v10, s6
	v_mov_b32_e32 v28, v30
	v_lshlrev_b64 v[8:9], 2, v[27:28]
	v_mov_b32_e32 v18, v29
	v_add_co_u32_e32 v8, vcc, s5, v8
	v_addc_co_u32_e32 v9, vcc, v10, v9, vcc
	global_load_dword v15, v[17:18], off offset:128
	global_load_dword v25, v[8:9], off
.LBB80_33:
	s_or_b64 exec, exec, s[2:3]
	v_cmp_gt_i32_e32 vcc, s4, v24
	v_mov_b32_e32 v8, 0
	v_mov_b32_e32 v9, 0
	;; [unrolled: 1-line block ×3, first 2 shown]
	s_and_saveexec_b64 s[2:3], vcc
	s_cbranch_execz .LBB80_35
; %bb.34:
	v_lshlrev_b64 v[3:4], 2, v[3:4]
	v_mov_b32_e32 v7, s11
	v_add_co_u32_e32 v3, vcc, s10, v3
	v_addc_co_u32_e32 v4, vcc, v7, v4, vcc
	s_lshl_b64 s[8:9], s[20:21], 2
	v_mov_b32_e32 v7, s9
	v_add_co_u32_e32 v10, vcc, s8, v3
	v_addc_co_u32_e32 v11, vcc, v4, v7, vcc
	s_lshl_b64 s[8:9], s[20:21], 3
	v_mad_u64_u32 v[16:17], s[10:11], s20, 12, v[3:4]
	v_mov_b32_e32 v7, s9
	v_add_co_u32_e32 v26, vcc, s8, v3
	v_mad_u64_u32 v[28:29], s[8:9], s28, v24, 0
	v_addc_co_u32_e32 v27, vcc, v4, v7, vcc
	v_mov_b32_e32 v7, v17
	v_mad_u64_u32 v[17:18], s[8:9], s21, 12, v[7:8]
	v_mov_b32_e32 v7, v29
	v_mad_u64_u32 v[29:30], s[8:9], s29, v24, v[7:8]
	global_load_dword v7, v[3:4], off offset:192
	global_load_dword v8, v[10:11], off offset:192
	;; [unrolled: 1-line block ×3, first 2 shown]
                                        ; kill: killed $vgpr26 killed $vgpr27
                                        ; kill: killed $vgpr10 killed $vgpr11
                                        ; kill: killed $vgpr3 killed $vgpr4
	s_nop 0
	global_load_dword v10, v[16:17], off offset:192
	v_mov_b32_e32 v11, s6
	v_lshlrev_b64 v[3:4], 2, v[28:29]
	v_add_co_u32_e32 v3, vcc, s5, v3
	v_addc_co_u32_e32 v4, vcc, v11, v4, vcc
	global_load_dword v11, v[3:4], off
.LBB80_35:
	s_or_b64 exec, exec, s[2:3]
	v_lshlrev_b32_e32 v3, 2, v20
	ds_read_b128 v[26:29], v3 offset:3072
	s_waitcnt vmcnt(0)
	v_fmac_f32_e32 v21, v25, v12
	v_cmp_gt_i32_e32 vcc, s4, v0
	v_fmac_f32_e32 v23, v25, v13
	v_fmac_f32_e32 v22, v25, v14
	s_waitcnt lgkmcnt(0)
	v_fma_f32 v3, v7, v26, 0
	v_fma_f32 v4, v12, v26, 0
	v_fmac_f32_e32 v3, v8, v27
	v_fmac_f32_e32 v4, v13, v27
	v_lshlrev_b32_e32 v12, 2, v1
	v_fmac_f32_e32 v3, v9, v28
	v_fmac_f32_e32 v4, v14, v28
	v_lshl_or_b32 v12, v19, 7, v12
	v_fmac_f32_e32 v2, v25, v15
	v_fmac_f32_e32 v3, v10, v29
	;; [unrolled: 1-line block ×3, first 2 shown]
	v_add_u32_e32 v12, 0x800, v12
	s_and_b64 s[4:5], s[0:1], vcc
	s_barrier
	ds_write2_b32 v12, v4, v3 offset1:16
	s_waitcnt lgkmcnt(0)
	s_barrier
	s_and_saveexec_b64 s[2:3], s[4:5]
	s_cbranch_execz .LBB80_38
; %bb.36:
	v_mad_u64_u32 v[3:4], s[4:5], s14, v0, 0
	s_lshl_b64 s[4:5], s[14:15], 7
	v_mov_b32_e32 v14, s5
	v_mad_u64_u32 v[12:13], s[6:7], s15, v0, v[4:5]
	v_add_co_u32_e32 v5, vcc, s4, v5
	v_mov_b32_e32 v4, v12
	v_lshlrev_b64 v[3:4], 2, v[3:4]
	v_addc_co_u32_e32 v6, vcc, v6, v14, vcc
	v_add_co_u32_e32 v3, vcc, v5, v3
	v_addc_co_u32_e32 v4, vcc, v6, v4, vcc
	global_load_dword v6, v[3:4], off
	v_lshlrev_b32_e32 v5, 2, v0
	v_add_u32_e32 v5, 0x800, v5
	ds_read2_b32 v[12:13], v5 offset1:32
	ds_read2_b32 v[14:15], v5 offset0:64 offset1:96
	ds_read2_b32 v[16:17], v5 offset0:128 offset1:160
	s_mov_b64 s[4:5], 0
	s_waitcnt lgkmcnt(2)
	v_add_f32_e32 v12, 0, v12
	v_add_f32_e32 v18, v12, v13
	ds_read2_b32 v[12:13], v5 offset0:192 offset1:224
	s_waitcnt lgkmcnt(2)
	v_add_f32_e32 v5, v18, v14
	v_add_f32_e32 v5, v5, v15
	s_waitcnt lgkmcnt(1)
	v_add_f32_e32 v5, v5, v16
	v_add_f32_e32 v5, v5, v17
	s_waitcnt lgkmcnt(0)
	v_add_f32_e32 v5, v5, v12
	v_add_f32_e32 v5, v5, v13
	v_mul_f32_e32 v12, s33, v5
.LBB80_37:                              ; =>This Inner Loop Header: Depth=1
	s_waitcnt vmcnt(0)
	v_add_f32_e32 v5, v6, v12
	global_atomic_cmpswap v5, v[3:4], v[5:6], off glc
	s_waitcnt vmcnt(0)
	v_cmp_eq_u32_e32 vcc, v5, v6
	s_or_b64 s[4:5], vcc, s[4:5]
	v_mov_b32_e32 v6, v5
	s_andn2_b64 exec, exec, s[4:5]
	s_cbranch_execnz .LBB80_37
.LBB80_38:
	s_or_b64 exec, exec, s[2:3]
	v_fmac_f32_e32 v21, v11, v7
	v_fmac_f32_e32 v23, v11, v8
	;; [unrolled: 1-line block ×4, first 2 shown]
.LBB80_39:
	v_lshlrev_b32_e32 v3, 8, v19
	v_lshl_or_b32 v3, v1, 2, v3
	ds_write2_b32 v3, v21, v23 offset1:16
	ds_write2_b32 v3, v22, v2 offset0:32 offset1:48
	s_waitcnt lgkmcnt(0)
	s_barrier
	s_and_saveexec_b64 s[2:3], s[0:1]
	s_cbranch_execz .LBB80_42
; %bb.40:
	v_mad_u64_u32 v[2:3], s[0:1], s14, v0, 0
	v_mov_b32_e32 v5, s37
	v_add_u32_e32 v7, 1, v0
	v_mad_u64_u32 v[3:4], s[0:1], s15, v0, v[3:4]
	v_add_u32_e32 v8, 2, v0
	v_add_u32_e32 v9, 3, v0
	v_lshlrev_b64 v[2:3], 2, v[2:3]
	v_add_u32_e32 v10, 4, v0
	v_add_co_u32_e32 v2, vcc, s36, v2
	v_addc_co_u32_e32 v3, vcc, v5, v3, vcc
	global_load_dword v5, v[2:3], off
	v_add_u32_e32 v11, 5, v0
	v_add_u32_e32 v12, 6, v0
	;; [unrolled: 1-line block ×3, first 2 shown]
	v_lshlrev_b32_e32 v4, 6, v0
	v_and_b32_e32 v7, 15, v7
	v_and_b32_e32 v8, 15, v8
	;; [unrolled: 1-line block ×7, first 2 shown]
	v_lshl_or_b32 v6, v1, 2, v4
	v_lshl_or_b32 v7, v7, 2, v4
	;; [unrolled: 1-line block ×8, first 2 shown]
	ds_read_b32 v6, v6
	ds_read_b32 v7, v7
	;; [unrolled: 1-line block ×8, first 2 shown]
	s_waitcnt lgkmcnt(7)
	v_add_f32_e32 v6, 0, v6
	s_waitcnt lgkmcnt(6)
	v_add_f32_e32 v6, v6, v7
	;; [unrolled: 2-line block ×7, first 2 shown]
	v_add_u32_e32 v7, 9, v0
	v_add_u32_e32 v8, 10, v0
	;; [unrolled: 1-line block ×6, first 2 shown]
	v_add_u32_e32 v0, -1, v0
	v_xor_b32_e32 v1, 8, v1
	v_and_b32_e32 v7, 15, v7
	v_and_b32_e32 v8, 15, v8
	;; [unrolled: 1-line block ×6, first 2 shown]
	v_lshl_or_b32 v1, v1, 2, v4
	v_lshl_or_b32 v7, v7, 2, v4
	;; [unrolled: 1-line block ×6, first 2 shown]
	v_and_b32_e32 v12, 15, v12
	v_lshl_or_b32 v0, v0, 2, v4
	s_waitcnt lgkmcnt(0)
	v_add_f32_e32 v6, v6, v13
	v_lshl_or_b32 v12, v12, 2, v4
	ds_read_b32 v1, v1
	ds_read_b32 v4, v7
	;; [unrolled: 1-line block ×8, first 2 shown]
	s_waitcnt lgkmcnt(7)
	v_add_f32_e32 v1, v6, v1
	s_waitcnt lgkmcnt(6)
	v_add_f32_e32 v1, v1, v4
	;; [unrolled: 2-line block ×8, first 2 shown]
	v_mul_f32_e32 v0, s33, v0
	s_mov_b64 s[0:1], 0
.LBB80_41:                              ; =>This Inner Loop Header: Depth=1
	s_waitcnt vmcnt(0)
	v_add_f32_e32 v4, v5, v0
	global_atomic_cmpswap v1, v[2:3], v[4:5], off glc
	s_waitcnt vmcnt(0)
	v_cmp_eq_u32_e32 vcc, v1, v5
	s_or_b64 s[0:1], vcc, s[0:1]
	v_mov_b32_e32 v5, v1
	s_andn2_b64 exec, exec, s[0:1]
	s_cbranch_execnz .LBB80_41
.LBB80_42:
	s_endpgm
	.section	.rodata,"a",@progbits
	.p2align	6, 0x0
	.amdhsa_kernel _ZL62rocblas_symv_kernel_lower_double_buffered_non_diagonal_genericILi32ELi4ELi4E24rocblas_internal_val_ptrIfEPKfPfEvbiT2_lT3_lllS6_lllT4_lllii
		.amdhsa_group_segment_fixed_size 3200
		.amdhsa_private_segment_fixed_size 0
		.amdhsa_kernarg_size 384
		.amdhsa_user_sgpr_count 6
		.amdhsa_user_sgpr_private_segment_buffer 1
		.amdhsa_user_sgpr_dispatch_ptr 0
		.amdhsa_user_sgpr_queue_ptr 0
		.amdhsa_user_sgpr_kernarg_segment_ptr 1
		.amdhsa_user_sgpr_dispatch_id 0
		.amdhsa_user_sgpr_flat_scratch_init 0
		.amdhsa_user_sgpr_private_segment_size 0
		.amdhsa_uses_dynamic_stack 0
		.amdhsa_system_sgpr_private_segment_wavefront_offset 0
		.amdhsa_system_sgpr_workgroup_id_x 1
		.amdhsa_system_sgpr_workgroup_id_y 1
		.amdhsa_system_sgpr_workgroup_id_z 1
		.amdhsa_system_sgpr_workgroup_info 0
		.amdhsa_system_vgpr_workitem_id 1
		.amdhsa_next_free_vgpr 56
		.amdhsa_next_free_sgpr 61
		.amdhsa_reserve_vcc 1
		.amdhsa_reserve_flat_scratch 0
		.amdhsa_float_round_mode_32 0
		.amdhsa_float_round_mode_16_64 0
		.amdhsa_float_denorm_mode_32 3
		.amdhsa_float_denorm_mode_16_64 3
		.amdhsa_dx10_clamp 1
		.amdhsa_ieee_mode 1
		.amdhsa_fp16_overflow 0
		.amdhsa_exception_fp_ieee_invalid_op 0
		.amdhsa_exception_fp_denorm_src 0
		.amdhsa_exception_fp_ieee_div_zero 0
		.amdhsa_exception_fp_ieee_overflow 0
		.amdhsa_exception_fp_ieee_underflow 0
		.amdhsa_exception_fp_ieee_inexact 0
		.amdhsa_exception_int_div_zero 0
	.end_amdhsa_kernel
	.section	.text._ZL62rocblas_symv_kernel_lower_double_buffered_non_diagonal_genericILi32ELi4ELi4E24rocblas_internal_val_ptrIfEPKfPfEvbiT2_lT3_lllS6_lllT4_lllii,"axG",@progbits,_ZL62rocblas_symv_kernel_lower_double_buffered_non_diagonal_genericILi32ELi4ELi4E24rocblas_internal_val_ptrIfEPKfPfEvbiT2_lT3_lllS6_lllT4_lllii,comdat
.Lfunc_end80:
	.size	_ZL62rocblas_symv_kernel_lower_double_buffered_non_diagonal_genericILi32ELi4ELi4E24rocblas_internal_val_ptrIfEPKfPfEvbiT2_lT3_lllS6_lllT4_lllii, .Lfunc_end80-_ZL62rocblas_symv_kernel_lower_double_buffered_non_diagonal_genericILi32ELi4ELi4E24rocblas_internal_val_ptrIfEPKfPfEvbiT2_lT3_lllS6_lllT4_lllii
                                        ; -- End function
	.set _ZL62rocblas_symv_kernel_lower_double_buffered_non_diagonal_genericILi32ELi4ELi4E24rocblas_internal_val_ptrIfEPKfPfEvbiT2_lT3_lllS6_lllT4_lllii.num_vgpr, 56
	.set _ZL62rocblas_symv_kernel_lower_double_buffered_non_diagonal_genericILi32ELi4ELi4E24rocblas_internal_val_ptrIfEPKfPfEvbiT2_lT3_lllS6_lllT4_lllii.num_agpr, 0
	.set _ZL62rocblas_symv_kernel_lower_double_buffered_non_diagonal_genericILi32ELi4ELi4E24rocblas_internal_val_ptrIfEPKfPfEvbiT2_lT3_lllS6_lllT4_lllii.numbered_sgpr, 41
	.set _ZL62rocblas_symv_kernel_lower_double_buffered_non_diagonal_genericILi32ELi4ELi4E24rocblas_internal_val_ptrIfEPKfPfEvbiT2_lT3_lllS6_lllT4_lllii.num_named_barrier, 0
	.set _ZL62rocblas_symv_kernel_lower_double_buffered_non_diagonal_genericILi32ELi4ELi4E24rocblas_internal_val_ptrIfEPKfPfEvbiT2_lT3_lllS6_lllT4_lllii.private_seg_size, 0
	.set _ZL62rocblas_symv_kernel_lower_double_buffered_non_diagonal_genericILi32ELi4ELi4E24rocblas_internal_val_ptrIfEPKfPfEvbiT2_lT3_lllS6_lllT4_lllii.uses_vcc, 1
	.set _ZL62rocblas_symv_kernel_lower_double_buffered_non_diagonal_genericILi32ELi4ELi4E24rocblas_internal_val_ptrIfEPKfPfEvbiT2_lT3_lllS6_lllT4_lllii.uses_flat_scratch, 0
	.set _ZL62rocblas_symv_kernel_lower_double_buffered_non_diagonal_genericILi32ELi4ELi4E24rocblas_internal_val_ptrIfEPKfPfEvbiT2_lT3_lllS6_lllT4_lllii.has_dyn_sized_stack, 0
	.set _ZL62rocblas_symv_kernel_lower_double_buffered_non_diagonal_genericILi32ELi4ELi4E24rocblas_internal_val_ptrIfEPKfPfEvbiT2_lT3_lllS6_lllT4_lllii.has_recursion, 0
	.set _ZL62rocblas_symv_kernel_lower_double_buffered_non_diagonal_genericILi32ELi4ELi4E24rocblas_internal_val_ptrIfEPKfPfEvbiT2_lT3_lllS6_lllT4_lllii.has_indirect_call, 0
	.section	.AMDGPU.csdata,"",@progbits
; Kernel info:
; codeLenInByte = 3736
; TotalNumSgprs: 45
; NumVgprs: 56
; ScratchSize: 0
; MemoryBound: 0
; FloatMode: 240
; IeeeMode: 1
; LDSByteSize: 3200 bytes/workgroup (compile time only)
; SGPRBlocks: 8
; VGPRBlocks: 13
; NumSGPRsForWavesPerEU: 65
; NumVGPRsForWavesPerEU: 56
; Occupancy: 4
; WaveLimiterHint : 0
; COMPUTE_PGM_RSRC2:SCRATCH_EN: 0
; COMPUTE_PGM_RSRC2:USER_SGPR: 6
; COMPUTE_PGM_RSRC2:TRAP_HANDLER: 0
; COMPUTE_PGM_RSRC2:TGID_X_EN: 1
; COMPUTE_PGM_RSRC2:TGID_Y_EN: 1
; COMPUTE_PGM_RSRC2:TGID_Z_EN: 1
; COMPUTE_PGM_RSRC2:TIDIG_COMP_CNT: 1
	.section	.text._ZL26rocblas_hemvn_kernel_lowerILb0ELi64ELi4ELi33ELi32ELi16ElPKfS1_PfEviT6_lT7_lT5_lS4_lS5_lS3_lT8_i,"axG",@progbits,_ZL26rocblas_hemvn_kernel_lowerILb0ELi64ELi4ELi33ELi32ELi16ElPKfS1_PfEviT6_lT7_lT5_lS4_lS5_lS3_lT8_i,comdat
	.globl	_ZL26rocblas_hemvn_kernel_lowerILb0ELi64ELi4ELi33ELi32ELi16ElPKfS1_PfEviT6_lT7_lT5_lS4_lS5_lS3_lT8_i ; -- Begin function _ZL26rocblas_hemvn_kernel_lowerILb0ELi64ELi4ELi33ELi32ELi16ElPKfS1_PfEviT6_lT7_lT5_lS4_lS5_lS3_lT8_i
	.p2align	8
	.type	_ZL26rocblas_hemvn_kernel_lowerILb0ELi64ELi4ELi33ELi32ELi16ElPKfS1_PfEviT6_lT7_lT5_lS4_lS5_lS3_lT8_i,@function
_ZL26rocblas_hemvn_kernel_lowerILb0ELi64ELi4ELi33ELi32ELi16ElPKfS1_PfEviT6_lT7_lT5_lS4_lS5_lS3_lT8_i: ; @_ZL26rocblas_hemvn_kernel_lowerILb0ELi64ELi4ELi33ELi32ELi16ElPKfS1_PfEviT6_lT7_lT5_lS4_lS5_lS3_lT8_i
; %bb.0:
	s_load_dwordx2 s[2:3], s[4:5], 0x84
	s_add_u32 s0, s4, 0x78
	s_addc_u32 s1, s5, 0
	s_waitcnt lgkmcnt(0)
	s_lshr_b32 s8, s2, 16
	s_and_b32 s2, s2, 0xffff
	s_and_b32 s3, s3, 0xffff
	s_mul_i32 s2, s8, s2
	s_mul_i32 s2, s2, s3
	s_cmpk_lg_i32 s2, 0x100
	s_cbranch_scc1 .LBB81_78
; %bb.1:
	s_load_dwordx16 s[12:27], s[4:5], 0x8
	s_load_dwordx8 s[36:43], s[4:5], 0x48
	s_waitcnt lgkmcnt(0)
	s_mul_i32 s3, s15, s7
	s_mul_hi_u32 s8, s14, s7
	s_mul_i32 s2, s14, s7
	s_add_i32 s3, s8, s3
	s_lshl_b64 s[2:3], s[2:3], 2
	s_add_u32 s2, s12, s2
	s_addc_u32 s3, s13, s3
	s_mul_i32 s9, s43, s7
	s_load_dword s8, s[2:3], 0x0
	s_mul_hi_u32 s2, s42, s7
	s_add_i32 s3, s2, s9
	s_mul_i32 s2, s42, s7
	s_lshl_b64 s[2:3], s[2:3], 2
	s_add_u32 s2, s40, s2
	s_addc_u32 s3, s41, s3
	s_load_dword s9, s[2:3], 0x0
	s_waitcnt lgkmcnt(0)
	v_cmp_eq_f32_e64 s[2:3], s8, 0
	v_cmp_eq_f32_e64 s[8:9], s9, 1.0
	s_and_b64 s[8:9], s[2:3], s[8:9]
	s_and_b64 vcc, exec, s[8:9]
	s_cbranch_vccnz .LBB81_78
; %bb.2:
	s_and_b64 vcc, exec, s[2:3]
	s_cbranch_vccnz .LBB81_78
; %bb.3:
	s_load_dword s44, s[0:1], 0x0
	s_load_dwordx2 s[28:29], s[4:5], 0x68
	s_load_dword s33, s[4:5], 0x0
	s_mul_i32 s0, s39, s7
	s_mul_hi_u32 s1, s38, s7
	s_add_i32 s1, s1, s0
	s_mul_i32 s0, s38, s7
	s_lshl_b64 s[0:1], s[0:1], 2
	s_add_u32 s2, s24, s0
	s_addc_u32 s3, s25, s1
	s_lshl_b64 s[0:1], s[26:27], 2
	s_add_u32 s2, s2, s0
	s_addc_u32 s3, s3, s1
	s_lshl_b32 s26, s6, 6
	s_waitcnt lgkmcnt(0)
	s_ashr_i32 s45, s33, 31
	s_lshr_b32 s0, s45, 26
	v_add_u32_e32 v18, s26, v0
	s_add_i32 s0, s33, s0
	v_ashrrev_i32_e32 v19, 31, v18
	s_and_b32 s5, s0, 0xffffffc0
	v_mul_lo_u32 v4, s36, v19
	v_mul_lo_u32 v5, s37, v18
	v_mad_u64_u32 v[2:3], s[0:1], s36, v18, 0
	s_add_i32 s4, s44, -1
	s_sub_i32 s0, s33, s5
	v_add3_u32 v3, v3, v4, v5
	v_lshlrev_b64 v[2:3], 2, v[2:3]
	s_cmp_eq_u32 s6, s4
	v_mov_b32_e32 v4, s3
	v_add_co_u32_e32 v6, vcc, s2, v2
	s_cselect_b32 s24, s0, 0
	v_addc_co_u32_e32 v7, vcc, v4, v3, vcc
	v_cmp_ne_u32_e64 s[0:1], 0, v1
	v_cmp_eq_u32_e64 s[2:3], 0, v1
	s_and_saveexec_b64 s[4:5], s[2:3]
	s_cbranch_execz .LBB81_7
; %bb.4:
	s_cmp_eq_u32 s24, 0
	s_cselect_b64 s[8:9], -1, 0
	v_cmp_gt_i32_e32 vcc, s24, v0
	s_or_b64 s[10:11], s[8:9], vcc
	v_mov_b32_e32 v2, 0
	s_and_saveexec_b64 s[8:9], s[10:11]
	s_cbranch_execz .LBB81_6
; %bb.5:
	global_load_dword v2, v[6:7], off
.LBB81_6:
	s_or_b64 exec, exec, s[8:9]
	v_lshlrev_b32_e32 v3, 2, v0
	s_waitcnt vmcnt(0)
	ds_write_b32 v3, v2 offset:4544
.LBB81_7:
	s_or_b64 exec, exec, s[4:5]
	v_lshl_add_u32 v16, v1, 6, v0
	s_mul_i32 s4, s23, s7
	s_mul_hi_u32 s5, s22, s7
	v_and_b32_e32 v2, 31, v0
	v_lshrrev_b32_e32 v5, 5, v16
	s_add_i32 s5, s5, s4
	s_mul_i32 s4, s22, s7
	v_mov_b32_e32 v3, 0
	s_lshl_b64 s[4:5], s[4:5], 2
	v_mad_u64_u32 v[3:4], s[8:9], s20, v5, v[2:3]
	s_add_u32 s10, s16, s4
	s_addc_u32 s11, s17, s5
	s_lshl_b64 s[4:5], s[18:19], 2
	s_add_u32 s8, s10, s4
	s_addc_u32 s9, s11, s5
	v_mad_u64_u32 v[8:9], s[4:5], s21, v5, v[4:5]
	s_ashr_i32 s27, s26, 31
	s_lshl_b64 s[4:5], s[26:27], 2
	v_mov_b32_e32 v4, v8
	s_add_u32 s4, s8, s4
	v_lshlrev_b64 v[8:9], 2, v[3:4]
	s_addc_u32 s5, s9, s5
	v_mov_b32_e32 v3, s5
	v_add_co_u32_e32 v4, vcc, s4, v8
	s_mul_hi_u32 s4, s20, s26
	s_mul_i32 s5, s20, s27
	s_add_i32 s4, s4, s5
	s_mul_i32 s5, s21, s26
	s_add_i32 s5, s4, s5
	s_mul_i32 s4, s20, s26
	v_addc_co_u32_e32 v10, vcc, v3, v9, vcc
	s_lshl_b64 s[30:31], s[4:5], 2
	v_mov_b32_e32 v11, s31
	v_add_co_u32_e32 v3, vcc, s30, v4
	s_cmp_lg_u32 s24, 0
	v_addc_co_u32_e32 v4, vcc, v10, v11, vcc
	s_cselect_b64 s[34:35], -1, 0
	s_cmp_eq_u32 s24, 0
	s_cselect_b64 s[16:17], -1, 0
	s_mov_b64 s[4:5], -1
	s_and_b64 vcc, exec, s[34:35]
	s_cbranch_vccnz .LBB81_9
; %bb.8:
	s_lshl_b64 s[4:5], s[20:21], 5
	v_mov_b32_e32 v15, s5
	v_add_co_u32_e32 v10, vcc, s4, v3
	v_addc_co_u32_e32 v11, vcc, v4, v15, vcc
	v_add_co_u32_e32 v12, vcc, s4, v10
	v_addc_co_u32_e32 v13, vcc, v11, v15, vcc
	;; [unrolled: 2-line block ×3, first 2 shown]
	global_load_dword v17, v[3:4], off
	global_load_dword v20, v[10:11], off
	;; [unrolled: 1-line block ×4, first 2 shown]
	v_mul_u32_u24_e32 v10, 0x84, v5
	v_lshl_add_u32 v10, v2, 2, v10
	s_mov_b64 s[4:5], 0
	s_waitcnt vmcnt(3)
	ds_write_b32 v10, v17
	s_waitcnt vmcnt(2)
	ds_write_b32 v10, v20 offset:1056
	s_waitcnt vmcnt(1)
	ds_write_b32 v10, v21 offset:2112
	;; [unrolled: 2-line block ×3, first 2 shown]
.LBB81_9:
	s_andn2_b64 vcc, exec, s[4:5]
	s_cbranch_vccnz .LBB81_19
; %bb.10:
	v_lshlrev_b32_e32 v12, 2, v2
	v_sub_co_u32_e32 v10, vcc, v3, v12
	s_ashr_i32 s25, s24, 31
	v_subbrev_co_u32_e32 v11, vcc, 0, v4, vcc
	s_lshl_b64 s[8:9], s[24:25], 2
	v_mov_b32_e32 v14, s9
	v_add_co_u32_e32 v10, vcc, s8, v10
	v_addc_co_u32_e32 v11, vcc, v11, v14, vcc
	v_add_co_u32_e32 v10, vcc, -4, v10
	v_addc_co_u32_e32 v11, vcc, -1, v11, vcc
	v_cmp_gt_i32_e32 vcc, s24, v2
	v_mov_b32_e32 v13, 0
	v_cndmask_b32_e32 v11, v11, v4, vcc
	v_cndmask_b32_e32 v10, v10, v3, vcc
	v_cmp_gt_i32_e64 s[4:5], s24, v5
	v_mov_b32_e32 v17, 0
	s_and_saveexec_b64 s[10:11], s[4:5]
	s_cbranch_execz .LBB81_12
; %bb.11:
	global_load_dword v17, v[10:11], off
.LBB81_12:
	s_or_b64 exec, exec, s[10:11]
	v_lshlrev_b32_e32 v14, 2, v2
	s_movk_i32 s4, 0x84
	v_mad_u32_u24 v20, v5, s4, v14
	s_waitcnt vmcnt(0)
	ds_write_b32 v20, v17
	v_add_u32_e32 v17, 8, v5
	v_mul_u32_u24_e32 v15, 0x84, v5
	v_cmp_gt_i32_e64 s[4:5], s24, v17
	s_and_saveexec_b64 s[10:11], s[4:5]
	s_cbranch_execz .LBB81_14
; %bb.13:
	s_lshl_b64 s[4:5], s[20:21], 5
	v_mov_b32_e32 v13, s5
	v_add_co_u32_e64 v20, s[4:5], s4, v10
	v_addc_co_u32_e64 v21, s[4:5], v11, v13, s[4:5]
	global_load_dword v13, v[20:21], off
.LBB81_14:
	s_or_b64 exec, exec, s[10:11]
	v_add_u32_e32 v14, v15, v14
	s_waitcnt vmcnt(0)
	ds_write_b32 v14, v13 offset:1056
	v_add_u32_e32 v13, 16, v5
	v_cmp_gt_i32_e64 s[4:5], s24, v13
	v_mov_b32_e32 v13, 0
	v_mov_b32_e32 v15, 0
	s_and_saveexec_b64 s[10:11], s[4:5]
	s_cbranch_execz .LBB81_16
; %bb.15:
	s_lshl_b64 s[4:5], s[20:21], 6
	v_mov_b32_e32 v15, s5
	v_add_co_u32_e64 v20, s[4:5], s4, v10
	v_addc_co_u32_e64 v21, s[4:5], v11, v15, s[4:5]
	global_load_dword v15, v[20:21], off
.LBB81_16:
	s_or_b64 exec, exec, s[10:11]
	s_waitcnt vmcnt(0)
	ds_write_b32 v14, v15 offset:2112
	v_add_u32_e32 v15, 24, v5
	v_cmp_gt_i32_e64 s[4:5], s24, v15
	s_and_saveexec_b64 s[10:11], s[4:5]
	s_cbranch_execz .LBB81_18
; %bb.17:
	v_mov_b32_e32 v13, 0x60
	v_mad_u64_u32 v[20:21], s[4:5], s20, v13, v[10:11]
	s_mul_i32 s4, s21, 0x60
	v_add_u32_e32 v21, s4, v21
	global_load_dword v13, v[20:21], off
.LBB81_18:
	s_or_b64 exec, exec, s[10:11]
	v_add_co_u32_e64 v10, s[4:5], v10, v12
	v_addc_co_u32_e64 v11, s[4:5], 0, v11, s[4:5]
	v_mov_b32_e32 v12, s9
	v_subrev_co_u32_e64 v10, s[4:5], s8, v10
	v_subb_co_u32_e64 v11, s[4:5], v11, v12, s[4:5]
	v_add_co_u32_e64 v10, s[4:5], 4, v10
	v_addc_co_u32_e64 v11, s[4:5], 0, v11, s[4:5]
	v_cndmask_b32_e32 v4, v11, v4, vcc
	v_cndmask_b32_e32 v3, v10, v3, vcc
	s_waitcnt vmcnt(0)
	ds_write_b32 v14, v13 offset:3168
.LBB81_19:
	v_lshlrev_b32_e32 v12, 2, v5
	v_lshlrev_b32_e32 v13, 2, v2
	v_lshl_or_b32 v11, v2, 7, v13
	v_cmp_lt_u32_e64 s[18:19], v12, v2
	s_waitcnt lgkmcnt(0)
	s_barrier
	s_and_saveexec_b64 s[4:5], s[18:19]
	s_cbranch_execz .LBB81_21
; %bb.20:
	s_movk_i32 s8, 0x210
	v_mad_u32_u24 v10, v5, s8, v13
	ds_read_b32 v10, v10
	v_lshl_add_u32 v14, v12, 2, v11
	s_waitcnt lgkmcnt(0)
	ds_write_b32 v14, v10
.LBB81_21:
	s_or_b64 exec, exec, s[4:5]
	v_or_b32_e32 v10, 1, v12
	v_cmp_lt_u32_e64 s[8:9], v10, v2
	s_and_saveexec_b64 s[4:5], s[8:9]
	s_cbranch_execz .LBB81_23
; %bb.22:
	s_movk_i32 s10, 0x84
	v_mad_u32_u24 v14, v10, s10, v13
	ds_read_b32 v14, v14
	v_lshl_add_u32 v15, v12, 2, v11
	s_waitcnt lgkmcnt(0)
	ds_write_b32 v15, v14 offset:4
.LBB81_23:
	s_or_b64 exec, exec, s[4:5]
	v_or_b32_e32 v14, 2, v12
	v_cmp_lt_u32_e64 s[10:11], v14, v2
	s_and_saveexec_b64 s[4:5], s[10:11]
	s_cbranch_execz .LBB81_25
; %bb.24:
	s_movk_i32 s12, 0x84
	v_mad_u32_u24 v14, v14, s12, v13
	ds_read_b32 v14, v14
	v_lshl_add_u32 v15, v12, 2, v11
	s_waitcnt lgkmcnt(0)
	ds_write_b32 v15, v14 offset:8
.LBB81_25:
	s_or_b64 exec, exec, s[4:5]
	v_or_b32_e32 v15, 3, v12
	v_cmp_lt_u32_e64 s[12:13], v15, v2
	v_cmp_ge_u32_e32 vcc, v15, v2
                                        ; implicit-def: $vgpr14
	s_and_saveexec_b64 s[4:5], vcc
	s_xor_b64 s[4:5], exec, s[4:5]
; %bb.26:
	v_mul_u32_u24_e32 v14, 0x84, v15
                                        ; implicit-def: $vgpr11
                                        ; implicit-def: $vgpr15
; %bb.27:
	s_andn2_saveexec_b64 s[4:5], s[4:5]
	s_cbranch_execz .LBB81_29
; %bb.28:
	s_movk_i32 s14, 0x84
	v_mad_u32_u24 v14, v15, s14, v13
	ds_read_b32 v17, v14
	v_lshl_add_u32 v11, v12, 2, v11
	v_mul_u32_u24_e32 v14, 0x84, v15
	s_waitcnt lgkmcnt(0)
	ds_write_b32 v11, v17 offset:12
.LBB81_29:
	s_or_b64 exec, exec, s[4:5]
	s_movk_i32 s4, 0x210
	v_mad_u32_u24 v11, v5, s4, v13
	s_movk_i32 s4, 0x84
	s_waitcnt lgkmcnt(0)
	s_barrier
	v_lshlrev_b32_e32 v21, 2, v12
	ds_read_b32 v15, v11
	ds_read_b128 v[25:28], v21 offset:4544
	v_mad_u32_u24 v11, v10, s4, v13
	ds_read2_b32 v[22:23], v11 offset1:33
	v_add_u32_e32 v11, v13, v14
	ds_read_b32 v14, v11
	s_waitcnt lgkmcnt(2)
	v_fma_f32 v15, v15, v25, 0
	v_mov_b32_e32 v24, 0
	s_waitcnt lgkmcnt(1)
	v_fmac_f32_e32 v15, v22, v26
	v_fmac_f32_e32 v15, v23, v27
	s_waitcnt lgkmcnt(0)
	v_fmac_f32_e32 v15, v14, v28
	v_mul_u32_u24_e32 v14, 33, v2
	v_lshlrev_b32_e32 v17, 2, v14
	v_lshl_add_u32 v20, v5, 2, v17
	v_cmp_gt_u32_e64 s[4:5], 32, v16
	s_barrier
	ds_write_b32 v20, v15
	s_waitcnt lgkmcnt(0)
	s_barrier
	s_and_saveexec_b64 s[14:15], s[4:5]
	s_cbranch_execz .LBB81_31
; %bb.30:
	ds_read2_b32 v[14:15], v17 offset1:1
	s_waitcnt lgkmcnt(0)
	v_add_f32_e32 v22, v14, v15
	ds_read2_b32 v[14:15], v17 offset0:2 offset1:3
	s_waitcnt lgkmcnt(0)
	v_add_f32_e32 v14, v22, v14
	v_add_f32_e32 v22, v14, v15
	ds_read2_b32 v[14:15], v17 offset0:4 offset1:5
	s_waitcnt lgkmcnt(0)
	v_add_f32_e32 v14, v22, v14
	;; [unrolled: 4-line block ×3, first 2 shown]
	v_add_f32_e32 v24, v14, v15
.LBB81_31:
	s_or_b64 exec, exec, s[14:15]
	s_lshl_b64 s[22:23], s[20:21], 7
	v_mov_b32_e32 v14, s23
	v_add_co_u32_e32 v3, vcc, s22, v3
	v_addc_co_u32_e32 v4, vcc, v4, v14, vcc
	v_add_co_u32_e32 v14, vcc, 0x80, v3
	v_addc_co_u32_e32 v15, vcc, 0, v4, vcc
	v_cndmask_b32_e64 v22, 0, 1, s[16:17]
	s_lshl_b64 s[38:39], s[20:21], 5
	v_cmp_ne_u32_e64 s[14:15], 1, v22
	s_andn2_b64 vcc, exec, s[16:17]
	s_mov_b64 s[16:17], -1
	s_barrier
	s_cbranch_vccnz .LBB81_33
; %bb.32:
	global_load_dword v22, v[3:4], off offset:128
	s_movk_i32 s16, 0x84
	v_mad_u32_u24 v25, v5, s16, v13
	v_mov_b32_e32 v26, s39
	s_mov_b64 s[16:17], 0
	s_waitcnt vmcnt(0)
	ds_write_b32 v25, v22
	v_add_co_u32_e32 v22, vcc, s38, v3
	v_addc_co_u32_e32 v23, vcc, v4, v26, vcc
	global_load_dword v27, v[22:23], off offset:128
	v_add_co_u32_e32 v22, vcc, s38, v22
	v_addc_co_u32_e32 v23, vcc, v23, v26, vcc
	s_waitcnt vmcnt(0)
	ds_write_b32 v25, v27 offset:1056
	global_load_dword v27, v[22:23], off offset:128
	v_add_co_u32_e32 v22, vcc, s38, v22
	v_addc_co_u32_e32 v23, vcc, v23, v26, vcc
	global_load_dword v22, v[22:23], off offset:128
	s_waitcnt vmcnt(1)
	ds_write_b32 v25, v27 offset:2112
	s_waitcnt vmcnt(0)
	ds_write_b32 v25, v22 offset:3168
.LBB81_33:
	s_andn2_b64 vcc, exec, s[16:17]
	s_cbranch_vccnz .LBB81_43
; %bb.34:
	v_lshlrev_b32_e32 v22, 2, v2
	v_sub_co_u32_e32 v3, vcc, v3, v22
	s_ashr_i32 s25, s24, 31
	v_subbrev_co_u32_e32 v4, vcc, 0, v4, vcc
	s_lshl_b64 s[40:41], s[24:25], 2
	v_mov_b32_e32 v26, s41
	v_add_co_u32_e32 v3, vcc, s40, v3
	v_addc_co_u32_e32 v4, vcc, v4, v26, vcc
	v_or_b32_e32 v25, 32, v2
	v_add_co_u32_e32 v3, vcc, -4, v3
	v_addc_co_u32_e32 v4, vcc, -1, v4, vcc
	v_cmp_gt_i32_e64 s[16:17], s24, v25
	s_sub_i32 s25, s24, 32
	v_mov_b32_e32 v23, 0
	v_cndmask_b32_e64 v4, v4, v15, s[16:17]
	v_cndmask_b32_e64 v3, v3, v14, s[16:17]
	v_cmp_gt_i32_e32 vcc, s25, v5
	v_mov_b32_e32 v26, 0
	s_and_saveexec_b64 s[42:43], vcc
	s_cbranch_execz .LBB81_36
; %bb.35:
	global_load_dword v26, v[3:4], off
.LBB81_36:
	s_or_b64 exec, exec, s[42:43]
	s_movk_i32 s42, 0x84
	v_mad_u32_u24 v27, v5, s42, v13
	s_waitcnt vmcnt(0)
	ds_write_b32 v27, v26
	v_add_u32_e32 v26, 8, v5
	v_mul_u32_u24_e32 v25, 0x84, v5
	v_cmp_gt_i32_e32 vcc, s25, v26
	s_and_saveexec_b64 s[42:43], vcc
	s_cbranch_execz .LBB81_38
; %bb.37:
	v_mov_b32_e32 v23, s39
	v_add_co_u32_e32 v26, vcc, s38, v3
	v_addc_co_u32_e32 v27, vcc, v4, v23, vcc
	global_load_dword v23, v[26:27], off
.LBB81_38:
	s_or_b64 exec, exec, s[42:43]
	v_add_u32_e32 v25, v25, v13
	s_waitcnt vmcnt(0)
	ds_write_b32 v25, v23 offset:1056
	v_add_u32_e32 v23, 16, v5
	v_cmp_gt_i32_e32 vcc, s25, v23
	v_mov_b32_e32 v23, 0
	v_mov_b32_e32 v26, 0
	s_and_saveexec_b64 s[42:43], vcc
	s_cbranch_execz .LBB81_40
; %bb.39:
	s_lshl_b64 s[46:47], s[20:21], 6
	v_mov_b32_e32 v27, s47
	v_add_co_u32_e32 v26, vcc, s46, v3
	v_addc_co_u32_e32 v27, vcc, v4, v27, vcc
	global_load_dword v26, v[26:27], off
.LBB81_40:
	s_or_b64 exec, exec, s[42:43]
	s_waitcnt vmcnt(0)
	ds_write_b32 v25, v26 offset:2112
	v_add_u32_e32 v26, 24, v5
	v_cmp_gt_i32_e32 vcc, s25, v26
	s_and_saveexec_b64 s[42:43], vcc
	s_cbranch_execz .LBB81_42
; %bb.41:
	v_mov_b32_e32 v23, 0x60
	v_mad_u64_u32 v[26:27], s[46:47], s20, v23, v[3:4]
	s_mul_i32 s25, s21, 0x60
	v_add_u32_e32 v27, s25, v27
	global_load_dword v23, v[26:27], off
.LBB81_42:
	s_or_b64 exec, exec, s[42:43]
	v_add_co_u32_e32 v3, vcc, v3, v22
	v_addc_co_u32_e32 v4, vcc, 0, v4, vcc
	v_mov_b32_e32 v22, s41
	v_subrev_co_u32_e32 v3, vcc, s40, v3
	v_subb_co_u32_e32 v4, vcc, v4, v22, vcc
	v_add_co_u32_e32 v3, vcc, 0x84, v3
	v_addc_co_u32_e32 v4, vcc, 0, v4, vcc
	v_cndmask_b32_e64 v15, v4, v15, s[16:17]
	v_cndmask_b32_e64 v14, v3, v14, s[16:17]
	s_waitcnt vmcnt(0)
	ds_write_b32 v25, v23 offset:3168
.LBB81_43:
	v_mul_u32_u24_e32 v3, 0x210, v5
	v_add_u32_e32 v4, 0x11c0, v21
	v_mul_u32_u24_e32 v10, 0x84, v10
	v_add_u32_e32 v3, v13, v3
	s_waitcnt lgkmcnt(0)
	s_barrier
	s_and_saveexec_b64 s[16:17], s[18:19]
	s_cbranch_execnz .LBB81_52
; %bb.44:
	s_or_b64 exec, exec, s[16:17]
	v_add_u32_e32 v10, v13, v10
	s_and_saveexec_b64 s[16:17], s[8:9]
	s_cbranch_execnz .LBB81_53
.LBB81_45:
	s_or_b64 exec, exec, s[16:17]
	s_and_saveexec_b64 s[8:9], s[10:11]
	s_cbranch_execnz .LBB81_54
.LBB81_46:
	s_or_b64 exec, exec, s[8:9]
	s_and_saveexec_b64 s[8:9], s[12:13]
	s_cbranch_execz .LBB81_48
.LBB81_47:
	ds_read_b32 v21, v11
	v_lshl_add_u32 v22, v12, 2, v17
	s_waitcnt lgkmcnt(0)
	ds_write_b32 v22, v21 offset:12
.LBB81_48:
	s_or_b64 exec, exec, s[8:9]
	s_waitcnt lgkmcnt(0)
	s_barrier
	ds_read_b32 v3, v3
	ds_read_b128 v[25:28], v4 offset:128
	ds_read2_b32 v[21:22], v10 offset1:33
	ds_read_b32 v10, v11
	v_cmp_eq_u32_e64 s[10:11], 1, v5
	s_waitcnt lgkmcnt(0)
	v_fma_f32 v3, v3, v25, 0
	v_fmac_f32_e32 v3, v21, v26
	v_fmac_f32_e32 v3, v22, v27
	;; [unrolled: 1-line block ×3, first 2 shown]
	s_barrier
	ds_write_b32 v20, v3
	s_waitcnt lgkmcnt(0)
	s_barrier
	s_and_saveexec_b64 s[8:9], s[10:11]
	s_cbranch_execz .LBB81_50
; %bb.49:
	ds_read2_b32 v[10:11], v17 offset1:1
	ds_read2_b32 v[21:22], v17 offset0:2 offset1:3
	ds_read2_b32 v[23:24], v17 offset0:4 offset1:5
	;; [unrolled: 1-line block ×3, first 2 shown]
	s_waitcnt lgkmcnt(3)
	v_add_f32_e32 v3, v10, v11
	s_waitcnt lgkmcnt(2)
	v_add_f32_e32 v3, v3, v21
	v_add_f32_e32 v3, v3, v22
	s_waitcnt lgkmcnt(1)
	v_add_f32_e32 v3, v3, v23
	v_add_f32_e32 v3, v3, v24
	s_waitcnt lgkmcnt(0)
	v_add_f32_e32 v3, v3, v25
	v_add_f32_e32 v24, v3, v26
.LBB81_50:
	s_or_b64 exec, exec, s[8:9]
	s_lshl_b64 s[8:9], s[38:39], 2
	v_mov_b32_e32 v3, s9
	v_subrev_co_u32_e64 v10, s[8:9], s8, v14
	s_and_b64 vcc, exec, s[14:15]
	v_subb_co_u32_e64 v11, s[8:9], v15, v3, s[8:9]
	s_barrier
	s_cbranch_vccnz .LBB81_55
; %bb.51:
	global_load_dword v3, v[10:11], off
	s_movk_i32 s8, 0x84
	v_mad_u32_u24 v15, v5, s8, v13
	v_add_co_u32_e32 v22, vcc, s38, v10
	v_mov_b32_e32 v21, 0x420
	v_mad_u32_u24 v21, v5, s8, v21
	v_add_u32_e32 v26, v13, v21
	v_mul_u32_u24_e32 v14, 0x84, v5
	s_waitcnt vmcnt(0)
	ds_write_b32 v15, v3
	v_mov_b32_e32 v3, s39
	v_addc_co_u32_e32 v23, vcc, v11, v3, vcc
	global_load_dword v25, v[22:23], off
	v_add_u32_e32 v15, 8, v5
	s_waitcnt vmcnt(0)
	ds_write_b32 v26, v25
	v_add_co_u32_e32 v25, vcc, s38, v22
	v_addc_co_u32_e32 v26, vcc, v23, v3, vcc
	global_load_dword v27, v[25:26], off
	v_add_co_u32_e32 v25, vcc, s38, v25
	v_addc_co_u32_e32 v26, vcc, v26, v3, vcc
	global_load_dword v3, v[25:26], off
	v_mov_b32_e32 v23, 0x840
	v_mad_u32_u24 v23, v5, s8, v23
	v_add_u32_e32 v28, v13, v23
	v_mov_b32_e32 v26, 0xc60
	v_add_u32_e32 v22, 16, v5
	v_add_u32_e32 v25, 24, v5
	s_waitcnt vmcnt(1)
	ds_write_b32 v28, v27
	v_mad_u32_u24 v27, v5, s8, v26
	v_add_u32_e32 v26, v13, v27
	s_waitcnt vmcnt(0)
	ds_write_b32 v26, v3
	s_cbranch_execz .LBB81_56
	s_branch .LBB81_65
.LBB81_52:
	ds_read_b32 v21, v3
	v_lshl_add_u32 v22, v12, 2, v17
	s_waitcnt lgkmcnt(0)
	ds_write_b32 v22, v21
	s_or_b64 exec, exec, s[16:17]
	v_add_u32_e32 v10, v13, v10
	s_and_saveexec_b64 s[16:17], s[8:9]
	s_cbranch_execz .LBB81_45
.LBB81_53:
	ds_read_b32 v21, v10
	v_lshl_add_u32 v22, v12, 2, v17
	s_waitcnt lgkmcnt(0)
	ds_write_b32 v22, v21 offset:4
	s_or_b64 exec, exec, s[16:17]
	s_and_saveexec_b64 s[8:9], s[10:11]
	s_cbranch_execz .LBB81_46
.LBB81_54:
	ds_read_b32 v21, v10 offset:132
	v_lshl_add_u32 v22, v12, 2, v17
	s_waitcnt lgkmcnt(0)
	ds_write_b32 v22, v21 offset:8
	s_or_b64 exec, exec, s[8:9]
	s_and_saveexec_b64 s[8:9], s[12:13]
	s_cbranch_execnz .LBB81_47
	s_branch .LBB81_48
.LBB81_55:
                                        ; implicit-def: $vgpr14
                                        ; implicit-def: $vgpr15
                                        ; implicit-def: $vgpr21
                                        ; implicit-def: $vgpr22
                                        ; implicit-def: $vgpr23
                                        ; implicit-def: $vgpr25
                                        ; implicit-def: $vgpr27
.LBB81_56:
	v_lshlrev_b32_e32 v26, 2, v2
	v_or_b32_e32 v3, 32, v2
	v_sub_co_u32_e32 v2, vcc, v10, v26
	s_ashr_i32 s25, s24, 31
	v_subbrev_co_u32_e32 v14, vcc, 0, v11, vcc
	s_lshl_b64 s[12:13], s[24:25], 2
	v_mov_b32_e32 v15, s13
	v_add_co_u32_e32 v2, vcc, s12, v2
	v_addc_co_u32_e32 v14, vcc, v14, v15, vcc
	v_add_co_u32_e32 v2, vcc, 0xffffff7c, v2
	v_addc_co_u32_e32 v14, vcc, -1, v14, vcc
	v_cmp_gt_i32_e64 s[8:9], s24, v3
	v_mov_b32_e32 v22, 0
	v_cndmask_b32_e64 v3, v14, v11, s[8:9]
	v_cndmask_b32_e64 v2, v2, v10, s[8:9]
	v_cmp_gt_i32_e32 vcc, s24, v5
	v_mov_b32_e32 v15, 0
	s_and_saveexec_b64 s[14:15], vcc
	s_cbranch_execz .LBB81_58
; %bb.57:
	global_load_dword v15, v[2:3], off
.LBB81_58:
	s_or_b64 exec, exec, s[14:15]
	s_movk_i32 s14, 0x84
	v_mad_u32_u24 v21, v5, s14, v13
	s_waitcnt vmcnt(0)
	ds_write_b32 v21, v15
	v_add_u32_e32 v15, 8, v5
	v_mul_u32_u24_e32 v14, 0x84, v5
	v_cmp_gt_i32_e32 vcc, s24, v15
	s_and_saveexec_b64 s[14:15], vcc
	s_cbranch_execz .LBB81_60
; %bb.59:
	v_mov_b32_e32 v22, s39
	v_add_co_u32_e32 v21, vcc, s38, v2
	v_addc_co_u32_e32 v22, vcc, v3, v22, vcc
	global_load_dword v22, v[21:22], off
.LBB81_60:
	s_or_b64 exec, exec, s[14:15]
	v_add_u32_e32 v21, 0x420, v14
	v_add_u32_e32 v23, v13, v21
	s_waitcnt vmcnt(0)
	ds_write_b32 v23, v22
	v_add_u32_e32 v22, 16, v5
	v_cmp_gt_i32_e32 vcc, s24, v22
	v_mov_b32_e32 v28, 0
	v_mov_b32_e32 v25, 0
	s_and_saveexec_b64 s[14:15], vcc
	s_cbranch_execz .LBB81_62
; %bb.61:
	s_lshl_b64 s[16:17], s[20:21], 6
	v_mov_b32_e32 v23, s17
	v_add_co_u32_e32 v29, vcc, s16, v2
	v_addc_co_u32_e32 v30, vcc, v3, v23, vcc
	global_load_dword v25, v[29:30], off
.LBB81_62:
	s_or_b64 exec, exec, s[14:15]
	v_add_u32_e32 v23, 0x420, v21
	v_add_u32_e32 v27, v13, v23
	s_waitcnt vmcnt(0)
	ds_write_b32 v27, v25
	v_add_u32_e32 v25, 24, v5
	v_cmp_gt_i32_e32 vcc, s24, v25
	s_and_saveexec_b64 s[14:15], vcc
	s_cbranch_execz .LBB81_64
; %bb.63:
	v_mov_b32_e32 v5, 0x60
	v_mad_u64_u32 v[27:28], s[16:17], s20, v5, v[2:3]
	s_mul_i32 s16, s21, 0x60
	v_add_u32_e32 v28, s16, v28
	global_load_dword v28, v[27:28], off
.LBB81_64:
	s_or_b64 exec, exec, s[14:15]
	v_add_u32_e32 v27, 0x420, v23
	v_add_co_u32_e32 v2, vcc, v2, v26
	v_add_u32_e32 v5, v13, v27
	v_addc_co_u32_e32 v3, vcc, 0, v3, vcc
	s_waitcnt vmcnt(0)
	ds_write_b32 v5, v28
	v_mov_b32_e32 v5, s13
	v_subrev_co_u32_e32 v2, vcc, s12, v2
	v_subb_co_u32_e32 v3, vcc, v3, v5, vcc
	v_add_co_u32_e32 v2, vcc, 0x84, v2
	v_addc_co_u32_e32 v3, vcc, 0, v3, vcc
	v_cndmask_b32_e64 v11, v3, v11, s[8:9]
	v_cndmask_b32_e64 v10, v2, v10, s[8:9]
.LBB81_65:
	v_add_u32_e32 v2, v13, v14
	s_waitcnt lgkmcnt(0)
	s_barrier
	v_add_u32_e32 v3, v13, v21
	ds_read_b32 v21, v2
	ds_read_b32 v26, v12 offset:4544
	ds_read_b32 v28, v3
	v_lshlrev_b32_e32 v2, 2, v15
	v_add_u32_e32 v3, v13, v23
	v_lshlrev_b32_e32 v5, 2, v22
	v_add_u32_e32 v13, v13, v27
	v_lshlrev_b32_e32 v14, 2, v25
	v_lshl_add_u32 v12, v12, 2, v17
	s_waitcnt lgkmcnt(1)
	v_fma_f32 v21, v21, v26, 0
	ds_read_b32 v22, v2 offset:4544
	ds_read_b32 v23, v3
	ds_read_b32 v25, v5 offset:4544
	ds_read_b32 v27, v13
	ds_read_b32 v29, v14 offset:4544
	ds_read2_b32 v[14:15], v12 offset1:1
	ds_read_b128 v[2:5], v4 offset:128
	ds_read2_b32 v[12:13], v12 offset0:2 offset1:3
	s_waitcnt lgkmcnt(7)
	v_fmac_f32_e32 v21, v28, v22
	s_waitcnt lgkmcnt(5)
	v_fmac_f32_e32 v21, v23, v25
	;; [unrolled: 2-line block ×3, first 2 shown]
	s_waitcnt lgkmcnt(0)
	s_barrier
	ds_write_b32 v20, v21
	s_waitcnt lgkmcnt(0)
	s_barrier
	s_and_saveexec_b64 s[8:9], s[10:11]
	s_cbranch_execz .LBB81_67
; %bb.66:
	ds_read2_b32 v[21:22], v17 offset1:1
	ds_read2_b32 v[25:26], v17 offset0:2 offset1:3
	ds_read2_b32 v[27:28], v17 offset0:4 offset1:5
	;; [unrolled: 1-line block ×3, first 2 shown]
	s_waitcnt lgkmcnt(3)
	v_add_f32_e32 v21, v24, v21
	v_add_f32_e32 v21, v21, v22
	s_waitcnt lgkmcnt(2)
	v_add_f32_e32 v21, v21, v25
	v_add_f32_e32 v21, v21, v26
	;; [unrolled: 3-line block ×4, first 2 shown]
.LBB81_67:
	s_or_b64 exec, exec, s[8:9]
	v_fma_f32 v2, v14, v2, 0
	v_fmac_f32_e32 v2, v15, v3
	v_fmac_f32_e32 v2, v12, v4
	;; [unrolled: 1-line block ×3, first 2 shown]
	s_barrier
	ds_write_b32 v20, v2
	s_waitcnt lgkmcnt(0)
	s_barrier
	s_and_saveexec_b64 s[8:9], s[4:5]
	s_cbranch_execz .LBB81_69
; %bb.68:
	ds_read2_b32 v[2:3], v17 offset1:1
	ds_read2_b32 v[4:5], v17 offset0:2 offset1:3
	ds_read2_b32 v[12:13], v17 offset0:4 offset1:5
	;; [unrolled: 1-line block ×3, first 2 shown]
	s_waitcnt lgkmcnt(3)
	v_add_f32_e32 v2, v24, v2
	v_add_f32_e32 v2, v2, v3
	s_waitcnt lgkmcnt(2)
	v_add_f32_e32 v2, v2, v4
	v_add_f32_e32 v2, v2, v5
	;; [unrolled: 3-line block ×4, first 2 shown]
.LBB81_69:
	s_or_b64 exec, exec, s[8:9]
	s_mul_hi_u32 s4, s33, s7
	s_mul_i32 s45, s45, s7
	s_add_i32 s4, s4, s45
	s_mul_i32 s7, s33, s7
	s_mul_i32 s4, s4, s44
	s_mul_hi_u32 s5, s7, s44
	s_add_i32 s5, s5, s4
	s_mul_i32 s4, s7, s44
	s_lshl_b64 s[4:5], s[4:5], 2
	s_add_u32 s7, s28, s4
	s_mul_i32 s4, s33, s6
	s_addc_u32 s8, s29, s5
	s_ashr_i32 s5, s4, 31
	s_lshl_b64 s[4:5], s[4:5], 2
	s_add_u32 s7, s7, s4
	v_cmp_le_i32_e32 vcc, s24, v0
	s_addc_u32 s28, s8, s5
	s_and_b64 vcc, s[34:35], vcc
	s_cmp_lt_i32 s6, 1
	v_lshlrev_b32_e32 v25, 2, v0
	s_barrier
	s_cbranch_scc1 .LBB81_76
; %bb.70:
	s_mul_i32 s4, s36, s27
	s_mul_hi_u32 s5, s36, s26
	s_add_i32 s4, s5, s4
	s_mul_i32 s5, s37, s26
	s_add_i32 s5, s4, s5
	s_mul_i32 s4, s36, s26
	s_lshl_b64 s[4:5], s[4:5], 2
	v_mov_b32_e32 v2, s5
	v_subrev_co_u32_e64 v26, s[4:5], s4, v6
	v_lshlrev_b32_e32 v6, 2, v1
	v_subb_co_u32_e64 v27, s[4:5], v7, v2, s[4:5]
	v_mad_u64_u32 v[2:3], s[4:5], s20, v6, 0
	v_mov_b32_e32 v4, s31
	v_subrev_co_u32_e64 v7, s[4:5], s30, v10
	v_subb_co_u32_e64 v10, s[4:5], v11, v4, s[4:5]
	v_mad_u64_u32 v[3:4], s[4:5], s21, v6, v[3:4]
	v_sub_co_u32_e64 v4, s[4:5], v7, v8
	v_lshlrev_b64 v[2:3], 2, v[2:3]
	v_subb_co_u32_e64 v6, s[4:5], v10, v9, s[4:5]
	v_add_co_u32_e64 v2, s[4:5], v4, v2
	v_addc_co_u32_e64 v3, s[4:5], v6, v3, s[4:5]
	s_ashr_i32 s25, s24, 31
	s_lshl_b64 s[4:5], s[24:25], 2
	v_mov_b32_e32 v4, s5
	v_add_co_u32_e64 v6, s[4:5], s4, v2
	v_addc_co_u32_e64 v4, s[4:5], v3, v4, s[4:5]
	s_movk_i32 s4, 0xff7c
	v_add_co_u32_e64 v6, s[4:5], s4, v6
	v_addc_co_u32_e64 v4, s[4:5], -1, v4, s[4:5]
	v_add_co_u32_e64 v2, s[4:5], v2, v25
	v_addc_co_u32_e64 v3, s[4:5], 0, v3, s[4:5]
	s_movk_i32 s4, 0xff80
	v_add_co_u32_e64 v2, s[4:5], s4, v2
	v_addc_co_u32_e64 v3, s[4:5], -1, v3, s[4:5]
	v_cndmask_b32_e32 v21, v3, v4, vcc
	v_lshrrev_b32_e32 v4, 2, v16
	v_and_b32_e32 v5, 15, v0
	s_movk_i32 s8, 0x10c
	v_and_b32_e32 v4, 0x1ffc, v4
	v_mad_u32_u24 v32, v5, s8, v4
	v_and_b32_e32 v4, 48, v0
	v_lshlrev_b32_e32 v4, 2, v4
	v_mad_u32_u24 v33, v5, s8, v4
	v_or_b32_e32 v4, 60, v25
	v_mad_u32_u24 v34, v5, s8, v4
	s_mul_i32 s8, s21, 12
	s_mul_hi_u32 s9, s20, 12
	s_add_i32 s8, s9, s8
	s_mul_i32 s9, s21, 0x48
	s_mul_hi_u32 s16, s20, 0x48
	s_add_i32 s9, s16, s9
	;; [unrolled: 3-line block ×9, first 2 shown]
	s_mul_i32 s16, s21, 0x84
	s_mul_hi_u32 s17, s20, 0x84
	v_cndmask_b32_e32 v20, v2, v6, vcc
	v_mov_b32_e32 v2, 0x10c0
	s_add_i32 s44, s17, s16
	s_mul_i32 s16, s21, 0x44
	s_mul_hi_u32 s17, s20, 0x44
	v_lshl_add_u32 v29, v1, 4, v2
	s_movk_i32 s4, 0x430
	v_mul_u32_u24_e32 v2, 0x10c, v5
	v_and_b32_e32 v3, 0x7ff0, v16
	s_lshl_b64 s[10:11], s[20:21], 2
	s_lshl_b64 s[14:15], s[20:21], 3
	s_add_i32 s45, s17, s16
	s_lshl_b64 s[16:17], s[20:21], 6
	v_add_u32_e32 v28, 0x10c0, v25
	v_add_u32_e32 v30, 0x11c0, v25
	v_mad_u32_u24 v31, v1, s4, v25
	v_cmp_gt_u32_e64 s[4:5], 64, v16
	s_lshl_b64 s[12:13], s[20:21], 8
	s_mul_i32 s24, s20, 12
	s_mul_i32 s25, s20, 0x48
	;; [unrolled: 1-line block ×11, first 2 shown]
	s_mov_b32 s20, 0
	v_mov_b32_e32 v35, s11
	v_mov_b32_e32 v36, s15
	;; [unrolled: 1-line block ×3, first 2 shown]
	v_add_u32_e32 v38, v2, v3
	v_mov_b32_e32 v39, s17
	v_mov_b32_e32 v40, s45
	;; [unrolled: 1-line block ×13, first 2 shown]
	s_branch .LBB81_72
.LBB81_71:                              ;   in Loop: Header=BB81_72 Depth=1
	s_or_b64 exec, exec, s[18:19]
	v_fmac_f32_e32 v24, v54, v2
	v_fmac_f32_e32 v24, v52, v3
	;; [unrolled: 1-line block ×15, first 2 shown]
	v_mov_b32_e32 v2, s13
	s_add_i32 s20, s20, 64
	s_add_i32 s6, s6, -1
	v_add_co_u32_e64 v20, s[8:9], s12, v20
	v_fmac_f32_e32 v24, v63, v17
	s_cmp_eq_u32 s6, 0
	v_addc_co_u32_e64 v21, s[8:9], v21, v2, s[8:9]
	s_waitcnt vmcnt(0)
	s_barrier
	s_cbranch_scc1 .LBB81_76
.LBB81_72:                              ; =>This Inner Loop Header: Depth=1
	s_and_saveexec_b64 s[18:19], s[2:3]
	s_cbranch_execz .LBB81_74
; %bb.73:                               ;   in Loop: Header=BB81_72 Depth=1
	s_mul_i32 s8, s37, s20
	s_mul_hi_u32 s9, s36, s20
	s_add_i32 s9, s9, s8
	s_mul_i32 s8, s36, s20
	s_lshl_b64 s[8:9], s[8:9], 2
	v_mov_b32_e32 v3, s9
	v_add_co_u32_e64 v2, s[8:9], s8, v26
	v_addc_co_u32_e64 v3, s[8:9], v27, v3, s[8:9]
	global_load_dword v2, v[2:3], off
	s_waitcnt vmcnt(0)
	ds_write_b32 v28, v2
.LBB81_74:                              ;   in Loop: Header=BB81_72 Depth=1
	s_or_b64 exec, exec, s[18:19]
	v_add_co_u32_e64 v2, s[8:9], s10, v20
	v_addc_co_u32_e64 v3, s[8:9], v21, v35, s[8:9]
	v_add_co_u32_e64 v4, s[8:9], s14, v20
	v_addc_co_u32_e64 v5, s[8:9], v21, v36, s[8:9]
	v_add_co_u32_e64 v6, s[8:9], s24, v20
	s_waitcnt lgkmcnt(0)
	s_barrier
	v_addc_co_u32_e64 v7, s[8:9], v21, v37, s[8:9]
	global_load_dword v54, v[20:21], off
	global_load_dword v52, v[2:3], off
	global_load_dword v51, v[4:5], off
	global_load_dword v53, v[6:7], off
	v_add_co_u32_e64 v6, s[8:9], s16, v20
	v_addc_co_u32_e64 v7, s[8:9], v21, v39, s[8:9]
	ds_read_b32 v14, v30
	ds_read_b128 v[2:5], v29
	v_add_co_u32_e64 v8, s[8:9], s38, v20
	v_addc_co_u32_e64 v9, s[8:9], v21, v40, s[8:9]
	v_add_co_u32_e64 v10, s[8:9], s25, v20
	v_addc_co_u32_e64 v11, s[8:9], v21, v41, s[8:9]
	;; [unrolled: 2-line block ×3, first 2 shown]
	s_waitcnt vmcnt(3) lgkmcnt(1)
	v_mul_f32_e32 v15, v54, v14
	s_waitcnt vmcnt(2)
	v_mul_f32_e32 v16, v52, v14
	s_waitcnt vmcnt(1)
	v_mul_f32_e32 v17, v51, v14
	s_waitcnt vmcnt(0)
	v_mul_f32_e32 v14, v53, v14
	ds_write2_b32 v31, v15, v16 offset1:67
	ds_write2_b32 v31, v17, v14 offset0:134 offset1:201
	s_waitcnt lgkmcnt(0)
	s_barrier
	ds_read2_b32 v[14:15], v38 offset1:1
	ds_read2_b32 v[16:17], v38 offset0:2 offset1:3
	s_waitcnt lgkmcnt(0)
	s_barrier
	global_load_dword v58, v[6:7], off
	global_load_dword v56, v[8:9], off
	;; [unrolled: 1-line block ×4, first 2 shown]
	v_add_co_u32_e64 v10, s[8:9], s22, v20
	v_addc_co_u32_e64 v11, s[8:9], v21, v43, s[8:9]
	ds_read_b32 v22, v30
	ds_read_b128 v[6:9], v29 offset:64
	v_add_co_u32_e64 v12, s[8:9], s35, v20
	v_addc_co_u32_e64 v13, s[8:9], v21, v44, s[8:9]
	v_add_co_u32_e64 v63, s[8:9], s27, v20
	v_addc_co_u32_e64 v64, s[8:9], v21, v45, s[8:9]
	;; [unrolled: 2-line block ×7, first 2 shown]
	v_add_f32_e32 v14, 0, v14
	v_add_f32_e32 v14, v14, v15
	v_add_f32_e32 v14, v14, v16
	s_waitcnt vmcnt(3) lgkmcnt(1)
	v_mul_f32_e32 v59, v58, v22
	s_waitcnt vmcnt(2)
	v_mul_f32_e32 v60, v56, v22
	s_waitcnt vmcnt(1)
	;; [unrolled: 2-line block ×3, first 2 shown]
	v_mul_f32_e32 v22, v57, v22
	ds_write2_b32 v31, v59, v60 offset1:67
	ds_write2_b32 v31, v61, v22 offset0:134 offset1:201
	s_waitcnt lgkmcnt(0)
	s_barrier
	ds_read2_b32 v[67:68], v38 offset1:1
	ds_read2_b32 v[69:70], v38 offset0:2 offset1:3
	s_waitcnt lgkmcnt(0)
	s_barrier
	global_load_dword v62, v[10:11], off
	global_load_dword v60, v[12:13], off
	;; [unrolled: 1-line block ×4, first 2 shown]
	ds_read_b32 v22, v30
	ds_read_b128 v[10:13], v29 offset:128
	s_waitcnt vmcnt(3) lgkmcnt(1)
	v_mul_f32_e32 v63, v62, v22
	s_waitcnt vmcnt(2)
	v_mul_f32_e32 v64, v60, v22
	s_waitcnt vmcnt(1)
	;; [unrolled: 2-line block ×3, first 2 shown]
	v_mul_f32_e32 v22, v61, v22
	ds_write2_b32 v31, v63, v64 offset1:67
	ds_write2_b32 v31, v65, v22 offset0:134 offset1:201
	s_waitcnt lgkmcnt(0)
	s_barrier
	ds_read2_b32 v[79:80], v38 offset1:1
	ds_read2_b32 v[81:82], v38 offset0:2 offset1:3
	s_waitcnt lgkmcnt(0)
	s_barrier
	global_load_dword v66, v[71:72], off
	global_load_dword v65, v[73:74], off
	global_load_dword v64, v[75:76], off
	global_load_dword v63, v[77:78], off
	v_add_f32_e32 v22, v14, v17
	v_add_f32_e32 v14, 0, v67
	;; [unrolled: 1-line block ×5, first 2 shown]
	ds_read_b32 v67, v30
	ds_read_b128 v[14:17], v29 offset:192
	v_add_f32_e32 v68, 0, v79
	v_add_f32_e32 v68, v68, v80
	;; [unrolled: 1-line block ×4, first 2 shown]
	s_waitcnt vmcnt(3) lgkmcnt(1)
	v_mul_f32_e32 v68, v66, v67
	s_waitcnt vmcnt(2)
	v_mul_f32_e32 v69, v65, v67
	s_waitcnt vmcnt(1)
	;; [unrolled: 2-line block ×3, first 2 shown]
	v_mul_f32_e32 v67, v63, v67
	ds_write2_b32 v31, v68, v69 offset1:67
	ds_write2_b32 v31, v70, v67 offset0:134 offset1:201
	s_waitcnt lgkmcnt(0)
	s_barrier
	ds_read2_b32 v[67:68], v38 offset1:1
	ds_read2_b32 v[69:70], v38 offset0:2 offset1:3
	s_waitcnt lgkmcnt(0)
	s_barrier
	ds_write2_b32 v32, v22, v71 offset1:16
	v_add_f32_e32 v22, 0, v67
	v_add_f32_e32 v22, v22, v68
	;; [unrolled: 1-line block ×4, first 2 shown]
	ds_write2_b32 v32, v72, v22 offset0:32 offset1:48
	s_waitcnt lgkmcnt(0)
	s_barrier
	s_and_saveexec_b64 s[18:19], s[4:5]
	s_cbranch_execz .LBB81_71
; %bb.75:                               ;   in Loop: Header=BB81_72 Depth=1
	ds_read2_b32 v[67:68], v33 offset1:1
	ds_read2_b32 v[69:70], v33 offset0:2 offset1:3
	ds_read2_b32 v[71:72], v33 offset0:4 offset1:5
	ds_read2_b32 v[73:74], v33 offset0:6 offset1:7
	ds_read2_b32 v[75:76], v33 offset0:8 offset1:9
	s_waitcnt lgkmcnt(4)
	v_add_f32_e32 v22, v67, v68
	s_waitcnt lgkmcnt(3)
	v_add_f32_e32 v22, v22, v69
	v_add_f32_e32 v22, v22, v70
	s_waitcnt lgkmcnt(2)
	v_add_f32_e32 v22, v22, v71
	;; [unrolled: 3-line block ×3, first 2 shown]
	v_add_f32_e32 v22, v22, v74
	ds_read2_b32 v[67:68], v33 offset0:10 offset1:11
	ds_read2_b32 v[69:70], v33 offset0:12 offset1:13
	ds_read_b32 v71, v33 offset:56
	s_waitcnt lgkmcnt(3)
	v_add_f32_e32 v22, v22, v75
	v_add_f32_e32 v22, v22, v76
	s_waitcnt lgkmcnt(2)
	v_add_f32_e32 v22, v22, v67
	ds_read_b32 v67, v34
	v_add_f32_e32 v22, v22, v68
	s_waitcnt lgkmcnt(2)
	v_add_f32_e32 v22, v22, v69
	v_add_f32_e32 v22, v22, v70
	s_waitcnt lgkmcnt(1)
	v_add_f32_e32 v22, v22, v71
	s_waitcnt lgkmcnt(0)
	v_add_f32_e32 v69, v22, v67
	v_add_u32_e32 v22, s20, v0
	v_lshlrev_b64 v[67:68], 2, v[22:23]
	v_mov_b32_e32 v22, s28
	v_add_co_u32_e64 v67, s[8:9], s7, v67
	v_addc_co_u32_e64 v68, s[8:9], v22, v68, s[8:9]
	global_store_dword v[67:68], v69, off
	s_branch .LBB81_71
.LBB81_76:
	s_movk_i32 s2, 0x10c
	v_mad_u32_u24 v0, v1, s2, v25
	s_nor_b64 s[0:1], s[0:1], vcc
	ds_write_b32 v0, v24
	s_waitcnt lgkmcnt(0)
	s_barrier
	s_and_saveexec_b64 s[2:3], s[0:1]
	s_cbranch_execz .LBB81_78
; %bb.77:
	ds_read2_b32 v[0:1], v25 offset1:67
	ds_read2_b32 v[2:3], v25 offset0:134 offset1:201
	v_lshlrev_b64 v[4:5], 2, v[18:19]
	v_mov_b32_e32 v6, s28
	s_waitcnt lgkmcnt(1)
	v_add_f32_e32 v0, v0, v1
	s_waitcnt lgkmcnt(0)
	v_add_f32_e32 v0, v0, v2
	v_add_f32_e32 v2, v0, v3
	v_add_co_u32_e32 v0, vcc, s7, v4
	v_addc_co_u32_e32 v1, vcc, v6, v5, vcc
	global_store_dword v[0:1], v2, off
.LBB81_78:
	s_endpgm
	.section	.rodata,"a",@progbits
	.p2align	6, 0x0
	.amdhsa_kernel _ZL26rocblas_hemvn_kernel_lowerILb0ELi64ELi4ELi33ELi32ELi16ElPKfS1_PfEviT6_lT7_lT5_lS4_lS5_lS3_lT8_i
		.amdhsa_group_segment_fixed_size 4800
		.amdhsa_private_segment_fixed_size 0
		.amdhsa_kernarg_size 376
		.amdhsa_user_sgpr_count 6
		.amdhsa_user_sgpr_private_segment_buffer 1
		.amdhsa_user_sgpr_dispatch_ptr 0
		.amdhsa_user_sgpr_queue_ptr 0
		.amdhsa_user_sgpr_kernarg_segment_ptr 1
		.amdhsa_user_sgpr_dispatch_id 0
		.amdhsa_user_sgpr_flat_scratch_init 0
		.amdhsa_user_sgpr_private_segment_size 0
		.amdhsa_uses_dynamic_stack 0
		.amdhsa_system_sgpr_private_segment_wavefront_offset 0
		.amdhsa_system_sgpr_workgroup_id_x 1
		.amdhsa_system_sgpr_workgroup_id_y 0
		.amdhsa_system_sgpr_workgroup_id_z 1
		.amdhsa_system_sgpr_workgroup_info 0
		.amdhsa_system_vgpr_workitem_id 1
		.amdhsa_next_free_vgpr 83
		.amdhsa_next_free_sgpr 48
		.amdhsa_reserve_vcc 1
		.amdhsa_reserve_flat_scratch 0
		.amdhsa_float_round_mode_32 0
		.amdhsa_float_round_mode_16_64 0
		.amdhsa_float_denorm_mode_32 3
		.amdhsa_float_denorm_mode_16_64 3
		.amdhsa_dx10_clamp 1
		.amdhsa_ieee_mode 1
		.amdhsa_fp16_overflow 0
		.amdhsa_exception_fp_ieee_invalid_op 0
		.amdhsa_exception_fp_denorm_src 0
		.amdhsa_exception_fp_ieee_div_zero 0
		.amdhsa_exception_fp_ieee_overflow 0
		.amdhsa_exception_fp_ieee_underflow 0
		.amdhsa_exception_fp_ieee_inexact 0
		.amdhsa_exception_int_div_zero 0
	.end_amdhsa_kernel
	.section	.text._ZL26rocblas_hemvn_kernel_lowerILb0ELi64ELi4ELi33ELi32ELi16ElPKfS1_PfEviT6_lT7_lT5_lS4_lS5_lS3_lT8_i,"axG",@progbits,_ZL26rocblas_hemvn_kernel_lowerILb0ELi64ELi4ELi33ELi32ELi16ElPKfS1_PfEviT6_lT7_lT5_lS4_lS5_lS3_lT8_i,comdat
.Lfunc_end81:
	.size	_ZL26rocblas_hemvn_kernel_lowerILb0ELi64ELi4ELi33ELi32ELi16ElPKfS1_PfEviT6_lT7_lT5_lS4_lS5_lS3_lT8_i, .Lfunc_end81-_ZL26rocblas_hemvn_kernel_lowerILb0ELi64ELi4ELi33ELi32ELi16ElPKfS1_PfEviT6_lT7_lT5_lS4_lS5_lS3_lT8_i
                                        ; -- End function
	.set _ZL26rocblas_hemvn_kernel_lowerILb0ELi64ELi4ELi33ELi32ELi16ElPKfS1_PfEviT6_lT7_lT5_lS4_lS5_lS3_lT8_i.num_vgpr, 83
	.set _ZL26rocblas_hemvn_kernel_lowerILb0ELi64ELi4ELi33ELi32ELi16ElPKfS1_PfEviT6_lT7_lT5_lS4_lS5_lS3_lT8_i.num_agpr, 0
	.set _ZL26rocblas_hemvn_kernel_lowerILb0ELi64ELi4ELi33ELi32ELi16ElPKfS1_PfEviT6_lT7_lT5_lS4_lS5_lS3_lT8_i.numbered_sgpr, 48
	.set _ZL26rocblas_hemvn_kernel_lowerILb0ELi64ELi4ELi33ELi32ELi16ElPKfS1_PfEviT6_lT7_lT5_lS4_lS5_lS3_lT8_i.num_named_barrier, 0
	.set _ZL26rocblas_hemvn_kernel_lowerILb0ELi64ELi4ELi33ELi32ELi16ElPKfS1_PfEviT6_lT7_lT5_lS4_lS5_lS3_lT8_i.private_seg_size, 0
	.set _ZL26rocblas_hemvn_kernel_lowerILb0ELi64ELi4ELi33ELi32ELi16ElPKfS1_PfEviT6_lT7_lT5_lS4_lS5_lS3_lT8_i.uses_vcc, 1
	.set _ZL26rocblas_hemvn_kernel_lowerILb0ELi64ELi4ELi33ELi32ELi16ElPKfS1_PfEviT6_lT7_lT5_lS4_lS5_lS3_lT8_i.uses_flat_scratch, 0
	.set _ZL26rocblas_hemvn_kernel_lowerILb0ELi64ELi4ELi33ELi32ELi16ElPKfS1_PfEviT6_lT7_lT5_lS4_lS5_lS3_lT8_i.has_dyn_sized_stack, 0
	.set _ZL26rocblas_hemvn_kernel_lowerILb0ELi64ELi4ELi33ELi32ELi16ElPKfS1_PfEviT6_lT7_lT5_lS4_lS5_lS3_lT8_i.has_recursion, 0
	.set _ZL26rocblas_hemvn_kernel_lowerILb0ELi64ELi4ELi33ELi32ELi16ElPKfS1_PfEviT6_lT7_lT5_lS4_lS5_lS3_lT8_i.has_indirect_call, 0
	.section	.AMDGPU.csdata,"",@progbits
; Kernel info:
; codeLenInByte = 5952
; TotalNumSgprs: 52
; NumVgprs: 83
; ScratchSize: 0
; MemoryBound: 0
; FloatMode: 240
; IeeeMode: 1
; LDSByteSize: 4800 bytes/workgroup (compile time only)
; SGPRBlocks: 6
; VGPRBlocks: 20
; NumSGPRsForWavesPerEU: 52
; NumVGPRsForWavesPerEU: 83
; Occupancy: 3
; WaveLimiterHint : 0
; COMPUTE_PGM_RSRC2:SCRATCH_EN: 0
; COMPUTE_PGM_RSRC2:USER_SGPR: 6
; COMPUTE_PGM_RSRC2:TRAP_HANDLER: 0
; COMPUTE_PGM_RSRC2:TGID_X_EN: 1
; COMPUTE_PGM_RSRC2:TGID_Y_EN: 0
; COMPUTE_PGM_RSRC2:TGID_Z_EN: 1
; COMPUTE_PGM_RSRC2:TIDIG_COMP_CNT: 1
	.section	.text._ZL36rocblas_hemvn_kernel_lower_block_sumILi64ElPKfPffEviT1_lS3_lT2_lT0_lPT3_i,"axG",@progbits,_ZL36rocblas_hemvn_kernel_lower_block_sumILi64ElPKfPffEviT1_lS3_lT2_lT0_lPT3_i,comdat
	.globl	_ZL36rocblas_hemvn_kernel_lower_block_sumILi64ElPKfPffEviT1_lS3_lT2_lT0_lPT3_i ; -- Begin function _ZL36rocblas_hemvn_kernel_lower_block_sumILi64ElPKfPffEviT1_lS3_lT2_lT0_lPT3_i
	.p2align	8
	.type	_ZL36rocblas_hemvn_kernel_lower_block_sumILi64ElPKfPffEviT1_lS3_lT2_lT0_lPT3_i,@function
_ZL36rocblas_hemvn_kernel_lower_block_sumILi64ElPKfPffEviT1_lS3_lT2_lT0_lPT3_i: ; @_ZL36rocblas_hemvn_kernel_lower_block_sumILi64ElPKfPffEviT1_lS3_lT2_lT0_lPT3_i
; %bb.0:
	s_load_dwordx8 s[8:15], s[4:5], 0x8
	s_waitcnt lgkmcnt(0)
	s_mul_i32 s0, s11, s7
	s_mul_hi_u32 s1, s10, s7
	s_add_i32 s1, s1, s0
	s_mul_i32 s0, s10, s7
	s_lshl_b64 s[0:1], s[0:1], 2
	s_add_u32 s0, s8, s0
	s_addc_u32 s1, s9, s1
	s_load_dword s16, s[0:1], 0x0
	s_mul_i32 s0, s15, s7
	s_mul_hi_u32 s1, s14, s7
	s_add_i32 s1, s1, s0
	s_mul_i32 s0, s14, s7
	s_lshl_b64 s[0:1], s[0:1], 2
	s_add_u32 s0, s12, s0
	s_addc_u32 s1, s13, s1
	s_load_dword s19, s[0:1], 0x0
	s_waitcnt lgkmcnt(0)
	v_cmp_eq_f32_e64 s[0:1], s16, 0
	v_cmp_eq_f32_e64 s[2:3], s19, 1.0
	s_and_b64 s[0:1], s[0:1], s[2:3]
	s_and_b64 vcc, exec, s[0:1]
	s_cbranch_vccnz .LBB82_19
; %bb.1:
	s_load_dwordx2 s[8:9], s[4:5], 0x40
	s_load_dwordx4 s[0:3], s[4:5], 0x30
	s_load_dwordx2 s[12:13], s[4:5], 0x28
	s_load_dword s10, s[4:5], 0x0
	v_lshl_or_b32 v2, s6, 6, v0
	s_waitcnt lgkmcnt(0)
	s_mul_i32 s9, s9, s7
	s_mul_hi_u32 s11, s8, s7
	s_add_i32 s9, s11, s9
	s_mul_i32 s8, s8, s7
	s_lshl_b64 s[8:9], s[8:9], 2
	s_add_u32 s8, s12, s8
	s_addc_u32 s9, s13, s9
	s_lshl_b64 s[0:1], s[0:1], 2
	s_add_u32 s17, s8, s0
	s_addc_u32 s18, s9, s1
	v_cmp_neq_f32_e64 s[0:1], s16, 0
	s_and_b64 vcc, exec, s[0:1]
	v_cmp_gt_i32_e64 s[0:1], s10, v2
	s_cbranch_vccnz .LBB82_6
; %bb.2:
	s_mov_b64 s[12:13], 0
	s_mov_b64 s[8:9], 0
                                        ; implicit-def: $vgpr3
                                        ; implicit-def: $vgpr0_vgpr1
	s_and_saveexec_b64 s[14:15], s[0:1]
	s_cbranch_execz .LBB82_7
; %bb.3:
	v_ashrrev_i32_e32 v0, 31, v2
	v_mul_lo_u32 v4, s3, v2
	v_mul_lo_u32 v5, s2, v0
	v_mad_u64_u32 v[0:1], s[0:1], s2, v2, 0
	v_cmp_eq_f32_e64 s[0:1], s19, 0
	v_mov_b32_e32 v3, 0
	v_add3_u32 v1, v1, v5, v4
	s_and_b64 vcc, exec, s[0:1]
	s_cbranch_vccnz .LBB82_5
; %bb.4:
	v_lshlrev_b64 v[3:4], 2, v[0:1]
	v_mov_b32_e32 v5, s18
	v_add_co_u32_e32 v3, vcc, s17, v3
	v_addc_co_u32_e32 v4, vcc, v5, v4, vcc
	global_load_dword v3, v[3:4], off
	s_waitcnt vmcnt(0)
	v_mul_f32_e32 v3, s19, v3
.LBB82_5:
	s_mov_b64 s[8:9], exec
	s_or_b64 exec, exec, s[14:15]
	s_and_b64 vcc, exec, s[12:13]
	s_cbranch_vccnz .LBB82_8
	s_branch .LBB82_17
.LBB82_6:
	s_mov_b64 s[8:9], 0
                                        ; implicit-def: $vgpr3
                                        ; implicit-def: $vgpr0_vgpr1
	s_cbranch_execnz .LBB82_8
	s_branch .LBB82_17
.LBB82_7:
	s_or_b64 exec, exec, s[14:15]
	s_and_b64 vcc, exec, s[12:13]
	s_cbranch_vccz .LBB82_17
.LBB82_8:
	v_cmp_gt_i32_e32 vcc, s10, v2
                                        ; implicit-def: $vgpr3
                                        ; implicit-def: $vgpr0_vgpr1
	s_and_saveexec_b64 s[0:1], vcc
	s_cbranch_execz .LBB82_16
; %bb.9:
	s_load_dword s12, s[4:5], 0x58
	v_mov_b32_e32 v4, 0
	s_waitcnt lgkmcnt(0)
	s_cmp_ge_i32 s6, s12
	s_cbranch_scc1 .LBB82_12
; %bb.10:
	s_ashr_i32 s11, s10, 31
	s_mul_i32 s13, s10, s6
	s_load_dwordx2 s[4:5], s[4:5], 0x48
	v_add_u32_e32 v0, s13, v2
	s_mul_hi_u32 s13, s10, s7
	s_mul_i32 s14, s11, s7
	s_add_i32 s13, s13, s14
	s_mul_i32 s7, s10, s7
	s_mul_i32 s13, s13, s12
	s_mul_hi_u32 s14, s7, s12
	s_add_i32 s15, s14, s13
	s_mul_i32 s14, s7, s12
	v_ashrrev_i32_e32 v1, 31, v0
	s_lshl_b64 s[14:15], s[14:15], 2
	v_lshlrev_b64 v[0:1], 2, v[0:1]
	s_waitcnt lgkmcnt(0)
	s_add_u32 s4, s4, s14
	s_addc_u32 s5, s5, s15
	v_mov_b32_e32 v3, s5
	v_add_co_u32_e32 v0, vcc, s4, v0
	s_lshl_b64 s[4:5], s[10:11], 2
	v_addc_co_u32_e32 v1, vcc, v3, v1, vcc
	v_mov_b32_e32 v4, 0
	v_mov_b32_e32 v3, s5
.LBB82_11:                              ; =>This Inner Loop Header: Depth=1
	global_load_dword v5, v[0:1], off
	s_add_i32 s6, s6, 1
	v_add_co_u32_e32 v0, vcc, s4, v0
	v_addc_co_u32_e32 v1, vcc, v1, v3, vcc
	s_cmp_ge_i32 s6, s12
	s_waitcnt vmcnt(0)
	v_add_f32_e32 v4, v4, v5
	s_cbranch_scc0 .LBB82_11
.LBB82_12:
	v_ashrrev_i32_e32 v0, 31, v2
	v_mul_lo_u32 v5, s3, v2
	v_mul_lo_u32 v6, s2, v0
	v_cmp_eq_f32_e64 s[4:5], s19, 0
	s_and_b64 vcc, exec, s[4:5]
	s_cbranch_vccz .LBB82_20
; %bb.13:
	v_mad_u64_u32 v[0:1], s[4:5], s2, v2, 0
	v_mul_f32_e32 v3, s16, v4
	v_add3_u32 v1, v1, v6, v5
	s_cbranch_execnz .LBB82_15
.LBB82_14:
	v_mad_u64_u32 v[0:1], s[2:3], s2, v2, 0
	v_mov_b32_e32 v7, s18
	v_add3_u32 v1, v1, v6, v5
	v_lshlrev_b64 v[2:3], 2, v[0:1]
	v_add_co_u32_e32 v2, vcc, s17, v2
	v_addc_co_u32_e32 v3, vcc, v7, v3, vcc
	global_load_dword v2, v[2:3], off
	s_waitcnt vmcnt(0)
	v_mul_f32_e32 v3, s19, v2
	v_fmac_f32_e32 v3, s16, v4
.LBB82_15:
	s_or_b64 s[8:9], s[8:9], exec
.LBB82_16:
	s_or_b64 exec, exec, s[0:1]
.LBB82_17:
	s_and_saveexec_b64 s[0:1], s[8:9]
	s_cbranch_execz .LBB82_19
; %bb.18:
	v_lshlrev_b64 v[0:1], 2, v[0:1]
	v_mov_b32_e32 v2, s18
	v_add_co_u32_e32 v0, vcc, s17, v0
	v_addc_co_u32_e32 v1, vcc, v2, v1, vcc
	global_store_dword v[0:1], v3, off
.LBB82_19:
	s_endpgm
.LBB82_20:
                                        ; implicit-def: $vgpr3
                                        ; implicit-def: $vgpr0_vgpr1
	s_branch .LBB82_14
	.section	.rodata,"a",@progbits
	.p2align	6, 0x0
	.amdhsa_kernel _ZL36rocblas_hemvn_kernel_lower_block_sumILi64ElPKfPffEviT1_lS3_lT2_lT0_lPT3_i
		.amdhsa_group_segment_fixed_size 0
		.amdhsa_private_segment_fixed_size 0
		.amdhsa_kernarg_size 344
		.amdhsa_user_sgpr_count 6
		.amdhsa_user_sgpr_private_segment_buffer 1
		.amdhsa_user_sgpr_dispatch_ptr 0
		.amdhsa_user_sgpr_queue_ptr 0
		.amdhsa_user_sgpr_kernarg_segment_ptr 1
		.amdhsa_user_sgpr_dispatch_id 0
		.amdhsa_user_sgpr_flat_scratch_init 0
		.amdhsa_user_sgpr_private_segment_size 0
		.amdhsa_uses_dynamic_stack 0
		.amdhsa_system_sgpr_private_segment_wavefront_offset 0
		.amdhsa_system_sgpr_workgroup_id_x 1
		.amdhsa_system_sgpr_workgroup_id_y 0
		.amdhsa_system_sgpr_workgroup_id_z 1
		.amdhsa_system_sgpr_workgroup_info 0
		.amdhsa_system_vgpr_workitem_id 0
		.amdhsa_next_free_vgpr 8
		.amdhsa_next_free_sgpr 20
		.amdhsa_reserve_vcc 1
		.amdhsa_reserve_flat_scratch 0
		.amdhsa_float_round_mode_32 0
		.amdhsa_float_round_mode_16_64 0
		.amdhsa_float_denorm_mode_32 3
		.amdhsa_float_denorm_mode_16_64 3
		.amdhsa_dx10_clamp 1
		.amdhsa_ieee_mode 1
		.amdhsa_fp16_overflow 0
		.amdhsa_exception_fp_ieee_invalid_op 0
		.amdhsa_exception_fp_denorm_src 0
		.amdhsa_exception_fp_ieee_div_zero 0
		.amdhsa_exception_fp_ieee_overflow 0
		.amdhsa_exception_fp_ieee_underflow 0
		.amdhsa_exception_fp_ieee_inexact 0
		.amdhsa_exception_int_div_zero 0
	.end_amdhsa_kernel
	.section	.text._ZL36rocblas_hemvn_kernel_lower_block_sumILi64ElPKfPffEviT1_lS3_lT2_lT0_lPT3_i,"axG",@progbits,_ZL36rocblas_hemvn_kernel_lower_block_sumILi64ElPKfPffEviT1_lS3_lT2_lT0_lPT3_i,comdat
.Lfunc_end82:
	.size	_ZL36rocblas_hemvn_kernel_lower_block_sumILi64ElPKfPffEviT1_lS3_lT2_lT0_lPT3_i, .Lfunc_end82-_ZL36rocblas_hemvn_kernel_lower_block_sumILi64ElPKfPffEviT1_lS3_lT2_lT0_lPT3_i
                                        ; -- End function
	.set _ZL36rocblas_hemvn_kernel_lower_block_sumILi64ElPKfPffEviT1_lS3_lT2_lT0_lPT3_i.num_vgpr, 8
	.set _ZL36rocblas_hemvn_kernel_lower_block_sumILi64ElPKfPffEviT1_lS3_lT2_lT0_lPT3_i.num_agpr, 0
	.set _ZL36rocblas_hemvn_kernel_lower_block_sumILi64ElPKfPffEviT1_lS3_lT2_lT0_lPT3_i.numbered_sgpr, 20
	.set _ZL36rocblas_hemvn_kernel_lower_block_sumILi64ElPKfPffEviT1_lS3_lT2_lT0_lPT3_i.num_named_barrier, 0
	.set _ZL36rocblas_hemvn_kernel_lower_block_sumILi64ElPKfPffEviT1_lS3_lT2_lT0_lPT3_i.private_seg_size, 0
	.set _ZL36rocblas_hemvn_kernel_lower_block_sumILi64ElPKfPffEviT1_lS3_lT2_lT0_lPT3_i.uses_vcc, 1
	.set _ZL36rocblas_hemvn_kernel_lower_block_sumILi64ElPKfPffEviT1_lS3_lT2_lT0_lPT3_i.uses_flat_scratch, 0
	.set _ZL36rocblas_hemvn_kernel_lower_block_sumILi64ElPKfPffEviT1_lS3_lT2_lT0_lPT3_i.has_dyn_sized_stack, 0
	.set _ZL36rocblas_hemvn_kernel_lower_block_sumILi64ElPKfPffEviT1_lS3_lT2_lT0_lPT3_i.has_recursion, 0
	.set _ZL36rocblas_hemvn_kernel_lower_block_sumILi64ElPKfPffEviT1_lS3_lT2_lT0_lPT3_i.has_indirect_call, 0
	.section	.AMDGPU.csdata,"",@progbits
; Kernel info:
; codeLenInByte = 720
; TotalNumSgprs: 24
; NumVgprs: 8
; ScratchSize: 0
; MemoryBound: 0
; FloatMode: 240
; IeeeMode: 1
; LDSByteSize: 0 bytes/workgroup (compile time only)
; SGPRBlocks: 2
; VGPRBlocks: 1
; NumSGPRsForWavesPerEU: 24
; NumVGPRsForWavesPerEU: 8
; Occupancy: 10
; WaveLimiterHint : 0
; COMPUTE_PGM_RSRC2:SCRATCH_EN: 0
; COMPUTE_PGM_RSRC2:USER_SGPR: 6
; COMPUTE_PGM_RSRC2:TRAP_HANDLER: 0
; COMPUTE_PGM_RSRC2:TGID_X_EN: 1
; COMPUTE_PGM_RSRC2:TGID_Y_EN: 0
; COMPUTE_PGM_RSRC2:TGID_Z_EN: 1
; COMPUTE_PGM_RSRC2:TIDIG_COMP_CNT: 0
	.section	.text._ZL26rocblas_hemvn_kernel_lowerILb0ELi64ELi4ELi33ELi32ELi16EiPKfS1_PfEviT6_lT7_lT5_lS4_lS5_lS3_lT8_i,"axG",@progbits,_ZL26rocblas_hemvn_kernel_lowerILb0ELi64ELi4ELi33ELi32ELi16EiPKfS1_PfEviT6_lT7_lT5_lS4_lS5_lS3_lT8_i,comdat
	.globl	_ZL26rocblas_hemvn_kernel_lowerILb0ELi64ELi4ELi33ELi32ELi16EiPKfS1_PfEviT6_lT7_lT5_lS4_lS5_lS3_lT8_i ; -- Begin function _ZL26rocblas_hemvn_kernel_lowerILb0ELi64ELi4ELi33ELi32ELi16EiPKfS1_PfEviT6_lT7_lT5_lS4_lS5_lS3_lT8_i
	.p2align	8
	.type	_ZL26rocblas_hemvn_kernel_lowerILb0ELi64ELi4ELi33ELi32ELi16EiPKfS1_PfEviT6_lT7_lT5_lS4_lS5_lS3_lT8_i,@function
_ZL26rocblas_hemvn_kernel_lowerILb0ELi64ELi4ELi33ELi32ELi16EiPKfS1_PfEviT6_lT7_lT5_lS4_lS5_lS3_lT8_i: ; @_ZL26rocblas_hemvn_kernel_lowerILb0ELi64ELi4ELi33ELi32ELi16EiPKfS1_PfEviT6_lT7_lT5_lS4_lS5_lS3_lT8_i
; %bb.0:
	s_load_dwordx2 s[2:3], s[4:5], 0x84
	s_add_u32 s0, s4, 0x78
	s_addc_u32 s1, s5, 0
	s_waitcnt lgkmcnt(0)
	s_lshr_b32 s8, s2, 16
	s_and_b32 s2, s2, 0xffff
	s_and_b32 s3, s3, 0xffff
	s_mul_i32 s2, s8, s2
	s_mul_i32 s2, s2, s3
	s_cmpk_lg_i32 s2, 0x100
	s_cbranch_scc1 .LBB83_78
; %bb.1:
	s_load_dwordx8 s[8:15], s[4:5], 0x8
	s_load_dwordx8 s[16:23], s[4:5], 0x50
	s_waitcnt lgkmcnt(0)
	s_mul_i32 s3, s11, s7
	s_mul_hi_u32 s11, s10, s7
	s_mul_i32 s2, s10, s7
	s_add_i32 s3, s11, s3
	s_lshl_b64 s[2:3], s[2:3], 2
	s_add_u32 s2, s8, s2
	s_addc_u32 s3, s9, s3
	s_mul_i32 s10, s21, s7
	s_load_dword s8, s[2:3], 0x0
	s_mul_hi_u32 s2, s20, s7
	s_add_i32 s3, s2, s10
	s_mul_i32 s2, s20, s7
	s_lshl_b64 s[2:3], s[2:3], 2
	s_add_u32 s2, s18, s2
	s_addc_u32 s3, s19, s3
	s_load_dword s9, s[2:3], 0x0
	s_waitcnt lgkmcnt(0)
	v_cmp_eq_f32_e64 s[2:3], s8, 0
	v_cmp_eq_f32_e64 s[8:9], s9, 1.0
	s_and_b64 s[8:9], s[2:3], s[8:9]
	s_and_b64 vcc, exec, s[8:9]
	s_cbranch_vccnz .LBB83_78
; %bb.2:
	s_and_b64 vcc, exec, s[2:3]
	s_cbranch_vccnz .LBB83_78
; %bb.3:
	s_load_dword s41, s[0:1], 0x0
	s_load_dword s40, s[4:5], 0x0
	s_load_dwordx4 s[8:11], s[4:5], 0x30
	s_load_dwordx2 s[2:3], s[4:5], 0x40
	s_load_dword s33, s[4:5], 0x48
	s_mul_i32 s0, s17, s7
	s_mul_hi_u32 s1, s16, s7
	s_add_i32 s1, s1, s0
	s_mul_i32 s0, s16, s7
	s_lshl_b64 s[0:1], s[0:1], 2
	s_waitcnt lgkmcnt(0)
	s_add_u32 s10, s10, s0
	s_addc_u32 s11, s11, s1
	s_lshl_b64 s[0:1], s[2:3], 2
	s_add_u32 s0, s10, s0
	s_addc_u32 s1, s11, s1
	s_lshl_b32 s26, s6, 6
	v_add_u32_e32 v19, s26, v0
	v_mul_lo_u32 v3, s33, v19
	s_ashr_i32 s42, s40, 31
	s_lshr_b32 s3, s42, 26
	s_add_i32 s3, s40, s3
	v_ashrrev_i32_e32 v4, 31, v3
	s_andn2_b32 s3, s3, 63
	v_lshlrev_b64 v[3:4], 2, v[3:4]
	s_add_i32 s2, s41, -1
	s_sub_i32 s3, s40, s3
	v_mov_b32_e32 v2, v1
	s_cmp_eq_u32 s6, s2
	v_mov_b32_e32 v1, s1
	v_add_co_u32_e32 v7, vcc, s0, v3
	s_cselect_b32 s24, s3, 0
	v_addc_co_u32_e32 v8, vcc, v1, v4, vcc
	v_cmp_ne_u32_e64 s[0:1], 0, v2
	v_cmp_eq_u32_e64 s[2:3], 0, v2
	s_and_saveexec_b64 s[10:11], s[2:3]
	s_cbranch_execz .LBB83_7
; %bb.4:
	s_cmp_eq_u32 s24, 0
	s_cselect_b64 s[16:17], -1, 0
	v_cmp_gt_i32_e32 vcc, s24, v0
	s_or_b64 s[18:19], s[16:17], vcc
	v_mov_b32_e32 v1, 0
	s_and_saveexec_b64 s[16:17], s[18:19]
	s_cbranch_execz .LBB83_6
; %bb.5:
	global_load_dword v1, v[7:8], off
.LBB83_6:
	s_or_b64 exec, exec, s[16:17]
	v_lshlrev_b32_e32 v3, 2, v0
	s_waitcnt vmcnt(0)
	ds_write_b32 v3, v1 offset:4544
.LBB83_7:
	s_or_b64 exec, exec, s[10:11]
	s_load_dword s20, s[4:5], 0x28
	v_lshl_add_u32 v17, v2, 6, v0
	s_mul_i32 s9, s9, s7
	s_mul_hi_u32 s10, s8, s7
	v_and_b32_e32 v1, 31, v0
	v_lshrrev_b32_e32 v13, 5, v17
	s_add_i32 s9, s10, s9
	s_mul_i32 s8, s8, s7
	s_lshl_b64 s[8:9], s[8:9], 2
	s_waitcnt lgkmcnt(0)
	v_mad_u64_u32 v[3:4], s[4:5], s20, v13, v[1:2]
	s_add_u32 s10, s12, s8
	s_addc_u32 s11, s13, s9
	s_lshl_b64 s[8:9], s[14:15], 2
	s_add_u32 s8, s10, s8
	s_addc_u32 s9, s11, s9
	s_ashr_i32 s27, s26, 31
	v_ashrrev_i32_e32 v4, 31, v3
	s_lshl_b64 s[4:5], s[26:27], 2
	v_lshlrev_b64 v[9:10], 2, v[3:4]
	s_add_u32 s4, s8, s4
	s_addc_u32 s5, s9, s5
	v_add_co_u32_e32 v4, vcc, s4, v9
	s_mul_i32 s4, s20, s26
	v_mov_b32_e32 v3, s5
	s_ashr_i32 s5, s4, 31
	v_addc_co_u32_e32 v5, vcc, v3, v10, vcc
	s_lshl_b64 s[28:29], s[4:5], 2
	v_mov_b32_e32 v6, s29
	v_add_co_u32_e32 v3, vcc, s28, v4
	s_cmp_lg_u32 s24, 0
	v_addc_co_u32_e32 v4, vcc, v5, v6, vcc
	s_cselect_b64 s[30:31], -1, 0
	s_cmp_eq_u32 s24, 0
	s_cselect_b64 s[16:17], -1, 0
	s_mov_b64 s[4:5], -1
	s_and_b64 vcc, exec, s[30:31]
	s_cbranch_vccnz .LBB83_9
; %bb.8:
	s_lshl_b32 s4, s20, 3
	s_ashr_i32 s5, s4, 31
	s_lshl_b64 s[4:5], s[4:5], 2
	v_mov_b32_e32 v6, s5
	v_add_co_u32_e32 v5, vcc, s4, v3
	s_ashr_i32 s21, s20, 31
	v_addc_co_u32_e32 v6, vcc, v4, v6, vcc
	s_lshl_b64 s[4:5], s[20:21], 5
	v_mov_b32_e32 v15, s5
	v_add_co_u32_e32 v11, vcc, s4, v5
	v_addc_co_u32_e32 v12, vcc, v6, v15, vcc
	v_add_co_u32_e32 v14, vcc, s4, v11
	v_addc_co_u32_e32 v15, vcc, v12, v15, vcc
	global_load_dword v16, v[3:4], off
	global_load_dword v18, v[5:6], off
	;; [unrolled: 1-line block ×4, first 2 shown]
	v_mul_u32_u24_e32 v5, 0x84, v13
	v_lshl_add_u32 v5, v1, 2, v5
	s_mov_b64 s[4:5], 0
	s_waitcnt vmcnt(3)
	ds_write_b32 v5, v16
	s_waitcnt vmcnt(2)
	ds_write_b32 v5, v18 offset:1056
	s_waitcnt vmcnt(1)
	ds_write_b32 v5, v20 offset:2112
	s_waitcnt vmcnt(0)
	ds_write_b32 v5, v21 offset:3168
.LBB83_9:
	s_andn2_b64 vcc, exec, s[4:5]
	v_lshlrev_b32_e32 v14, 2, v1
	s_cbranch_vccnz .LBB83_19
; %bb.10:
	v_sub_co_u32_e32 v5, vcc, v3, v14
	s_ashr_i32 s25, s24, 31
	v_subbrev_co_u32_e32 v6, vcc, 0, v4, vcc
	s_lshl_b64 s[8:9], s[24:25], 2
	v_mov_b32_e32 v11, s9
	v_add_co_u32_e32 v5, vcc, s8, v5
	v_addc_co_u32_e32 v6, vcc, v6, v11, vcc
	v_add_co_u32_e32 v5, vcc, -4, v5
	v_addc_co_u32_e32 v6, vcc, -1, v6, vcc
	v_cmp_gt_i32_e32 vcc, s24, v1
	v_mov_b32_e32 v12, 0
	v_cndmask_b32_e32 v6, v6, v4, vcc
	v_cndmask_b32_e32 v5, v5, v3, vcc
	v_cmp_gt_i32_e64 s[4:5], s24, v13
	v_mov_b32_e32 v15, 0
	s_and_saveexec_b64 s[10:11], s[4:5]
	s_cbranch_execz .LBB83_12
; %bb.11:
	global_load_dword v15, v[5:6], off
.LBB83_12:
	s_or_b64 exec, exec, s[10:11]
	s_movk_i32 s4, 0x84
	v_mad_u32_u24 v16, v13, s4, v14
	s_waitcnt vmcnt(0)
	ds_write_b32 v16, v15
	v_add_u32_e32 v15, 8, v13
	v_mul_u32_u24_e32 v11, 0x84, v13
	v_cmp_gt_i32_e64 s[4:5], s24, v15
	s_and_saveexec_b64 s[10:11], s[4:5]
	s_cbranch_execz .LBB83_14
; %bb.13:
	s_lshl_b32 s4, s20, 3
	s_ashr_i32 s5, s4, 31
	s_lshl_b64 s[4:5], s[4:5], 2
	v_mov_b32_e32 v12, s5
	v_add_co_u32_e64 v15, s[4:5], s4, v5
	v_addc_co_u32_e64 v16, s[4:5], v6, v12, s[4:5]
	global_load_dword v12, v[15:16], off
.LBB83_14:
	s_or_b64 exec, exec, s[10:11]
	v_add_u32_e32 v11, v11, v14
	s_waitcnt vmcnt(0)
	ds_write_b32 v11, v12 offset:1056
	v_add_u32_e32 v12, 16, v13
	v_cmp_gt_i32_e64 s[4:5], s24, v12
	v_mov_b32_e32 v12, 0
	v_mov_b32_e32 v15, 0
	s_and_saveexec_b64 s[10:11], s[4:5]
	s_cbranch_execz .LBB83_16
; %bb.15:
	s_lshl_b32 s4, s20, 4
	s_ashr_i32 s5, s4, 31
	s_lshl_b64 s[4:5], s[4:5], 2
	v_mov_b32_e32 v16, s5
	v_add_co_u32_e64 v15, s[4:5], s4, v5
	v_addc_co_u32_e64 v16, s[4:5], v6, v16, s[4:5]
	global_load_dword v15, v[15:16], off
.LBB83_16:
	s_or_b64 exec, exec, s[10:11]
	s_waitcnt vmcnt(0)
	ds_write_b32 v11, v15 offset:2112
	v_add_u32_e32 v15, 24, v13
	v_cmp_gt_i32_e64 s[4:5], s24, v15
	s_and_saveexec_b64 s[10:11], s[4:5]
	s_cbranch_execz .LBB83_18
; %bb.17:
	s_mul_i32 s4, s20, 24
	s_ashr_i32 s5, s4, 31
	s_lshl_b64 s[4:5], s[4:5], 2
	v_mov_b32_e32 v12, s5
	v_add_co_u32_e64 v15, s[4:5], s4, v5
	v_addc_co_u32_e64 v16, s[4:5], v6, v12, s[4:5]
	global_load_dword v12, v[15:16], off
.LBB83_18:
	s_or_b64 exec, exec, s[10:11]
	v_add_co_u32_e64 v5, s[4:5], v5, v14
	v_addc_co_u32_e64 v6, s[4:5], 0, v6, s[4:5]
	s_waitcnt vmcnt(0)
	ds_write_b32 v11, v12 offset:3168
	v_mov_b32_e32 v11, s9
	v_subrev_co_u32_e64 v5, s[4:5], s8, v5
	v_subb_co_u32_e64 v6, s[4:5], v6, v11, s[4:5]
	v_add_co_u32_e64 v5, s[4:5], 4, v5
	v_addc_co_u32_e64 v6, s[4:5], 0, v6, s[4:5]
	v_cndmask_b32_e32 v4, v6, v4, vcc
	v_cndmask_b32_e32 v3, v5, v3, vcc
.LBB83_19:
	v_lshlrev_b32_e32 v5, 2, v13
	v_lshl_or_b32 v6, v1, 7, v14
	v_cmp_lt_u32_e64 s[18:19], v5, v1
	s_waitcnt lgkmcnt(0)
	s_barrier
	s_and_saveexec_b64 s[4:5], s[18:19]
	s_cbranch_execz .LBB83_21
; %bb.20:
	s_movk_i32 s8, 0x210
	v_mad_u32_u24 v11, v13, s8, v14
	ds_read_b32 v11, v11
	v_lshl_add_u32 v12, v5, 2, v6
	s_waitcnt lgkmcnt(0)
	ds_write_b32 v12, v11
.LBB83_21:
	s_or_b64 exec, exec, s[4:5]
	v_or_b32_e32 v11, 1, v5
	v_cmp_lt_u32_e64 s[8:9], v11, v1
	s_and_saveexec_b64 s[4:5], s[8:9]
	s_cbranch_execz .LBB83_23
; %bb.22:
	s_movk_i32 s10, 0x84
	v_mad_u32_u24 v12, v11, s10, v14
	ds_read_b32 v12, v12
	v_lshl_add_u32 v15, v5, 2, v6
	s_waitcnt lgkmcnt(0)
	ds_write_b32 v15, v12 offset:4
.LBB83_23:
	s_or_b64 exec, exec, s[4:5]
	v_or_b32_e32 v12, 2, v5
	v_cmp_lt_u32_e64 s[10:11], v12, v1
	s_and_saveexec_b64 s[4:5], s[10:11]
	s_cbranch_execz .LBB83_25
; %bb.24:
	s_movk_i32 s12, 0x84
	v_mad_u32_u24 v12, v12, s12, v14
	ds_read_b32 v12, v12
	v_lshl_add_u32 v15, v5, 2, v6
	s_waitcnt lgkmcnt(0)
	ds_write_b32 v15, v12 offset:8
.LBB83_25:
	s_or_b64 exec, exec, s[4:5]
	v_or_b32_e32 v15, 3, v5
	v_cmp_lt_u32_e64 s[12:13], v15, v1
	v_cmp_ge_u32_e32 vcc, v15, v1
                                        ; implicit-def: $vgpr12
	s_and_saveexec_b64 s[4:5], vcc
	s_xor_b64 s[4:5], exec, s[4:5]
; %bb.26:
	v_mul_u32_u24_e32 v12, 0x84, v15
                                        ; implicit-def: $vgpr6
                                        ; implicit-def: $vgpr15
; %bb.27:
	s_andn2_saveexec_b64 s[4:5], s[4:5]
	s_cbranch_execz .LBB83_29
; %bb.28:
	s_movk_i32 s14, 0x84
	v_mad_u32_u24 v12, v15, s14, v14
	ds_read_b32 v16, v12
	v_lshl_add_u32 v6, v5, 2, v6
	v_mul_u32_u24_e32 v12, 0x84, v15
	s_waitcnt lgkmcnt(0)
	ds_write_b32 v6, v16 offset:12
.LBB83_29:
	s_or_b64 exec, exec, s[4:5]
	s_movk_i32 s4, 0x210
	v_mad_u32_u24 v15, v13, s4, v14
	s_movk_i32 s4, 0x84
	s_waitcnt lgkmcnt(0)
	s_barrier
	v_lshlrev_b32_e32 v6, 2, v5
	ds_read_b32 v18, v15
	ds_read_b128 v[23:26], v6 offset:4544
	v_mad_u32_u24 v15, v11, s4, v14
	ds_read2_b32 v[15:16], v15 offset1:33
	v_add_u32_e32 v12, v14, v12
	ds_read_b32 v20, v12
	s_waitcnt lgkmcnt(2)
	v_fma_f32 v21, v18, v23, 0
	v_mov_b32_e32 v22, 0
	s_waitcnt lgkmcnt(1)
	v_fmac_f32_e32 v21, v15, v24
	v_mul_u32_u24_e32 v15, 33, v1
	v_fmac_f32_e32 v21, v16, v25
	v_lshlrev_b32_e32 v18, 2, v15
	s_waitcnt lgkmcnt(0)
	v_fmac_f32_e32 v21, v20, v26
	v_lshl_add_u32 v20, v13, 2, v18
	v_cmp_gt_u32_e64 s[4:5], 32, v17
	s_barrier
	ds_write_b32 v20, v21
	s_waitcnt lgkmcnt(0)
	s_barrier
	s_and_saveexec_b64 s[14:15], s[4:5]
	s_cbranch_execz .LBB83_31
; %bb.30:
	ds_read2_b32 v[15:16], v18 offset1:1
	ds_read2_b32 v[21:22], v18 offset0:2 offset1:3
	ds_read2_b32 v[23:24], v18 offset0:4 offset1:5
	;; [unrolled: 1-line block ×3, first 2 shown]
	s_waitcnt lgkmcnt(3)
	v_add_f32_e32 v15, v15, v16
	s_waitcnt lgkmcnt(2)
	v_add_f32_e32 v15, v15, v21
	v_add_f32_e32 v15, v15, v22
	s_waitcnt lgkmcnt(1)
	v_add_f32_e32 v15, v15, v23
	;; [unrolled: 3-line block ×3, first 2 shown]
	v_add_f32_e32 v22, v15, v26
.LBB83_31:
	s_or_b64 exec, exec, s[14:15]
	s_lshl_b32 s14, s20, 5
	s_ashr_i32 s15, s14, 31
	s_lshl_b64 s[34:35], s[14:15], 2
	v_mov_b32_e32 v15, s35
	v_add_co_u32_e32 v3, vcc, s34, v3
	v_addc_co_u32_e32 v4, vcc, v4, v15, vcc
	v_add_co_u32_e32 v15, vcc, 0x80, v3
	v_addc_co_u32_e32 v16, vcc, 0, v4, vcc
	v_cndmask_b32_e64 v21, 0, 1, s[16:17]
	v_cmp_ne_u32_e64 s[14:15], 1, v21
	s_andn2_b64 vcc, exec, s[16:17]
	s_mov_b64 s[16:17], -1
	s_barrier
	s_cbranch_vccnz .LBB83_33
; %bb.32:
	s_lshl_b32 s16, s20, 3
	s_ashr_i32 s17, s16, 31
	s_lshl_b64 s[16:17], s[16:17], 2
	v_mov_b32_e32 v21, s17
	v_add_co_u32_e32 v23, vcc, s16, v3
	s_ashr_i32 s21, s20, 31
	v_addc_co_u32_e32 v24, vcc, v4, v21, vcc
	s_lshl_b64 s[16:17], s[20:21], 5
	v_mov_b32_e32 v21, s17
	v_add_co_u32_e32 v25, vcc, s16, v23
	v_addc_co_u32_e32 v26, vcc, v24, v21, vcc
	v_add_co_u32_e32 v27, vcc, s16, v25
	v_addc_co_u32_e32 v28, vcc, v26, v21, vcc
	global_load_dword v21, v[3:4], off offset:128
	global_load_dword v29, v[23:24], off offset:128
	;; [unrolled: 1-line block ×4, first 2 shown]
	s_movk_i32 s16, 0x84
	v_mad_u32_u24 v23, v13, s16, v14
	s_mov_b64 s[16:17], 0
	s_waitcnt vmcnt(3)
	ds_write_b32 v23, v21
	s_waitcnt vmcnt(2)
	ds_write_b32 v23, v29 offset:1056
	s_waitcnt vmcnt(1)
	ds_write_b32 v23, v30 offset:2112
	;; [unrolled: 2-line block ×3, first 2 shown]
.LBB83_33:
	s_andn2_b64 vcc, exec, s[16:17]
	s_cbranch_vccnz .LBB83_43
; %bb.34:
	v_sub_co_u32_e32 v3, vcc, v3, v14
	s_ashr_i32 s25, s24, 31
	v_subbrev_co_u32_e32 v4, vcc, 0, v4, vcc
	s_lshl_b64 s[36:37], s[24:25], 2
	v_mov_b32_e32 v24, s37
	v_add_co_u32_e32 v3, vcc, s36, v3
	v_addc_co_u32_e32 v4, vcc, v4, v24, vcc
	v_or_b32_e32 v21, 32, v1
	v_add_co_u32_e32 v3, vcc, -4, v3
	v_addc_co_u32_e32 v4, vcc, -1, v4, vcc
	v_cmp_gt_i32_e64 s[16:17], s24, v21
	s_sub_i32 s21, s24, 32
	v_mov_b32_e32 v23, 0
	v_cndmask_b32_e64 v4, v4, v16, s[16:17]
	v_cndmask_b32_e64 v3, v3, v15, s[16:17]
	v_cmp_gt_i32_e32 vcc, s21, v13
	v_mov_b32_e32 v24, 0
	s_and_saveexec_b64 s[38:39], vcc
	s_cbranch_execz .LBB83_36
; %bb.35:
	global_load_dword v24, v[3:4], off
.LBB83_36:
	s_or_b64 exec, exec, s[38:39]
	s_movk_i32 s25, 0x84
	v_mad_u32_u24 v25, v13, s25, v14
	s_waitcnt vmcnt(0)
	ds_write_b32 v25, v24
	v_add_u32_e32 v24, 8, v13
	v_mul_u32_u24_e32 v21, 0x84, v13
	v_cmp_gt_i32_e32 vcc, s21, v24
	s_and_saveexec_b64 s[38:39], vcc
	s_cbranch_execz .LBB83_38
; %bb.37:
	s_lshl_b32 s44, s20, 3
	s_ashr_i32 s45, s44, 31
	s_lshl_b64 s[44:45], s[44:45], 2
	v_mov_b32_e32 v24, s45
	v_add_co_u32_e32 v23, vcc, s44, v3
	v_addc_co_u32_e32 v24, vcc, v4, v24, vcc
	global_load_dword v23, v[23:24], off
.LBB83_38:
	s_or_b64 exec, exec, s[38:39]
	v_add_u32_e32 v21, v21, v14
	s_waitcnt vmcnt(0)
	ds_write_b32 v21, v23 offset:1056
	v_add_u32_e32 v23, 16, v13
	v_cmp_gt_i32_e32 vcc, s21, v23
	v_mov_b32_e32 v23, 0
	v_mov_b32_e32 v24, 0
	s_and_saveexec_b64 s[38:39], vcc
	s_cbranch_execz .LBB83_40
; %bb.39:
	s_lshl_b32 s44, s20, 4
	s_ashr_i32 s45, s44, 31
	s_lshl_b64 s[44:45], s[44:45], 2
	v_mov_b32_e32 v25, s45
	v_add_co_u32_e32 v24, vcc, s44, v3
	v_addc_co_u32_e32 v25, vcc, v4, v25, vcc
	global_load_dword v24, v[24:25], off
.LBB83_40:
	s_or_b64 exec, exec, s[38:39]
	s_waitcnt vmcnt(0)
	ds_write_b32 v21, v24 offset:2112
	v_add_u32_e32 v24, 24, v13
	v_cmp_gt_i32_e32 vcc, s21, v24
	s_and_saveexec_b64 s[38:39], vcc
	s_cbranch_execz .LBB83_42
; %bb.41:
	s_mul_i32 s44, s20, 24
	s_ashr_i32 s45, s44, 31
	s_lshl_b64 s[44:45], s[44:45], 2
	v_mov_b32_e32 v24, s45
	v_add_co_u32_e32 v23, vcc, s44, v3
	v_addc_co_u32_e32 v24, vcc, v4, v24, vcc
	global_load_dword v23, v[23:24], off
.LBB83_42:
	s_or_b64 exec, exec, s[38:39]
	v_add_co_u32_e32 v3, vcc, v3, v14
	v_addc_co_u32_e32 v4, vcc, 0, v4, vcc
	s_waitcnt vmcnt(0)
	ds_write_b32 v21, v23 offset:3168
	v_mov_b32_e32 v21, s37
	v_subrev_co_u32_e32 v3, vcc, s36, v3
	v_subb_co_u32_e32 v4, vcc, v4, v21, vcc
	v_add_co_u32_e32 v3, vcc, 0x84, v3
	v_addc_co_u32_e32 v4, vcc, 0, v4, vcc
	v_cndmask_b32_e64 v16, v4, v16, s[16:17]
	v_cndmask_b32_e64 v15, v3, v15, s[16:17]
.LBB83_43:
	v_mul_u32_u24_e32 v3, 0x210, v13
	v_add_u32_e32 v6, 0x11c0, v6
	v_mul_u32_u24_e32 v4, 0x84, v11
	v_add_u32_e32 v3, v14, v3
	s_waitcnt lgkmcnt(0)
	s_barrier
	s_and_saveexec_b64 s[16:17], s[18:19]
	s_cbranch_execnz .LBB83_52
; %bb.44:
	s_or_b64 exec, exec, s[16:17]
	v_add_u32_e32 v4, v14, v4
	s_and_saveexec_b64 s[16:17], s[8:9]
	s_cbranch_execnz .LBB83_53
.LBB83_45:
	s_or_b64 exec, exec, s[16:17]
	s_and_saveexec_b64 s[8:9], s[10:11]
	s_cbranch_execnz .LBB83_54
.LBB83_46:
	s_or_b64 exec, exec, s[8:9]
	s_and_saveexec_b64 s[8:9], s[12:13]
	s_cbranch_execz .LBB83_48
.LBB83_47:
	ds_read_b32 v11, v12
	v_lshl_add_u32 v21, v5, 2, v18
	s_waitcnt lgkmcnt(0)
	ds_write_b32 v21, v11 offset:12
.LBB83_48:
	s_or_b64 exec, exec, s[8:9]
	s_waitcnt lgkmcnt(0)
	s_barrier
	ds_read_b32 v11, v3
	ds_read_b128 v[23:26], v6 offset:128
	ds_read2_b32 v[3:4], v4 offset1:33
	ds_read_b32 v12, v12
	v_cmp_eq_u32_e64 s[10:11], 1, v13
	s_waitcnt lgkmcnt(0)
	v_fma_f32 v11, v11, v23, 0
	v_fmac_f32_e32 v11, v3, v24
	v_fmac_f32_e32 v11, v4, v25
	;; [unrolled: 1-line block ×3, first 2 shown]
	s_barrier
	ds_write_b32 v20, v11
	s_waitcnt lgkmcnt(0)
	s_barrier
	s_and_saveexec_b64 s[8:9], s[10:11]
	s_cbranch_execz .LBB83_50
; %bb.49:
	ds_read2_b32 v[3:4], v18 offset1:1
	ds_read2_b32 v[11:12], v18 offset0:2 offset1:3
	ds_read2_b32 v[21:22], v18 offset0:4 offset1:5
	;; [unrolled: 1-line block ×3, first 2 shown]
	s_waitcnt lgkmcnt(3)
	v_add_f32_e32 v3, v3, v4
	s_waitcnt lgkmcnt(2)
	v_add_f32_e32 v3, v3, v11
	v_add_f32_e32 v3, v3, v12
	s_waitcnt lgkmcnt(1)
	v_add_f32_e32 v3, v3, v21
	v_add_f32_e32 v3, v3, v22
	s_waitcnt lgkmcnt(0)
	v_add_f32_e32 v3, v3, v23
	v_add_f32_e32 v22, v3, v24
.LBB83_50:
	s_or_b64 exec, exec, s[8:9]
	v_mov_b32_e32 v3, s35
	v_subrev_co_u32_e64 v11, s[8:9], s34, v15
	s_and_b64 vcc, exec, s[14:15]
	v_subb_co_u32_e64 v12, s[8:9], v16, v3, s[8:9]
	s_barrier
	s_cbranch_vccnz .LBB83_55
; %bb.51:
	s_lshl_b32 s8, s20, 3
	s_ashr_i32 s9, s8, 31
	s_lshl_b64 s[8:9], s[8:9], 2
	v_mov_b32_e32 v4, s9
	v_add_co_u32_e32 v3, vcc, s8, v11
	s_ashr_i32 s21, s20, 31
	v_addc_co_u32_e32 v4, vcc, v12, v4, vcc
	s_lshl_b64 s[8:9], s[20:21], 5
	v_mov_b32_e32 v21, s9
	v_add_co_u32_e32 v15, vcc, s8, v3
	v_addc_co_u32_e32 v16, vcc, v4, v21, vcc
	v_add_co_u32_e32 v23, vcc, s8, v15
	v_addc_co_u32_e32 v24, vcc, v16, v21, vcc
	global_load_dword v27, v[11:12], off
	global_load_dword v28, v[3:4], off
	;; [unrolled: 1-line block ×4, first 2 shown]
	s_movk_i32 s8, 0x84
	v_mov_b32_e32 v3, 0x420
	v_mov_b32_e32 v4, 0x840
	;; [unrolled: 1-line block ×3, first 2 shown]
	v_mul_u32_u24_e32 v16, 0x84, v13
	v_add_u32_e32 v15, 8, v13
	v_add_u32_e32 v21, 16, v13
	;; [unrolled: 1-line block ×3, first 2 shown]
	v_mad_u32_u24 v31, v13, s8, v14
	v_mad_u32_u24 v23, v13, s8, v3
	;; [unrolled: 1-line block ×4, first 2 shown]
	v_add_u32_e32 v3, v14, v23
	v_add_u32_e32 v4, v14, v25
	v_add_u32_e32 v32, v14, v26
	s_waitcnt vmcnt(3)
	ds_write_b32 v31, v27
	s_waitcnt vmcnt(2)
	ds_write_b32 v3, v28
	;; [unrolled: 2-line block ×4, first 2 shown]
	s_cbranch_execz .LBB83_56
	s_branch .LBB83_65
.LBB83_52:
	ds_read_b32 v11, v3
	v_lshl_add_u32 v21, v5, 2, v18
	s_waitcnt lgkmcnt(0)
	ds_write_b32 v21, v11
	s_or_b64 exec, exec, s[16:17]
	v_add_u32_e32 v4, v14, v4
	s_and_saveexec_b64 s[16:17], s[8:9]
	s_cbranch_execz .LBB83_45
.LBB83_53:
	ds_read_b32 v11, v4
	v_lshl_add_u32 v21, v5, 2, v18
	s_waitcnt lgkmcnt(0)
	ds_write_b32 v21, v11 offset:4
	s_or_b64 exec, exec, s[16:17]
	s_and_saveexec_b64 s[8:9], s[10:11]
	s_cbranch_execz .LBB83_46
.LBB83_54:
	ds_read_b32 v11, v4 offset:132
	v_lshl_add_u32 v21, v5, 2, v18
	s_waitcnt lgkmcnt(0)
	ds_write_b32 v21, v11 offset:8
	s_or_b64 exec, exec, s[8:9]
	s_and_saveexec_b64 s[8:9], s[12:13]
	s_cbranch_execnz .LBB83_47
	s_branch .LBB83_48
.LBB83_55:
                                        ; implicit-def: $vgpr16
                                        ; implicit-def: $vgpr15
                                        ; implicit-def: $vgpr23
                                        ; implicit-def: $vgpr21
                                        ; implicit-def: $vgpr25
                                        ; implicit-def: $vgpr24
                                        ; implicit-def: $vgpr26
.LBB83_56:
	v_sub_co_u32_e32 v4, vcc, v11, v14
	s_ashr_i32 s25, s24, 31
	v_subbrev_co_u32_e32 v15, vcc, 0, v12, vcc
	s_lshl_b64 s[12:13], s[24:25], 2
	v_mov_b32_e32 v16, s13
	v_add_co_u32_e32 v4, vcc, s12, v4
	v_addc_co_u32_e32 v15, vcc, v15, v16, vcc
	v_or_b32_e32 v3, 32, v1
	v_add_co_u32_e32 v16, vcc, 0xffffff7c, v4
	v_addc_co_u32_e32 v4, vcc, -1, v15, vcc
	v_cmp_gt_i32_e64 s[8:9], s24, v3
	v_mov_b32_e32 v1, 0
	v_cndmask_b32_e64 v4, v4, v12, s[8:9]
	v_cndmask_b32_e64 v3, v16, v11, s[8:9]
	v_cmp_gt_i32_e32 vcc, s24, v13
	v_mov_b32_e32 v15, 0
	s_and_saveexec_b64 s[14:15], vcc
	s_cbranch_execz .LBB83_58
; %bb.57:
	global_load_dword v15, v[3:4], off
.LBB83_58:
	s_or_b64 exec, exec, s[14:15]
	s_movk_i32 s14, 0x84
	v_mad_u32_u24 v21, v13, s14, v14
	s_waitcnt vmcnt(0)
	ds_write_b32 v21, v15
	v_add_u32_e32 v15, 8, v13
	v_mul_u32_u24_e32 v16, 0x84, v13
	v_cmp_gt_i32_e32 vcc, s24, v15
	s_and_saveexec_b64 s[14:15], vcc
	s_cbranch_execz .LBB83_60
; %bb.59:
	s_lshl_b32 s16, s20, 3
	s_ashr_i32 s17, s16, 31
	s_lshl_b64 s[16:17], s[16:17], 2
	v_mov_b32_e32 v1, s17
	v_add_co_u32_e32 v23, vcc, s16, v3
	v_addc_co_u32_e32 v24, vcc, v4, v1, vcc
	global_load_dword v1, v[23:24], off
.LBB83_60:
	s_or_b64 exec, exec, s[14:15]
	v_add_u32_e32 v23, 0x420, v16
	v_add_u32_e32 v21, v14, v23
	s_waitcnt vmcnt(0)
	ds_write_b32 v21, v1
	v_add_u32_e32 v21, 16, v13
	v_cmp_gt_i32_e32 vcc, s24, v21
	v_mov_b32_e32 v1, 0
	v_mov_b32_e32 v24, 0
	s_and_saveexec_b64 s[14:15], vcc
	s_cbranch_execz .LBB83_62
; %bb.61:
	s_lshl_b32 s16, s20, 4
	s_ashr_i32 s17, s16, 31
	s_lshl_b64 s[16:17], s[16:17], 2
	v_mov_b32_e32 v25, s17
	v_add_co_u32_e32 v24, vcc, s16, v3
	v_addc_co_u32_e32 v25, vcc, v4, v25, vcc
	global_load_dword v24, v[24:25], off
.LBB83_62:
	s_or_b64 exec, exec, s[14:15]
	v_add_u32_e32 v25, 0x420, v23
	v_add_u32_e32 v26, v14, v25
	s_waitcnt vmcnt(0)
	ds_write_b32 v26, v24
	v_add_u32_e32 v24, 24, v13
	v_cmp_gt_i32_e32 vcc, s24, v24
	s_and_saveexec_b64 s[14:15], vcc
	s_cbranch_execz .LBB83_64
; %bb.63:
	s_mul_i32 s16, s20, 24
	s_ashr_i32 s17, s16, 31
	s_lshl_b64 s[16:17], s[16:17], 2
	v_mov_b32_e32 v1, s17
	v_add_co_u32_e32 v26, vcc, s16, v3
	v_addc_co_u32_e32 v27, vcc, v4, v1, vcc
	global_load_dword v1, v[26:27], off
.LBB83_64:
	s_or_b64 exec, exec, s[14:15]
	v_add_u32_e32 v26, 0x420, v25
	v_add_u32_e32 v13, v14, v26
	s_waitcnt vmcnt(0)
	ds_write_b32 v13, v1
	v_add_co_u32_e32 v1, vcc, v3, v14
	v_addc_co_u32_e32 v3, vcc, 0, v4, vcc
	v_mov_b32_e32 v4, s13
	v_subrev_co_u32_e32 v1, vcc, s12, v1
	v_subb_co_u32_e32 v3, vcc, v3, v4, vcc
	v_add_co_u32_e32 v1, vcc, 0x84, v1
	v_addc_co_u32_e32 v3, vcc, 0, v3, vcc
	v_cndmask_b32_e64 v12, v3, v12, s[8:9]
	v_cndmask_b32_e64 v11, v1, v11, s[8:9]
.LBB83_65:
	v_add_u32_e32 v1, v14, v16
	s_waitcnt lgkmcnt(0)
	s_barrier
	v_add_u32_e32 v3, v14, v23
	ds_read_b32 v1, v1
	ds_read_b32 v23, v5 offset:4544
	ds_read_b32 v27, v3
	v_lshlrev_b32_e32 v3, 2, v15
	v_add_u32_e32 v4, v14, v25
	v_lshlrev_b32_e32 v13, 2, v21
	v_add_u32_e32 v14, v14, v26
	v_lshlrev_b32_e32 v15, 2, v24
	s_waitcnt lgkmcnt(1)
	v_fma_f32 v1, v1, v23, 0
	v_lshl_add_u32 v21, v5, 2, v18
	ds_read_b32 v24, v3 offset:4544
	ds_read_b32 v25, v4
	ds_read_b32 v26, v13 offset:4544
	ds_read_b32 v28, v14
	ds_read_b32 v29, v15 offset:4544
	ds_read2_b32 v[15:16], v21 offset1:1
	ds_read_b128 v[3:6], v6 offset:128
	ds_read2_b32 v[13:14], v21 offset0:2 offset1:3
	s_waitcnt lgkmcnt(7)
	v_fmac_f32_e32 v1, v27, v24
	s_waitcnt lgkmcnt(5)
	v_fmac_f32_e32 v1, v25, v26
	;; [unrolled: 2-line block ×3, first 2 shown]
	s_waitcnt lgkmcnt(0)
	s_barrier
	ds_write_b32 v20, v1
	s_waitcnt lgkmcnt(0)
	s_barrier
	s_and_saveexec_b64 s[8:9], s[10:11]
	s_cbranch_execz .LBB83_67
; %bb.66:
	ds_read2_b32 v[23:24], v18 offset1:1
	ds_read2_b32 v[25:26], v18 offset0:2 offset1:3
	ds_read2_b32 v[27:28], v18 offset0:4 offset1:5
	ds_read2_b32 v[29:30], v18 offset0:6 offset1:7
	s_waitcnt lgkmcnt(3)
	v_add_f32_e32 v1, v22, v23
	v_add_f32_e32 v1, v1, v24
	s_waitcnt lgkmcnt(2)
	v_add_f32_e32 v1, v1, v25
	v_add_f32_e32 v1, v1, v26
	;; [unrolled: 3-line block ×4, first 2 shown]
.LBB83_67:
	s_or_b64 exec, exec, s[8:9]
	v_fma_f32 v1, v15, v3, 0
	v_fmac_f32_e32 v1, v16, v4
	v_fmac_f32_e32 v1, v13, v5
	;; [unrolled: 1-line block ×3, first 2 shown]
	s_barrier
	ds_write_b32 v20, v1
	s_waitcnt lgkmcnt(0)
	s_barrier
	s_and_saveexec_b64 s[8:9], s[4:5]
	s_cbranch_execz .LBB83_69
; %bb.68:
	ds_read2_b32 v[3:4], v18 offset1:1
	ds_read2_b32 v[5:6], v18 offset0:2 offset1:3
	ds_read2_b32 v[13:14], v18 offset0:4 offset1:5
	;; [unrolled: 1-line block ×3, first 2 shown]
	s_waitcnt lgkmcnt(3)
	v_add_f32_e32 v1, v22, v3
	v_add_f32_e32 v1, v1, v4
	s_waitcnt lgkmcnt(2)
	v_add_f32_e32 v1, v1, v5
	v_add_f32_e32 v1, v1, v6
	s_waitcnt lgkmcnt(1)
	v_add_f32_e32 v1, v1, v13
	v_add_f32_e32 v1, v1, v14
	s_waitcnt lgkmcnt(0)
	v_add_f32_e32 v1, v1, v15
	v_add_f32_e32 v22, v1, v16
.LBB83_69:
	s_or_b64 exec, exec, s[8:9]
	s_mul_hi_u32 s4, s40, s7
	s_mul_i32 s42, s42, s7
	s_add_i32 s4, s4, s42
	s_mul_i32 s7, s40, s7
	s_mul_i32 s4, s4, s41
	s_mul_hi_u32 s5, s7, s41
	s_add_i32 s5, s5, s4
	s_mul_i32 s4, s7, s41
	s_lshl_b64 s[4:5], s[4:5], 2
	s_add_u32 s7, s22, s4
	s_mul_i32 s4, s40, s6
	s_addc_u32 s8, s23, s5
	s_ashr_i32 s5, s4, 31
	s_lshl_b64 s[4:5], s[4:5], 2
	s_add_u32 s7, s7, s4
	v_cmp_le_i32_e32 vcc, s24, v0
	s_addc_u32 s27, s8, s5
	s_and_b64 vcc, s[30:31], vcc
	s_cmp_lt_i32 s6, 1
	v_lshlrev_b32_e32 v23, 2, v0
	s_barrier
	s_cbranch_scc1 .LBB83_76
; %bb.70:
	s_mul_i32 s4, s33, s26
	s_ashr_i32 s5, s4, 31
	s_lshl_b64 s[4:5], s[4:5], 2
	v_mov_b32_e32 v1, s5
	v_subrev_co_u32_e64 v24, s[4:5], s4, v7
	v_mul_lo_u32 v4, v2, s20
	v_subb_co_u32_e64 v25, s[4:5], v8, v1, s[4:5]
	v_mov_b32_e32 v1, s29
	v_subrev_co_u32_e64 v3, s[4:5], s28, v11
	v_subb_co_u32_e64 v1, s[4:5], v12, v1, s[4:5]
	v_sub_co_u32_e64 v6, s[4:5], v3, v9
	v_lshl_add_u32 v3, v4, 2, v0
	v_ashrrev_i32_e32 v4, 31, v3
	v_lshlrev_b64 v[3:4], 2, v[3:4]
	v_subb_co_u32_e64 v1, s[4:5], v1, v10, s[4:5]
	v_add_co_u32_e64 v3, s[4:5], v6, v3
	v_addc_co_u32_e64 v4, s[4:5], v1, v4, s[4:5]
	s_movk_i32 s4, 0xff80
	v_add_co_u32_e64 v6, s[4:5], s4, v3
	v_addc_co_u32_e64 v7, s[4:5], -1, v4, s[4:5]
	v_sub_co_u32_e64 v3, s[4:5], v3, v23
	v_subbrev_co_u32_e64 v4, s[4:5], 0, v4, s[4:5]
	s_ashr_i32 s25, s24, 31
	s_lshl_b64 s[4:5], s[24:25], 2
	v_mov_b32_e32 v8, s5
	v_add_co_u32_e64 v3, s[4:5], s4, v3
	v_addc_co_u32_e64 v4, s[4:5], v4, v8, s[4:5]
	s_movk_i32 s4, 0xff7c
	v_add_co_u32_e64 v3, s[4:5], s4, v3
	v_cndmask_b32_e32 v20, v6, v3, vcc
	v_lshrrev_b32_e32 v6, 2, v17
	v_and_b32_e32 v5, 15, v0
	s_movk_i32 s8, 0x10c
	v_and_b32_e32 v6, 0x1ffc, v6
	v_mad_u32_u24 v30, v5, s8, v6
	v_and_b32_e32 v6, 48, v0
	v_lshlrev_b32_e32 v6, 2, v6
	v_addc_co_u32_e64 v4, s[4:5], -1, v4, s[4:5]
	v_mov_b32_e32 v3, 0x10c0
	v_mad_u32_u24 v31, v5, s8, v6
	v_or_b32_e32 v6, 60, v23
	s_ashr_i32 s21, s20, 31
	v_cndmask_b32_e32 v21, v7, v4, vcc
	v_lshl_add_u32 v27, v2, 4, v3
	s_movk_i32 s4, 0x430
	v_mul_u32_u24_e32 v3, 0x10c, v5
	v_and_b32_e32 v4, 0x7ff0, v17
	v_mad_u32_u24 v32, v5, s8, v6
	s_lshl_b64 s[10:11], s[20:21], 2
	s_lshl_b64 s[14:15], s[20:21], 3
	s_mul_hi_i32 s8, s20, 12
	s_mul_hi_i32 s9, s20, 0x48
	;; [unrolled: 1-line block ×10, first 2 shown]
	s_lshl_b64 s[16:17], s[20:21], 7
	s_mul_hi_i32 s44, s20, 0x44
	s_lshl_b64 s[18:19], s[20:21], 6
	v_mov_b32_e32 v1, 0
	s_lshl_b32 s24, s33, 6
	v_add_u32_e32 v26, 0x10c0, v23
	v_add_u32_e32 v28, 0x11c0, v23
	v_mad_u32_u24 v29, v2, s4, v23
	v_cmp_gt_u32_e64 s[4:5], 64, v17
	s_lshl_b64 s[12:13], s[20:21], 8
	s_mul_i32 s25, s20, 12
	s_mul_i32 s26, s20, 0x48
	;; [unrolled: 1-line block ×11, first 2 shown]
	s_mov_b32 s20, 0
	v_mov_b32_e32 v33, s11
	v_mov_b32_e32 v34, s15
	;; [unrolled: 1-line block ×3, first 2 shown]
	v_add_u32_e32 v36, v3, v4
	v_mov_b32_e32 v37, s19
	v_mov_b32_e32 v38, s44
	;; [unrolled: 1-line block ×12, first 2 shown]
	s_branch .LBB83_72
.LBB83_71:                              ;   in Loop: Header=BB83_72 Depth=1
	s_or_b64 exec, exec, s[22:23]
	v_fmac_f32_e32 v22, v52, v3
	v_fmac_f32_e32 v22, v50, v4
	;; [unrolled: 1-line block ×15, first 2 shown]
	v_mov_b32_e32 v3, s13
	v_add_co_u32_e64 v20, s[8:9], s12, v20
	s_add_i32 s6, s6, -1
	s_add_i32 s20, s20, s24
	v_fmac_f32_e32 v22, v61, v18
	v_addc_co_u32_e64 v21, s[8:9], v21, v3, s[8:9]
	s_cmp_eq_u32 s6, 0
	v_add_u32_e32 v0, 64, v0
	s_waitcnt vmcnt(0)
	s_barrier
	s_cbranch_scc1 .LBB83_76
.LBB83_72:                              ; =>This Inner Loop Header: Depth=1
	s_and_saveexec_b64 s[22:23], s[2:3]
	s_cbranch_execz .LBB83_74
; %bb.73:                               ;   in Loop: Header=BB83_72 Depth=1
	s_ashr_i32 s21, s20, 31
	s_lshl_b64 s[8:9], s[20:21], 2
	v_mov_b32_e32 v4, s9
	v_add_co_u32_e64 v3, s[8:9], s8, v24
	v_addc_co_u32_e64 v4, s[8:9], v25, v4, s[8:9]
	global_load_dword v3, v[3:4], off
	s_waitcnt vmcnt(0)
	ds_write_b32 v26, v3
.LBB83_74:                              ;   in Loop: Header=BB83_72 Depth=1
	s_or_b64 exec, exec, s[22:23]
	v_add_co_u32_e64 v3, s[8:9], s10, v20
	v_addc_co_u32_e64 v4, s[8:9], v21, v33, s[8:9]
	v_add_co_u32_e64 v5, s[8:9], s14, v20
	v_addc_co_u32_e64 v6, s[8:9], v21, v34, s[8:9]
	v_add_co_u32_e64 v7, s[8:9], s25, v20
	s_waitcnt lgkmcnt(0)
	s_barrier
	v_addc_co_u32_e64 v8, s[8:9], v21, v35, s[8:9]
	global_load_dword v52, v[20:21], off
	global_load_dword v50, v[3:4], off
	;; [unrolled: 1-line block ×4, first 2 shown]
	v_add_co_u32_e64 v7, s[8:9], s18, v20
	v_addc_co_u32_e64 v8, s[8:9], v21, v37, s[8:9]
	ds_read_b32 v15, v28
	ds_read_b128 v[3:6], v27
	v_add_co_u32_e64 v9, s[8:9], s37, v20
	v_addc_co_u32_e64 v10, s[8:9], v21, v38, s[8:9]
	v_add_co_u32_e64 v11, s[8:9], s26, v20
	v_addc_co_u32_e64 v12, s[8:9], v21, v39, s[8:9]
	;; [unrolled: 2-line block ×3, first 2 shown]
	s_waitcnt vmcnt(3) lgkmcnt(1)
	v_mul_f32_e32 v16, v52, v15
	s_waitcnt vmcnt(2)
	v_mul_f32_e32 v17, v50, v15
	s_waitcnt vmcnt(1)
	;; [unrolled: 2-line block ×3, first 2 shown]
	v_mul_f32_e32 v15, v51, v15
	ds_write2_b32 v29, v16, v17 offset1:67
	ds_write2_b32 v29, v18, v15 offset0:134 offset1:201
	s_waitcnt lgkmcnt(0)
	s_barrier
	ds_read2_b32 v[15:16], v36 offset1:1
	ds_read2_b32 v[17:18], v36 offset0:2 offset1:3
	s_waitcnt lgkmcnt(0)
	s_barrier
	global_load_dword v56, v[7:8], off
	global_load_dword v54, v[9:10], off
	;; [unrolled: 1-line block ×4, first 2 shown]
	v_add_co_u32_e64 v11, s[8:9], s16, v20
	v_addc_co_u32_e64 v12, s[8:9], v21, v41, s[8:9]
	ds_read_b32 v57, v28
	ds_read_b128 v[7:10], v27 offset:64
	v_add_co_u32_e64 v13, s[8:9], s36, v20
	v_addc_co_u32_e64 v14, s[8:9], v21, v42, s[8:9]
	v_add_co_u32_e64 v61, s[8:9], s29, v20
	v_addc_co_u32_e64 v62, s[8:9], v21, v43, s[8:9]
	;; [unrolled: 2-line block ×7, first 2 shown]
	v_add_f32_e32 v15, 0, v15
	v_add_f32_e32 v15, v15, v16
	;; [unrolled: 1-line block ×3, first 2 shown]
	s_waitcnt vmcnt(3) lgkmcnt(1)
	v_mul_f32_e32 v58, v56, v57
	s_waitcnt vmcnt(2)
	v_mul_f32_e32 v59, v54, v57
	s_waitcnt vmcnt(1)
	;; [unrolled: 2-line block ×3, first 2 shown]
	v_mul_f32_e32 v57, v55, v57
	ds_write2_b32 v29, v58, v59 offset1:67
	ds_write2_b32 v29, v60, v57 offset0:134 offset1:201
	s_waitcnt lgkmcnt(0)
	s_barrier
	ds_read2_b32 v[65:66], v36 offset1:1
	ds_read2_b32 v[67:68], v36 offset0:2 offset1:3
	s_waitcnt lgkmcnt(0)
	s_barrier
	global_load_dword v60, v[11:12], off
	global_load_dword v58, v[13:14], off
	;; [unrolled: 1-line block ×4, first 2 shown]
	ds_read_b32 v61, v28
	ds_read_b128 v[11:14], v27 offset:128
	s_waitcnt vmcnt(3) lgkmcnt(1)
	v_mul_f32_e32 v62, v60, v61
	s_waitcnt vmcnt(2)
	v_mul_f32_e32 v63, v58, v61
	s_waitcnt vmcnt(1)
	;; [unrolled: 2-line block ×3, first 2 shown]
	v_mul_f32_e32 v61, v59, v61
	ds_write2_b32 v29, v62, v63 offset1:67
	ds_write2_b32 v29, v64, v61 offset0:134 offset1:201
	s_waitcnt lgkmcnt(0)
	s_barrier
	ds_read2_b32 v[77:78], v36 offset1:1
	ds_read2_b32 v[79:80], v36 offset0:2 offset1:3
	s_waitcnt lgkmcnt(0)
	s_barrier
	global_load_dword v64, v[69:70], off
	global_load_dword v63, v[71:72], off
	;; [unrolled: 1-line block ×4, first 2 shown]
	v_add_f32_e32 v69, v15, v18
	v_add_f32_e32 v15, 0, v65
	;; [unrolled: 1-line block ×5, first 2 shown]
	ds_read_b32 v65, v28
	ds_read_b128 v[15:18], v27 offset:192
	v_add_f32_e32 v66, 0, v77
	v_add_f32_e32 v66, v66, v78
	;; [unrolled: 1-line block ×4, first 2 shown]
	s_waitcnt vmcnt(3) lgkmcnt(1)
	v_mul_f32_e32 v66, v64, v65
	s_waitcnt vmcnt(2)
	v_mul_f32_e32 v67, v63, v65
	s_waitcnt vmcnt(1)
	;; [unrolled: 2-line block ×3, first 2 shown]
	v_mul_f32_e32 v65, v61, v65
	ds_write2_b32 v29, v66, v67 offset1:67
	ds_write2_b32 v29, v68, v65 offset0:134 offset1:201
	s_waitcnt lgkmcnt(0)
	s_barrier
	ds_read2_b32 v[65:66], v36 offset1:1
	ds_read2_b32 v[67:68], v36 offset0:2 offset1:3
	s_waitcnt lgkmcnt(0)
	s_barrier
	v_add_f32_e32 v65, 0, v65
	v_add_f32_e32 v65, v65, v66
	;; [unrolled: 1-line block ×4, first 2 shown]
	ds_write2_b32 v30, v69, v70 offset1:16
	ds_write2_b32 v30, v71, v65 offset0:32 offset1:48
	s_waitcnt lgkmcnt(0)
	s_barrier
	s_and_saveexec_b64 s[22:23], s[4:5]
	s_cbranch_execz .LBB83_71
; %bb.75:                               ;   in Loop: Header=BB83_72 Depth=1
	ds_read2_b32 v[65:66], v31 offset1:1
	ds_read2_b32 v[67:68], v31 offset0:2 offset1:3
	ds_read2_b32 v[69:70], v31 offset0:4 offset1:5
	;; [unrolled: 1-line block ×4, first 2 shown]
	s_waitcnt lgkmcnt(4)
	v_add_f32_e32 v65, v65, v66
	s_waitcnt lgkmcnt(3)
	v_add_f32_e32 v65, v65, v67
	v_add_f32_e32 v65, v65, v68
	s_waitcnt lgkmcnt(2)
	v_add_f32_e32 v65, v65, v69
	;; [unrolled: 3-line block ×3, first 2 shown]
	v_add_f32_e32 v69, v65, v72
	ds_read2_b32 v[65:66], v31 offset0:10 offset1:11
	ds_read2_b32 v[67:68], v31 offset0:12 offset1:13
	ds_read_b32 v70, v31 offset:56
	s_waitcnt lgkmcnt(3)
	v_add_f32_e32 v69, v69, v73
	v_add_f32_e32 v69, v69, v74
	s_waitcnt lgkmcnt(2)
	v_add_f32_e32 v65, v69, v65
	ds_read_b32 v69, v32
	v_add_f32_e32 v65, v65, v66
	s_waitcnt lgkmcnt(2)
	v_add_f32_e32 v65, v65, v67
	v_add_f32_e32 v65, v65, v68
	s_waitcnt lgkmcnt(1)
	v_add_f32_e32 v65, v65, v70
	s_waitcnt lgkmcnt(0)
	v_add_f32_e32 v67, v65, v69
	v_lshlrev_b64 v[65:66], 2, v[0:1]
	v_mov_b32_e32 v68, s27
	v_add_co_u32_e64 v65, s[8:9], s7, v65
	v_addc_co_u32_e64 v66, s[8:9], v68, v66, s[8:9]
	global_store_dword v[65:66], v67, off
	s_branch .LBB83_71
.LBB83_76:
	s_movk_i32 s2, 0x10c
	v_mad_u32_u24 v0, v2, s2, v23
	s_nor_b64 s[0:1], s[0:1], vcc
	ds_write_b32 v0, v22
	s_waitcnt lgkmcnt(0)
	s_barrier
	s_and_saveexec_b64 s[2:3], s[0:1]
	s_cbranch_execz .LBB83_78
; %bb.77:
	ds_read2_b32 v[0:1], v23 offset1:67
	ds_read2_b32 v[2:3], v23 offset0:134 offset1:201
	v_ashrrev_i32_e32 v20, 31, v19
	v_lshlrev_b64 v[4:5], 2, v[19:20]
	v_mov_b32_e32 v6, s27
	s_waitcnt lgkmcnt(1)
	v_add_f32_e32 v0, v0, v1
	s_waitcnt lgkmcnt(0)
	v_add_f32_e32 v0, v0, v2
	v_add_f32_e32 v2, v0, v3
	v_add_co_u32_e32 v0, vcc, s7, v4
	v_addc_co_u32_e32 v1, vcc, v6, v5, vcc
	global_store_dword v[0:1], v2, off
.LBB83_78:
	s_endpgm
	.section	.rodata,"a",@progbits
	.p2align	6, 0x0
	.amdhsa_kernel _ZL26rocblas_hemvn_kernel_lowerILb0ELi64ELi4ELi33ELi32ELi16EiPKfS1_PfEviT6_lT7_lT5_lS4_lS5_lS3_lT8_i
		.amdhsa_group_segment_fixed_size 4800
		.amdhsa_private_segment_fixed_size 0
		.amdhsa_kernarg_size 376
		.amdhsa_user_sgpr_count 6
		.amdhsa_user_sgpr_private_segment_buffer 1
		.amdhsa_user_sgpr_dispatch_ptr 0
		.amdhsa_user_sgpr_queue_ptr 0
		.amdhsa_user_sgpr_kernarg_segment_ptr 1
		.amdhsa_user_sgpr_dispatch_id 0
		.amdhsa_user_sgpr_flat_scratch_init 0
		.amdhsa_user_sgpr_private_segment_size 0
		.amdhsa_uses_dynamic_stack 0
		.amdhsa_system_sgpr_private_segment_wavefront_offset 0
		.amdhsa_system_sgpr_workgroup_id_x 1
		.amdhsa_system_sgpr_workgroup_id_y 0
		.amdhsa_system_sgpr_workgroup_id_z 1
		.amdhsa_system_sgpr_workgroup_info 0
		.amdhsa_system_vgpr_workitem_id 1
		.amdhsa_next_free_vgpr 81
		.amdhsa_next_free_sgpr 46
		.amdhsa_reserve_vcc 1
		.amdhsa_reserve_flat_scratch 0
		.amdhsa_float_round_mode_32 0
		.amdhsa_float_round_mode_16_64 0
		.amdhsa_float_denorm_mode_32 3
		.amdhsa_float_denorm_mode_16_64 3
		.amdhsa_dx10_clamp 1
		.amdhsa_ieee_mode 1
		.amdhsa_fp16_overflow 0
		.amdhsa_exception_fp_ieee_invalid_op 0
		.amdhsa_exception_fp_denorm_src 0
		.amdhsa_exception_fp_ieee_div_zero 0
		.amdhsa_exception_fp_ieee_overflow 0
		.amdhsa_exception_fp_ieee_underflow 0
		.amdhsa_exception_fp_ieee_inexact 0
		.amdhsa_exception_int_div_zero 0
	.end_amdhsa_kernel
	.section	.text._ZL26rocblas_hemvn_kernel_lowerILb0ELi64ELi4ELi33ELi32ELi16EiPKfS1_PfEviT6_lT7_lT5_lS4_lS5_lS3_lT8_i,"axG",@progbits,_ZL26rocblas_hemvn_kernel_lowerILb0ELi64ELi4ELi33ELi32ELi16EiPKfS1_PfEviT6_lT7_lT5_lS4_lS5_lS3_lT8_i,comdat
.Lfunc_end83:
	.size	_ZL26rocblas_hemvn_kernel_lowerILb0ELi64ELi4ELi33ELi32ELi16EiPKfS1_PfEviT6_lT7_lT5_lS4_lS5_lS3_lT8_i, .Lfunc_end83-_ZL26rocblas_hemvn_kernel_lowerILb0ELi64ELi4ELi33ELi32ELi16EiPKfS1_PfEviT6_lT7_lT5_lS4_lS5_lS3_lT8_i
                                        ; -- End function
	.set _ZL26rocblas_hemvn_kernel_lowerILb0ELi64ELi4ELi33ELi32ELi16EiPKfS1_PfEviT6_lT7_lT5_lS4_lS5_lS3_lT8_i.num_vgpr, 81
	.set _ZL26rocblas_hemvn_kernel_lowerILb0ELi64ELi4ELi33ELi32ELi16EiPKfS1_PfEviT6_lT7_lT5_lS4_lS5_lS3_lT8_i.num_agpr, 0
	.set _ZL26rocblas_hemvn_kernel_lowerILb0ELi64ELi4ELi33ELi32ELi16EiPKfS1_PfEviT6_lT7_lT5_lS4_lS5_lS3_lT8_i.numbered_sgpr, 46
	.set _ZL26rocblas_hemvn_kernel_lowerILb0ELi64ELi4ELi33ELi32ELi16EiPKfS1_PfEviT6_lT7_lT5_lS4_lS5_lS3_lT8_i.num_named_barrier, 0
	.set _ZL26rocblas_hemvn_kernel_lowerILb0ELi64ELi4ELi33ELi32ELi16EiPKfS1_PfEviT6_lT7_lT5_lS4_lS5_lS3_lT8_i.private_seg_size, 0
	.set _ZL26rocblas_hemvn_kernel_lowerILb0ELi64ELi4ELi33ELi32ELi16EiPKfS1_PfEviT6_lT7_lT5_lS4_lS5_lS3_lT8_i.uses_vcc, 1
	.set _ZL26rocblas_hemvn_kernel_lowerILb0ELi64ELi4ELi33ELi32ELi16EiPKfS1_PfEviT6_lT7_lT5_lS4_lS5_lS3_lT8_i.uses_flat_scratch, 0
	.set _ZL26rocblas_hemvn_kernel_lowerILb0ELi64ELi4ELi33ELi32ELi16EiPKfS1_PfEviT6_lT7_lT5_lS4_lS5_lS3_lT8_i.has_dyn_sized_stack, 0
	.set _ZL26rocblas_hemvn_kernel_lowerILb0ELi64ELi4ELi33ELi32ELi16EiPKfS1_PfEviT6_lT7_lT5_lS4_lS5_lS3_lT8_i.has_recursion, 0
	.set _ZL26rocblas_hemvn_kernel_lowerILb0ELi64ELi4ELi33ELi32ELi16EiPKfS1_PfEviT6_lT7_lT5_lS4_lS5_lS3_lT8_i.has_indirect_call, 0
	.section	.AMDGPU.csdata,"",@progbits
; Kernel info:
; codeLenInByte = 5892
; TotalNumSgprs: 50
; NumVgprs: 81
; ScratchSize: 0
; MemoryBound: 0
; FloatMode: 240
; IeeeMode: 1
; LDSByteSize: 4800 bytes/workgroup (compile time only)
; SGPRBlocks: 6
; VGPRBlocks: 20
; NumSGPRsForWavesPerEU: 50
; NumVGPRsForWavesPerEU: 81
; Occupancy: 3
; WaveLimiterHint : 1
; COMPUTE_PGM_RSRC2:SCRATCH_EN: 0
; COMPUTE_PGM_RSRC2:USER_SGPR: 6
; COMPUTE_PGM_RSRC2:TRAP_HANDLER: 0
; COMPUTE_PGM_RSRC2:TGID_X_EN: 1
; COMPUTE_PGM_RSRC2:TGID_Y_EN: 0
; COMPUTE_PGM_RSRC2:TGID_Z_EN: 1
; COMPUTE_PGM_RSRC2:TIDIG_COMP_CNT: 1
	.section	.text._ZL36rocblas_hemvn_kernel_lower_block_sumILi64EiPKfPffEviT1_lS3_lT2_lT0_lPT3_i,"axG",@progbits,_ZL36rocblas_hemvn_kernel_lower_block_sumILi64EiPKfPffEviT1_lS3_lT2_lT0_lPT3_i,comdat
	.globl	_ZL36rocblas_hemvn_kernel_lower_block_sumILi64EiPKfPffEviT1_lS3_lT2_lT0_lPT3_i ; -- Begin function _ZL36rocblas_hemvn_kernel_lower_block_sumILi64EiPKfPffEviT1_lS3_lT2_lT0_lPT3_i
	.p2align	8
	.type	_ZL36rocblas_hemvn_kernel_lower_block_sumILi64EiPKfPffEviT1_lS3_lT2_lT0_lPT3_i,@function
_ZL36rocblas_hemvn_kernel_lower_block_sumILi64EiPKfPffEviT1_lS3_lT2_lT0_lPT3_i: ; @_ZL36rocblas_hemvn_kernel_lower_block_sumILi64EiPKfPffEviT1_lS3_lT2_lT0_lPT3_i
; %bb.0:
	s_load_dwordx8 s[12:19], s[4:5], 0x8
	s_waitcnt lgkmcnt(0)
	s_mul_i32 s0, s15, s7
	s_mul_hi_u32 s1, s14, s7
	s_add_i32 s1, s1, s0
	s_mul_i32 s0, s14, s7
	s_lshl_b64 s[0:1], s[0:1], 2
	s_add_u32 s0, s12, s0
	s_addc_u32 s1, s13, s1
	s_load_dword s14, s[0:1], 0x0
	s_mul_i32 s0, s19, s7
	s_mul_hi_u32 s1, s18, s7
	s_add_i32 s1, s1, s0
	s_mul_i32 s0, s18, s7
	s_lshl_b64 s[0:1], s[0:1], 2
	s_add_u32 s0, s16, s0
	s_addc_u32 s1, s17, s1
	s_load_dword s17, s[0:1], 0x0
	s_waitcnt lgkmcnt(0)
	v_cmp_eq_f32_e64 s[0:1], s14, 0
	v_cmp_eq_f32_e64 s[2:3], s17, 1.0
	s_and_b64 s[0:1], s[0:1], s[2:3]
	s_and_b64 vcc, exec, s[0:1]
	s_cbranch_vccnz .LBB84_19
; %bb.1:
	s_load_dwordx2 s[10:11], s[4:5], 0x40
	s_load_dwordx4 s[0:3], s[4:5], 0x28
	s_load_dword s18, s[4:5], 0x38
	s_load_dword s8, s[4:5], 0x0
	v_lshl_or_b32 v2, s6, 6, v0
	s_waitcnt lgkmcnt(0)
	s_mul_i32 s9, s11, s7
	s_mul_hi_u32 s11, s10, s7
	s_add_i32 s11, s11, s9
	s_mul_i32 s10, s10, s7
	s_lshl_b64 s[10:11], s[10:11], 2
	s_add_u32 s9, s0, s10
	s_addc_u32 s10, s1, s11
	s_lshl_b64 s[0:1], s[2:3], 2
	s_add_u32 s15, s9, s0
	s_addc_u32 s16, s10, s1
	v_cmp_neq_f32_e64 s[0:1], s14, 0
	s_and_b64 vcc, exec, s[0:1]
	v_cmp_gt_i32_e64 s[0:1], s8, v2
	s_cbranch_vccnz .LBB84_6
; %bb.2:
	s_mov_b64 s[10:11], 0
	s_mov_b64 s[2:3], 0
                                        ; implicit-def: $vgpr3
                                        ; implicit-def: $vgpr0_vgpr1
	s_and_saveexec_b64 s[12:13], s[0:1]
	s_cbranch_execz .LBB84_7
; %bb.3:
	v_mul_lo_u32 v0, s18, v2
	v_cmp_eq_f32_e64 s[0:1], s17, 0
	v_mov_b32_e32 v3, 0
	s_and_b64 vcc, exec, s[0:1]
	v_ashrrev_i32_e32 v1, 31, v0
	s_cbranch_vccnz .LBB84_5
; %bb.4:
	v_lshlrev_b64 v[3:4], 2, v[0:1]
	v_mov_b32_e32 v5, s16
	v_add_co_u32_e32 v3, vcc, s15, v3
	v_addc_co_u32_e32 v4, vcc, v5, v4, vcc
	global_load_dword v3, v[3:4], off
	s_waitcnt vmcnt(0)
	v_mul_f32_e32 v3, s17, v3
.LBB84_5:
	s_mov_b64 s[2:3], exec
	s_or_b64 exec, exec, s[12:13]
	s_and_b64 vcc, exec, s[10:11]
	s_cbranch_vccnz .LBB84_8
	s_branch .LBB84_17
.LBB84_6:
	s_mov_b64 s[2:3], 0
                                        ; implicit-def: $vgpr3
                                        ; implicit-def: $vgpr0_vgpr1
	s_cbranch_execnz .LBB84_8
	s_branch .LBB84_17
.LBB84_7:
	s_or_b64 exec, exec, s[12:13]
	s_and_b64 vcc, exec, s[10:11]
	s_cbranch_vccz .LBB84_17
.LBB84_8:
	v_cmp_gt_i32_e32 vcc, s8, v2
                                        ; implicit-def: $vgpr3
                                        ; implicit-def: $vgpr0_vgpr1
	s_and_saveexec_b64 s[0:1], vcc
	s_cbranch_execz .LBB84_16
; %bb.9:
	s_load_dword s10, s[4:5], 0x58
	v_mov_b32_e32 v4, 0
	s_waitcnt lgkmcnt(0)
	s_cmp_ge_i32 s6, s10
	s_cbranch_scc1 .LBB84_12
; %bb.10:
	s_ashr_i32 s9, s8, 31
	s_mul_i32 s11, s8, s6
	s_load_dwordx2 s[4:5], s[4:5], 0x48
	v_add_u32_e32 v0, s11, v2
	s_mul_hi_u32 s11, s8, s7
	s_mul_i32 s12, s9, s7
	s_add_i32 s11, s11, s12
	s_mul_i32 s7, s8, s7
	s_mul_i32 s11, s11, s10
	s_mul_hi_u32 s12, s7, s10
	s_add_i32 s13, s12, s11
	s_mul_i32 s12, s7, s10
	v_ashrrev_i32_e32 v1, 31, v0
	s_lshl_b64 s[12:13], s[12:13], 2
	v_lshlrev_b64 v[0:1], 2, v[0:1]
	s_waitcnt lgkmcnt(0)
	s_add_u32 s4, s4, s12
	s_addc_u32 s5, s5, s13
	v_mov_b32_e32 v3, s5
	v_add_co_u32_e32 v0, vcc, s4, v0
	s_lshl_b64 s[4:5], s[8:9], 2
	v_addc_co_u32_e32 v1, vcc, v3, v1, vcc
	v_mov_b32_e32 v4, 0
	v_mov_b32_e32 v3, s5
.LBB84_11:                              ; =>This Inner Loop Header: Depth=1
	global_load_dword v5, v[0:1], off
	s_add_i32 s6, s6, 1
	v_add_co_u32_e32 v0, vcc, s4, v0
	v_addc_co_u32_e32 v1, vcc, v1, v3, vcc
	s_cmp_ge_i32 s6, s10
	s_waitcnt vmcnt(0)
	v_add_f32_e32 v4, v4, v5
	s_cbranch_scc0 .LBB84_11
.LBB84_12:
	v_mul_lo_u32 v0, s18, v2
	v_cmp_eq_f32_e64 s[4:5], s17, 0
	s_and_b64 vcc, exec, s[4:5]
	v_ashrrev_i32_e32 v1, 31, v0
	s_cbranch_vccz .LBB84_20
; %bb.13:
	v_mul_f32_e32 v3, s14, v4
	s_cbranch_execnz .LBB84_15
.LBB84_14:
	v_lshlrev_b64 v[2:3], 2, v[0:1]
	v_mov_b32_e32 v5, s16
	v_add_co_u32_e32 v2, vcc, s15, v2
	v_addc_co_u32_e32 v3, vcc, v5, v3, vcc
	global_load_dword v2, v[2:3], off
	s_waitcnt vmcnt(0)
	v_mul_f32_e32 v3, s17, v2
	v_fmac_f32_e32 v3, s14, v4
.LBB84_15:
	s_or_b64 s[2:3], s[2:3], exec
.LBB84_16:
	s_or_b64 exec, exec, s[0:1]
.LBB84_17:
	s_and_saveexec_b64 s[0:1], s[2:3]
	s_cbranch_execz .LBB84_19
; %bb.18:
	v_lshlrev_b64 v[0:1], 2, v[0:1]
	v_mov_b32_e32 v2, s16
	v_add_co_u32_e32 v0, vcc, s15, v0
	v_addc_co_u32_e32 v1, vcc, v2, v1, vcc
	global_store_dword v[0:1], v3, off
.LBB84_19:
	s_endpgm
.LBB84_20:
                                        ; implicit-def: $vgpr3
	s_branch .LBB84_14
	.section	.rodata,"a",@progbits
	.p2align	6, 0x0
	.amdhsa_kernel _ZL36rocblas_hemvn_kernel_lower_block_sumILi64EiPKfPffEviT1_lS3_lT2_lT0_lPT3_i
		.amdhsa_group_segment_fixed_size 0
		.amdhsa_private_segment_fixed_size 0
		.amdhsa_kernarg_size 344
		.amdhsa_user_sgpr_count 6
		.amdhsa_user_sgpr_private_segment_buffer 1
		.amdhsa_user_sgpr_dispatch_ptr 0
		.amdhsa_user_sgpr_queue_ptr 0
		.amdhsa_user_sgpr_kernarg_segment_ptr 1
		.amdhsa_user_sgpr_dispatch_id 0
		.amdhsa_user_sgpr_flat_scratch_init 0
		.amdhsa_user_sgpr_private_segment_size 0
		.amdhsa_uses_dynamic_stack 0
		.amdhsa_system_sgpr_private_segment_wavefront_offset 0
		.amdhsa_system_sgpr_workgroup_id_x 1
		.amdhsa_system_sgpr_workgroup_id_y 0
		.amdhsa_system_sgpr_workgroup_id_z 1
		.amdhsa_system_sgpr_workgroup_info 0
		.amdhsa_system_vgpr_workitem_id 0
		.amdhsa_next_free_vgpr 6
		.amdhsa_next_free_sgpr 20
		.amdhsa_reserve_vcc 1
		.amdhsa_reserve_flat_scratch 0
		.amdhsa_float_round_mode_32 0
		.amdhsa_float_round_mode_16_64 0
		.amdhsa_float_denorm_mode_32 3
		.amdhsa_float_denorm_mode_16_64 3
		.amdhsa_dx10_clamp 1
		.amdhsa_ieee_mode 1
		.amdhsa_fp16_overflow 0
		.amdhsa_exception_fp_ieee_invalid_op 0
		.amdhsa_exception_fp_denorm_src 0
		.amdhsa_exception_fp_ieee_div_zero 0
		.amdhsa_exception_fp_ieee_overflow 0
		.amdhsa_exception_fp_ieee_underflow 0
		.amdhsa_exception_fp_ieee_inexact 0
		.amdhsa_exception_int_div_zero 0
	.end_amdhsa_kernel
	.section	.text._ZL36rocblas_hemvn_kernel_lower_block_sumILi64EiPKfPffEviT1_lS3_lT2_lT0_lPT3_i,"axG",@progbits,_ZL36rocblas_hemvn_kernel_lower_block_sumILi64EiPKfPffEviT1_lS3_lT2_lT0_lPT3_i,comdat
.Lfunc_end84:
	.size	_ZL36rocblas_hemvn_kernel_lower_block_sumILi64EiPKfPffEviT1_lS3_lT2_lT0_lPT3_i, .Lfunc_end84-_ZL36rocblas_hemvn_kernel_lower_block_sumILi64EiPKfPffEviT1_lS3_lT2_lT0_lPT3_i
                                        ; -- End function
	.set _ZL36rocblas_hemvn_kernel_lower_block_sumILi64EiPKfPffEviT1_lS3_lT2_lT0_lPT3_i.num_vgpr, 6
	.set _ZL36rocblas_hemvn_kernel_lower_block_sumILi64EiPKfPffEviT1_lS3_lT2_lT0_lPT3_i.num_agpr, 0
	.set _ZL36rocblas_hemvn_kernel_lower_block_sumILi64EiPKfPffEviT1_lS3_lT2_lT0_lPT3_i.numbered_sgpr, 20
	.set _ZL36rocblas_hemvn_kernel_lower_block_sumILi64EiPKfPffEviT1_lS3_lT2_lT0_lPT3_i.num_named_barrier, 0
	.set _ZL36rocblas_hemvn_kernel_lower_block_sumILi64EiPKfPffEviT1_lS3_lT2_lT0_lPT3_i.private_seg_size, 0
	.set _ZL36rocblas_hemvn_kernel_lower_block_sumILi64EiPKfPffEviT1_lS3_lT2_lT0_lPT3_i.uses_vcc, 1
	.set _ZL36rocblas_hemvn_kernel_lower_block_sumILi64EiPKfPffEviT1_lS3_lT2_lT0_lPT3_i.uses_flat_scratch, 0
	.set _ZL36rocblas_hemvn_kernel_lower_block_sumILi64EiPKfPffEviT1_lS3_lT2_lT0_lPT3_i.has_dyn_sized_stack, 0
	.set _ZL36rocblas_hemvn_kernel_lower_block_sumILi64EiPKfPffEviT1_lS3_lT2_lT0_lPT3_i.has_recursion, 0
	.set _ZL36rocblas_hemvn_kernel_lower_block_sumILi64EiPKfPffEviT1_lS3_lT2_lT0_lPT3_i.has_indirect_call, 0
	.section	.AMDGPU.csdata,"",@progbits
; Kernel info:
; codeLenInByte = 656
; TotalNumSgprs: 24
; NumVgprs: 6
; ScratchSize: 0
; MemoryBound: 0
; FloatMode: 240
; IeeeMode: 1
; LDSByteSize: 0 bytes/workgroup (compile time only)
; SGPRBlocks: 2
; VGPRBlocks: 1
; NumSGPRsForWavesPerEU: 24
; NumVGPRsForWavesPerEU: 6
; Occupancy: 10
; WaveLimiterHint : 0
; COMPUTE_PGM_RSRC2:SCRATCH_EN: 0
; COMPUTE_PGM_RSRC2:USER_SGPR: 6
; COMPUTE_PGM_RSRC2:TRAP_HANDLER: 0
; COMPUTE_PGM_RSRC2:TGID_X_EN: 1
; COMPUTE_PGM_RSRC2:TGID_Y_EN: 0
; COMPUTE_PGM_RSRC2:TGID_Z_EN: 1
; COMPUTE_PGM_RSRC2:TIDIG_COMP_CNT: 0
	.section	.text._ZL26rocblas_hemvn_kernel_lowerILb0ELi64ELi4ELi33ELi32ELi16ElfPKfPfEviT6_lT7_lT5_lS4_lS5_lS3_lT8_i,"axG",@progbits,_ZL26rocblas_hemvn_kernel_lowerILb0ELi64ELi4ELi33ELi32ELi16ElfPKfPfEviT6_lT7_lT5_lS4_lS5_lS3_lT8_i,comdat
	.globl	_ZL26rocblas_hemvn_kernel_lowerILb0ELi64ELi4ELi33ELi32ELi16ElfPKfPfEviT6_lT7_lT5_lS4_lS5_lS3_lT8_i ; -- Begin function _ZL26rocblas_hemvn_kernel_lowerILb0ELi64ELi4ELi33ELi32ELi16ElfPKfPfEviT6_lT7_lT5_lS4_lS5_lS3_lT8_i
	.p2align	8
	.type	_ZL26rocblas_hemvn_kernel_lowerILb0ELi64ELi4ELi33ELi32ELi16ElfPKfPfEviT6_lT7_lT5_lS4_lS5_lS3_lT8_i,@function
_ZL26rocblas_hemvn_kernel_lowerILb0ELi64ELi4ELi33ELi32ELi16ElfPKfPfEviT6_lT7_lT5_lS4_lS5_lS3_lT8_i: ; @_ZL26rocblas_hemvn_kernel_lowerILb0ELi64ELi4ELi33ELi32ELi16ElfPKfPfEviT6_lT7_lT5_lS4_lS5_lS3_lT8_i
; %bb.0:
	s_load_dwordx2 s[2:3], s[4:5], 0x7c
	s_add_u32 s0, s4, 0x70
	s_addc_u32 s1, s5, 0
	s_waitcnt lgkmcnt(0)
	s_lshr_b32 s8, s2, 16
	s_and_b32 s2, s2, 0xffff
	s_and_b32 s3, s3, 0xffff
	s_mul_i32 s2, s8, s2
	s_mul_i32 s2, s2, s3
	s_cmpk_lg_i32 s2, 0x100
	s_cbranch_scc1 .LBB85_78
; %bb.1:
	s_load_dwordx2 s[24:25], s[4:5], 0x0
	s_load_dword s8, s[4:5], 0x50
	s_waitcnt lgkmcnt(0)
	v_cmp_eq_f32_e64 s[2:3], s25, 0
	v_cmp_eq_f32_e64 s[8:9], s8, 1.0
	s_and_b64 s[8:9], s[2:3], s[8:9]
	s_and_b64 vcc, exec, s[8:9]
	s_cbranch_vccnz .LBB85_78
; %bb.2:
	s_and_b64 vcc, exec, s[2:3]
	s_cbranch_vccnz .LBB85_78
; %bb.3:
	s_load_dwordx16 s[36:51], s[4:5], 0x10
	s_load_dword s25, s[0:1], 0x0
	s_waitcnt lgkmcnt(0)
	s_mul_i32 s1, s51, s7
	s_mul_hi_u32 s2, s50, s7
	s_mul_i32 s0, s50, s7
	s_add_i32 s1, s2, s1
	s_lshl_b64 s[0:1], s[0:1], 2
	s_add_u32 s2, s44, s0
	s_addc_u32 s3, s45, s1
	s_lshl_b64 s[0:1], s[46:47], 2
	s_add_u32 s2, s2, s0
	s_addc_u32 s3, s3, s1
	s_lshl_b32 s28, s6, 6
	s_ashr_i32 s33, s24, 31
	s_lshr_b32 s0, s33, 26
	v_add_u32_e32 v18, s28, v0
	s_add_i32 s0, s24, s0
	v_ashrrev_i32_e32 v19, 31, v18
	s_and_b32 s9, s0, 0xffffffc0
	v_mul_lo_u32 v4, s48, v19
	v_mul_lo_u32 v5, s49, v18
	v_mad_u64_u32 v[2:3], s[0:1], s48, v18, 0
	s_add_i32 s8, s25, -1
	s_sub_i32 s0, s24, s9
	v_add3_u32 v3, v3, v4, v5
	v_lshlrev_b64 v[2:3], 2, v[2:3]
	s_cmp_eq_u32 s6, s8
	v_mov_b32_e32 v4, s3
	v_add_co_u32_e32 v6, vcc, s2, v2
	s_cselect_b32 s26, s0, 0
	v_addc_co_u32_e32 v7, vcc, v4, v3, vcc
	v_cmp_ne_u32_e64 s[0:1], 0, v1
	v_cmp_eq_u32_e64 s[2:3], 0, v1
	s_and_saveexec_b64 s[8:9], s[2:3]
	s_cbranch_execz .LBB85_7
; %bb.4:
	s_cmp_eq_u32 s26, 0
	s_cselect_b64 s[10:11], -1, 0
	v_cmp_gt_i32_e32 vcc, s26, v0
	s_or_b64 s[12:13], s[10:11], vcc
	v_mov_b32_e32 v2, 0
	s_and_saveexec_b64 s[10:11], s[12:13]
	s_cbranch_execz .LBB85_6
; %bb.5:
	global_load_dword v2, v[6:7], off
.LBB85_6:
	s_or_b64 exec, exec, s[10:11]
	v_lshlrev_b32_e32 v3, 2, v0
	s_waitcnt vmcnt(0)
	ds_write_b32 v3, v2 offset:4544
.LBB85_7:
	s_or_b64 exec, exec, s[8:9]
	v_lshl_add_u32 v16, v1, 6, v0
	s_mul_i32 s8, s43, s7
	s_mul_hi_u32 s9, s42, s7
	v_and_b32_e32 v2, 31, v0
	v_lshrrev_b32_e32 v5, 5, v16
	s_add_i32 s9, s9, s8
	s_mul_i32 s8, s42, s7
	v_mov_b32_e32 v3, 0
	s_lshl_b64 s[8:9], s[8:9], 2
	v_mad_u64_u32 v[3:4], s[10:11], s40, v5, v[2:3]
	s_add_u32 s12, s36, s8
	s_addc_u32 s13, s37, s9
	s_lshl_b64 s[8:9], s[38:39], 2
	s_add_u32 s10, s12, s8
	s_addc_u32 s11, s13, s9
	v_mad_u64_u32 v[8:9], s[8:9], s41, v5, v[4:5]
	s_ashr_i32 s29, s28, 31
	s_lshl_b64 s[8:9], s[28:29], 2
	v_mov_b32_e32 v4, v8
	s_add_u32 s8, s10, s8
	v_lshlrev_b64 v[8:9], 2, v[3:4]
	s_addc_u32 s9, s11, s9
	v_mov_b32_e32 v3, s9
	v_add_co_u32_e32 v4, vcc, s8, v8
	s_mul_hi_u32 s8, s40, s28
	s_mul_i32 s9, s40, s29
	s_add_i32 s8, s8, s9
	s_mul_i32 s9, s41, s28
	s_add_i32 s9, s8, s9
	s_mul_i32 s8, s40, s28
	v_addc_co_u32_e32 v10, vcc, v3, v9, vcc
	s_lshl_b64 s[30:31], s[8:9], 2
	v_mov_b32_e32 v11, s31
	v_add_co_u32_e32 v3, vcc, s30, v4
	s_cmp_lg_u32 s26, 0
	v_addc_co_u32_e32 v4, vcc, v10, v11, vcc
	s_cselect_b64 s[34:35], -1, 0
	s_cmp_eq_u32 s26, 0
	s_cselect_b64 s[18:19], -1, 0
	s_mov_b64 s[8:9], -1
	s_and_b64 vcc, exec, s[34:35]
	s_cbranch_vccnz .LBB85_9
; %bb.8:
	s_lshl_b64 s[8:9], s[40:41], 5
	v_mov_b32_e32 v15, s9
	v_add_co_u32_e32 v10, vcc, s8, v3
	v_addc_co_u32_e32 v11, vcc, v4, v15, vcc
	v_add_co_u32_e32 v12, vcc, s8, v10
	v_addc_co_u32_e32 v13, vcc, v11, v15, vcc
	;; [unrolled: 2-line block ×3, first 2 shown]
	global_load_dword v17, v[3:4], off
	global_load_dword v20, v[10:11], off
	;; [unrolled: 1-line block ×4, first 2 shown]
	v_mul_u32_u24_e32 v10, 0x84, v5
	v_lshl_add_u32 v10, v2, 2, v10
	s_mov_b64 s[8:9], 0
	s_waitcnt vmcnt(3)
	ds_write_b32 v10, v17
	s_waitcnt vmcnt(2)
	ds_write_b32 v10, v20 offset:1056
	s_waitcnt vmcnt(1)
	ds_write_b32 v10, v21 offset:2112
	;; [unrolled: 2-line block ×3, first 2 shown]
.LBB85_9:
	s_andn2_b64 vcc, exec, s[8:9]
	s_cbranch_vccnz .LBB85_19
; %bb.10:
	v_lshlrev_b32_e32 v12, 2, v2
	v_sub_co_u32_e32 v10, vcc, v3, v12
	s_ashr_i32 s27, s26, 31
	v_subbrev_co_u32_e32 v11, vcc, 0, v4, vcc
	s_lshl_b64 s[10:11], s[26:27], 2
	v_mov_b32_e32 v14, s11
	v_add_co_u32_e32 v10, vcc, s10, v10
	v_addc_co_u32_e32 v11, vcc, v11, v14, vcc
	v_add_co_u32_e32 v10, vcc, -4, v10
	v_addc_co_u32_e32 v11, vcc, -1, v11, vcc
	v_cmp_gt_i32_e32 vcc, s26, v2
	v_mov_b32_e32 v13, 0
	v_cndmask_b32_e32 v11, v11, v4, vcc
	v_cndmask_b32_e32 v10, v10, v3, vcc
	v_cmp_gt_i32_e64 s[8:9], s26, v5
	v_mov_b32_e32 v17, 0
	s_and_saveexec_b64 s[12:13], s[8:9]
	s_cbranch_execz .LBB85_12
; %bb.11:
	global_load_dword v17, v[10:11], off
.LBB85_12:
	s_or_b64 exec, exec, s[12:13]
	v_lshlrev_b32_e32 v14, 2, v2
	s_movk_i32 s8, 0x84
	v_mad_u32_u24 v20, v5, s8, v14
	s_waitcnt vmcnt(0)
	ds_write_b32 v20, v17
	v_add_u32_e32 v17, 8, v5
	v_mul_u32_u24_e32 v15, 0x84, v5
	v_cmp_gt_i32_e64 s[8:9], s26, v17
	s_and_saveexec_b64 s[12:13], s[8:9]
	s_cbranch_execz .LBB85_14
; %bb.13:
	s_lshl_b64 s[8:9], s[40:41], 5
	v_mov_b32_e32 v13, s9
	v_add_co_u32_e64 v20, s[8:9], s8, v10
	v_addc_co_u32_e64 v21, s[8:9], v11, v13, s[8:9]
	global_load_dword v13, v[20:21], off
.LBB85_14:
	s_or_b64 exec, exec, s[12:13]
	v_add_u32_e32 v14, v15, v14
	s_waitcnt vmcnt(0)
	ds_write_b32 v14, v13 offset:1056
	v_add_u32_e32 v13, 16, v5
	v_cmp_gt_i32_e64 s[8:9], s26, v13
	v_mov_b32_e32 v13, 0
	v_mov_b32_e32 v15, 0
	s_and_saveexec_b64 s[12:13], s[8:9]
	s_cbranch_execz .LBB85_16
; %bb.15:
	s_lshl_b64 s[8:9], s[40:41], 6
	v_mov_b32_e32 v15, s9
	v_add_co_u32_e64 v20, s[8:9], s8, v10
	v_addc_co_u32_e64 v21, s[8:9], v11, v15, s[8:9]
	global_load_dword v15, v[20:21], off
.LBB85_16:
	s_or_b64 exec, exec, s[12:13]
	s_waitcnt vmcnt(0)
	ds_write_b32 v14, v15 offset:2112
	v_add_u32_e32 v15, 24, v5
	v_cmp_gt_i32_e64 s[8:9], s26, v15
	s_and_saveexec_b64 s[12:13], s[8:9]
	s_cbranch_execz .LBB85_18
; %bb.17:
	v_mov_b32_e32 v13, 0x60
	v_mad_u64_u32 v[20:21], s[8:9], s40, v13, v[10:11]
	s_mul_i32 s8, s41, 0x60
	v_add_u32_e32 v21, s8, v21
	global_load_dword v13, v[20:21], off
.LBB85_18:
	s_or_b64 exec, exec, s[12:13]
	v_add_co_u32_e64 v10, s[8:9], v10, v12
	v_addc_co_u32_e64 v11, s[8:9], 0, v11, s[8:9]
	v_mov_b32_e32 v12, s11
	v_subrev_co_u32_e64 v10, s[8:9], s10, v10
	v_subb_co_u32_e64 v11, s[8:9], v11, v12, s[8:9]
	v_add_co_u32_e64 v10, s[8:9], 4, v10
	v_addc_co_u32_e64 v11, s[8:9], 0, v11, s[8:9]
	v_cndmask_b32_e32 v4, v11, v4, vcc
	v_cndmask_b32_e32 v3, v10, v3, vcc
	s_waitcnt vmcnt(0)
	ds_write_b32 v14, v13 offset:3168
.LBB85_19:
	v_lshlrev_b32_e32 v12, 2, v5
	v_lshlrev_b32_e32 v13, 2, v2
	v_lshl_or_b32 v11, v2, 7, v13
	v_cmp_lt_u32_e64 s[8:9], v12, v2
	s_waitcnt lgkmcnt(0)
	s_barrier
	s_and_saveexec_b64 s[10:11], s[8:9]
	s_cbranch_execz .LBB85_21
; %bb.20:
	s_movk_i32 s12, 0x210
	v_mad_u32_u24 v10, v5, s12, v13
	ds_read_b32 v10, v10
	v_lshl_add_u32 v14, v12, 2, v11
	s_waitcnt lgkmcnt(0)
	ds_write_b32 v14, v10
.LBB85_21:
	s_or_b64 exec, exec, s[10:11]
	v_or_b32_e32 v10, 1, v12
	v_cmp_lt_u32_e64 s[10:11], v10, v2
	s_and_saveexec_b64 s[12:13], s[10:11]
	s_cbranch_execz .LBB85_23
; %bb.22:
	s_movk_i32 s14, 0x84
	v_mad_u32_u24 v14, v10, s14, v13
	ds_read_b32 v14, v14
	v_lshl_add_u32 v15, v12, 2, v11
	s_waitcnt lgkmcnt(0)
	ds_write_b32 v15, v14 offset:4
.LBB85_23:
	s_or_b64 exec, exec, s[12:13]
	v_or_b32_e32 v14, 2, v12
	v_cmp_lt_u32_e64 s[12:13], v14, v2
	s_and_saveexec_b64 s[14:15], s[12:13]
	s_cbranch_execz .LBB85_25
; %bb.24:
	s_movk_i32 s16, 0x84
	v_mad_u32_u24 v14, v14, s16, v13
	ds_read_b32 v14, v14
	v_lshl_add_u32 v15, v12, 2, v11
	s_waitcnt lgkmcnt(0)
	ds_write_b32 v15, v14 offset:8
.LBB85_25:
	s_or_b64 exec, exec, s[14:15]
	v_or_b32_e32 v15, 3, v12
	v_cmp_lt_u32_e64 s[14:15], v15, v2
	v_cmp_ge_u32_e32 vcc, v15, v2
                                        ; implicit-def: $vgpr14
	s_and_saveexec_b64 s[16:17], vcc
	s_xor_b64 s[16:17], exec, s[16:17]
; %bb.26:
	v_mul_u32_u24_e32 v14, 0x84, v15
                                        ; implicit-def: $vgpr11
                                        ; implicit-def: $vgpr15
; %bb.27:
	s_andn2_saveexec_b64 s[16:17], s[16:17]
	s_cbranch_execz .LBB85_29
; %bb.28:
	s_movk_i32 s20, 0x84
	v_mad_u32_u24 v14, v15, s20, v13
	ds_read_b32 v17, v14
	v_lshl_add_u32 v11, v12, 2, v11
	v_mul_u32_u24_e32 v14, 0x84, v15
	s_waitcnt lgkmcnt(0)
	ds_write_b32 v11, v17 offset:12
.LBB85_29:
	s_or_b64 exec, exec, s[16:17]
	s_movk_i32 s16, 0x210
	v_mad_u32_u24 v11, v5, s16, v13
	s_movk_i32 s16, 0x84
	s_waitcnt lgkmcnt(0)
	s_barrier
	v_lshlrev_b32_e32 v21, 2, v12
	ds_read_b32 v15, v11
	ds_read_b128 v[25:28], v21 offset:4544
	v_mad_u32_u24 v11, v10, s16, v13
	ds_read2_b32 v[22:23], v11 offset1:33
	v_add_u32_e32 v11, v13, v14
	ds_read_b32 v14, v11
	s_waitcnt lgkmcnt(2)
	v_fma_f32 v15, v15, v25, 0
	v_mov_b32_e32 v24, 0
	s_waitcnt lgkmcnt(1)
	v_fmac_f32_e32 v15, v22, v26
	v_fmac_f32_e32 v15, v23, v27
	s_waitcnt lgkmcnt(0)
	v_fmac_f32_e32 v15, v14, v28
	v_mul_u32_u24_e32 v14, 33, v2
	v_lshlrev_b32_e32 v17, 2, v14
	v_lshl_add_u32 v20, v5, 2, v17
	v_cmp_gt_u32_e64 s[20:21], 32, v16
	s_barrier
	ds_write_b32 v20, v15
	s_waitcnt lgkmcnt(0)
	s_barrier
	s_and_saveexec_b64 s[16:17], s[20:21]
	s_cbranch_execz .LBB85_31
; %bb.30:
	ds_read2_b32 v[14:15], v17 offset1:1
	ds_read2_b32 v[22:23], v17 offset0:2 offset1:3
	ds_read2_b32 v[24:25], v17 offset0:4 offset1:5
	;; [unrolled: 1-line block ×3, first 2 shown]
	s_waitcnt lgkmcnt(3)
	v_add_f32_e32 v14, v14, v15
	s_waitcnt lgkmcnt(2)
	v_add_f32_e32 v14, v14, v22
	v_add_f32_e32 v14, v14, v23
	s_waitcnt lgkmcnt(1)
	v_add_f32_e32 v14, v14, v24
	;; [unrolled: 3-line block ×3, first 2 shown]
	v_add_f32_e32 v24, v14, v27
.LBB85_31:
	s_or_b64 exec, exec, s[16:17]
	s_lshl_b64 s[22:23], s[40:41], 7
	v_mov_b32_e32 v14, s23
	v_add_co_u32_e32 v3, vcc, s22, v3
	v_addc_co_u32_e32 v4, vcc, v4, v14, vcc
	v_add_co_u32_e32 v14, vcc, 0x80, v3
	v_addc_co_u32_e32 v15, vcc, 0, v4, vcc
	v_cndmask_b32_e64 v22, 0, 1, s[18:19]
	s_lshl_b64 s[36:37], s[40:41], 5
	v_cmp_ne_u32_e64 s[16:17], 1, v22
	s_andn2_b64 vcc, exec, s[18:19]
	s_mov_b64 s[18:19], -1
	s_barrier
	s_cbranch_vccnz .LBB85_33
; %bb.32:
	v_mov_b32_e32 v28, s37
	v_add_co_u32_e32 v22, vcc, s36, v3
	v_addc_co_u32_e32 v23, vcc, v4, v28, vcc
	v_add_co_u32_e32 v25, vcc, s36, v22
	v_addc_co_u32_e32 v26, vcc, v23, v28, vcc
	;; [unrolled: 2-line block ×3, first 2 shown]
	global_load_dword v29, v[3:4], off offset:128
	global_load_dword v30, v[22:23], off offset:128
	;; [unrolled: 1-line block ×4, first 2 shown]
	s_movk_i32 s18, 0x84
	v_mad_u32_u24 v22, v5, s18, v13
	s_mov_b64 s[18:19], 0
	s_waitcnt vmcnt(3)
	ds_write_b32 v22, v29
	s_waitcnt vmcnt(2)
	ds_write_b32 v22, v30 offset:1056
	s_waitcnt vmcnt(1)
	ds_write_b32 v22, v31 offset:2112
	;; [unrolled: 2-line block ×3, first 2 shown]
.LBB85_33:
	s_andn2_b64 vcc, exec, s[18:19]
	s_cbranch_vccnz .LBB85_43
; %bb.34:
	v_lshlrev_b32_e32 v22, 2, v2
	v_sub_co_u32_e32 v3, vcc, v3, v22
	s_ashr_i32 s27, s26, 31
	v_subbrev_co_u32_e32 v4, vcc, 0, v4, vcc
	s_lshl_b64 s[38:39], s[26:27], 2
	v_mov_b32_e32 v26, s39
	v_add_co_u32_e32 v3, vcc, s38, v3
	v_addc_co_u32_e32 v4, vcc, v4, v26, vcc
	v_or_b32_e32 v25, 32, v2
	v_add_co_u32_e32 v3, vcc, -4, v3
	v_addc_co_u32_e32 v4, vcc, -1, v4, vcc
	v_cmp_gt_i32_e64 s[18:19], s26, v25
	s_sub_i32 s27, s26, 32
	v_mov_b32_e32 v23, 0
	v_cndmask_b32_e64 v4, v4, v15, s[18:19]
	v_cndmask_b32_e64 v3, v3, v14, s[18:19]
	v_cmp_gt_i32_e32 vcc, s27, v5
	v_mov_b32_e32 v26, 0
	s_and_saveexec_b64 s[42:43], vcc
	s_cbranch_execz .LBB85_36
; %bb.35:
	global_load_dword v26, v[3:4], off
.LBB85_36:
	s_or_b64 exec, exec, s[42:43]
	s_movk_i32 s42, 0x84
	v_mad_u32_u24 v27, v5, s42, v13
	s_waitcnt vmcnt(0)
	ds_write_b32 v27, v26
	v_add_u32_e32 v26, 8, v5
	v_mul_u32_u24_e32 v25, 0x84, v5
	v_cmp_gt_i32_e32 vcc, s27, v26
	s_and_saveexec_b64 s[42:43], vcc
	s_cbranch_execz .LBB85_38
; %bb.37:
	v_mov_b32_e32 v23, s37
	v_add_co_u32_e32 v26, vcc, s36, v3
	v_addc_co_u32_e32 v27, vcc, v4, v23, vcc
	global_load_dword v23, v[26:27], off
.LBB85_38:
	s_or_b64 exec, exec, s[42:43]
	v_add_u32_e32 v25, v25, v13
	s_waitcnt vmcnt(0)
	ds_write_b32 v25, v23 offset:1056
	v_add_u32_e32 v23, 16, v5
	v_cmp_gt_i32_e32 vcc, s27, v23
	v_mov_b32_e32 v23, 0
	v_mov_b32_e32 v26, 0
	s_and_saveexec_b64 s[42:43], vcc
	s_cbranch_execz .LBB85_40
; %bb.39:
	s_lshl_b64 s[44:45], s[40:41], 6
	v_mov_b32_e32 v27, s45
	v_add_co_u32_e32 v26, vcc, s44, v3
	v_addc_co_u32_e32 v27, vcc, v4, v27, vcc
	global_load_dword v26, v[26:27], off
.LBB85_40:
	s_or_b64 exec, exec, s[42:43]
	s_waitcnt vmcnt(0)
	ds_write_b32 v25, v26 offset:2112
	v_add_u32_e32 v26, 24, v5
	v_cmp_gt_i32_e32 vcc, s27, v26
	s_and_saveexec_b64 s[42:43], vcc
	s_cbranch_execz .LBB85_42
; %bb.41:
	v_mov_b32_e32 v23, 0x60
	v_mad_u64_u32 v[26:27], s[44:45], s40, v23, v[3:4]
	s_mul_i32 s27, s41, 0x60
	v_add_u32_e32 v27, s27, v27
	global_load_dword v23, v[26:27], off
.LBB85_42:
	s_or_b64 exec, exec, s[42:43]
	v_add_co_u32_e32 v3, vcc, v3, v22
	v_addc_co_u32_e32 v4, vcc, 0, v4, vcc
	v_mov_b32_e32 v22, s39
	v_subrev_co_u32_e32 v3, vcc, s38, v3
	v_subb_co_u32_e32 v4, vcc, v4, v22, vcc
	v_add_co_u32_e32 v3, vcc, 0x84, v3
	v_addc_co_u32_e32 v4, vcc, 0, v4, vcc
	v_cndmask_b32_e64 v15, v4, v15, s[18:19]
	v_cndmask_b32_e64 v14, v3, v14, s[18:19]
	s_waitcnt vmcnt(0)
	ds_write_b32 v25, v23 offset:3168
.LBB85_43:
	v_mul_u32_u24_e32 v3, 0x210, v5
	v_add_u32_e32 v4, 0x11c0, v21
	v_mul_u32_u24_e32 v10, 0x84, v10
	v_add_u32_e32 v3, v13, v3
	s_waitcnt lgkmcnt(0)
	s_barrier
	s_and_saveexec_b64 s[18:19], s[8:9]
	s_cbranch_execnz .LBB85_52
; %bb.44:
	s_or_b64 exec, exec, s[18:19]
	v_add_u32_e32 v10, v13, v10
	s_and_saveexec_b64 s[8:9], s[10:11]
	s_cbranch_execnz .LBB85_53
.LBB85_45:
	s_or_b64 exec, exec, s[8:9]
	s_and_saveexec_b64 s[8:9], s[12:13]
	s_cbranch_execnz .LBB85_54
.LBB85_46:
	s_or_b64 exec, exec, s[8:9]
	s_and_saveexec_b64 s[8:9], s[14:15]
	s_cbranch_execz .LBB85_48
.LBB85_47:
	ds_read_b32 v21, v11
	v_lshl_add_u32 v22, v12, 2, v17
	s_waitcnt lgkmcnt(0)
	ds_write_b32 v22, v21 offset:12
.LBB85_48:
	s_or_b64 exec, exec, s[8:9]
	s_waitcnt lgkmcnt(0)
	s_barrier
	ds_read_b32 v3, v3
	ds_read_b128 v[25:28], v4 offset:128
	ds_read2_b32 v[21:22], v10 offset1:33
	ds_read_b32 v10, v11
	v_cmp_eq_u32_e64 s[8:9], 1, v5
	s_waitcnt lgkmcnt(0)
	v_fma_f32 v3, v3, v25, 0
	v_fmac_f32_e32 v3, v21, v26
	v_fmac_f32_e32 v3, v22, v27
	;; [unrolled: 1-line block ×3, first 2 shown]
	s_barrier
	ds_write_b32 v20, v3
	s_waitcnt lgkmcnt(0)
	s_barrier
	s_and_saveexec_b64 s[10:11], s[8:9]
	s_cbranch_execz .LBB85_50
; %bb.49:
	ds_read2_b32 v[10:11], v17 offset1:1
	ds_read2_b32 v[21:22], v17 offset0:2 offset1:3
	ds_read2_b32 v[23:24], v17 offset0:4 offset1:5
	;; [unrolled: 1-line block ×3, first 2 shown]
	s_waitcnt lgkmcnt(3)
	v_add_f32_e32 v3, v10, v11
	s_waitcnt lgkmcnt(2)
	v_add_f32_e32 v3, v3, v21
	v_add_f32_e32 v3, v3, v22
	s_waitcnt lgkmcnt(1)
	v_add_f32_e32 v3, v3, v23
	;; [unrolled: 3-line block ×3, first 2 shown]
	v_add_f32_e32 v24, v3, v26
.LBB85_50:
	s_or_b64 exec, exec, s[10:11]
	s_lshl_b64 s[10:11], s[36:37], 2
	v_mov_b32_e32 v3, s11
	v_subrev_co_u32_e64 v10, s[10:11], s10, v14
	s_and_b64 vcc, exec, s[16:17]
	v_subb_co_u32_e64 v11, s[10:11], v15, v3, s[10:11]
	s_barrier
	s_cbranch_vccnz .LBB85_55
; %bb.51:
	v_mov_b32_e32 v3, s37
	v_add_co_u32_e32 v14, vcc, s36, v10
	v_addc_co_u32_e32 v15, vcc, v11, v3, vcc
	v_add_co_u32_e32 v21, vcc, s36, v14
	v_addc_co_u32_e32 v22, vcc, v15, v3, vcc
	;; [unrolled: 2-line block ×3, first 2 shown]
	global_load_dword v3, v[10:11], off
	global_load_dword v28, v[14:15], off
	;; [unrolled: 1-line block ×4, first 2 shown]
	s_movk_i32 s10, 0x84
	v_mov_b32_e32 v22, 0x420
	v_mov_b32_e32 v25, 0x840
	;; [unrolled: 1-line block ×3, first 2 shown]
	v_mul_u32_u24_e32 v15, 0x84, v5
	v_add_u32_e32 v14, 8, v5
	v_add_u32_e32 v21, 16, v5
	v_add_u32_e32 v23, 24, v5
	v_mad_u32_u24 v31, v5, s10, v13
	v_mad_u32_u24 v22, v5, s10, v22
	;; [unrolled: 1-line block ×4, first 2 shown]
	v_add_u32_e32 v26, v13, v22
	v_add_u32_e32 v32, v13, v25
	;; [unrolled: 1-line block ×3, first 2 shown]
	s_waitcnt vmcnt(3)
	ds_write_b32 v31, v3
	s_waitcnt vmcnt(2)
	ds_write_b32 v26, v28
	;; [unrolled: 2-line block ×4, first 2 shown]
	s_cbranch_execz .LBB85_56
	s_branch .LBB85_65
.LBB85_52:
	ds_read_b32 v21, v3
	v_lshl_add_u32 v22, v12, 2, v17
	s_waitcnt lgkmcnt(0)
	ds_write_b32 v22, v21
	s_or_b64 exec, exec, s[18:19]
	v_add_u32_e32 v10, v13, v10
	s_and_saveexec_b64 s[8:9], s[10:11]
	s_cbranch_execz .LBB85_45
.LBB85_53:
	ds_read_b32 v21, v10
	v_lshl_add_u32 v22, v12, 2, v17
	s_waitcnt lgkmcnt(0)
	ds_write_b32 v22, v21 offset:4
	s_or_b64 exec, exec, s[8:9]
	s_and_saveexec_b64 s[8:9], s[12:13]
	s_cbranch_execz .LBB85_46
.LBB85_54:
	ds_read_b32 v21, v10 offset:132
	v_lshl_add_u32 v22, v12, 2, v17
	s_waitcnt lgkmcnt(0)
	ds_write_b32 v22, v21 offset:8
	s_or_b64 exec, exec, s[8:9]
	s_and_saveexec_b64 s[8:9], s[14:15]
	s_cbranch_execnz .LBB85_47
	s_branch .LBB85_48
.LBB85_55:
                                        ; implicit-def: $vgpr15
                                        ; implicit-def: $vgpr14
                                        ; implicit-def: $vgpr22
                                        ; implicit-def: $vgpr21
                                        ; implicit-def: $vgpr25
                                        ; implicit-def: $vgpr23
                                        ; implicit-def: $vgpr27
.LBB85_56:
	v_lshlrev_b32_e32 v26, 2, v2
	v_or_b32_e32 v3, 32, v2
	v_sub_co_u32_e32 v2, vcc, v10, v26
	s_ashr_i32 s27, s26, 31
	v_subbrev_co_u32_e32 v14, vcc, 0, v11, vcc
	s_lshl_b64 s[12:13], s[26:27], 2
	v_mov_b32_e32 v15, s13
	v_add_co_u32_e32 v2, vcc, s12, v2
	v_addc_co_u32_e32 v14, vcc, v14, v15, vcc
	v_add_co_u32_e32 v2, vcc, 0xffffff7c, v2
	v_addc_co_u32_e32 v14, vcc, -1, v14, vcc
	v_cmp_gt_i32_e64 s[10:11], s26, v3
	v_mov_b32_e32 v21, 0
	v_cndmask_b32_e64 v3, v14, v11, s[10:11]
	v_cndmask_b32_e64 v2, v2, v10, s[10:11]
	v_cmp_gt_i32_e32 vcc, s26, v5
	v_mov_b32_e32 v14, 0
	s_and_saveexec_b64 s[14:15], vcc
	s_cbranch_execz .LBB85_58
; %bb.57:
	global_load_dword v14, v[2:3], off
.LBB85_58:
	s_or_b64 exec, exec, s[14:15]
	s_movk_i32 s14, 0x84
	v_mad_u32_u24 v22, v5, s14, v13
	s_waitcnt vmcnt(0)
	ds_write_b32 v22, v14
	v_add_u32_e32 v14, 8, v5
	v_mul_u32_u24_e32 v15, 0x84, v5
	v_cmp_gt_i32_e32 vcc, s26, v14
	s_and_saveexec_b64 s[14:15], vcc
	s_cbranch_execz .LBB85_60
; %bb.59:
	v_mov_b32_e32 v22, s37
	v_add_co_u32_e32 v21, vcc, s36, v2
	v_addc_co_u32_e32 v22, vcc, v3, v22, vcc
	global_load_dword v21, v[21:22], off
.LBB85_60:
	s_or_b64 exec, exec, s[14:15]
	v_add_u32_e32 v22, 0x420, v15
	v_add_u32_e32 v23, v13, v22
	s_waitcnt vmcnt(0)
	ds_write_b32 v23, v21
	v_add_u32_e32 v21, 16, v5
	v_cmp_gt_i32_e32 vcc, s26, v21
	v_mov_b32_e32 v28, 0
	v_mov_b32_e32 v23, 0
	s_and_saveexec_b64 s[14:15], vcc
	s_cbranch_execz .LBB85_62
; %bb.61:
	s_lshl_b64 s[16:17], s[40:41], 6
	v_mov_b32_e32 v23, s17
	v_add_co_u32_e32 v29, vcc, s16, v2
	v_addc_co_u32_e32 v30, vcc, v3, v23, vcc
	global_load_dword v23, v[29:30], off
.LBB85_62:
	s_or_b64 exec, exec, s[14:15]
	v_add_u32_e32 v25, 0x420, v22
	v_add_u32_e32 v27, v13, v25
	s_waitcnt vmcnt(0)
	ds_write_b32 v27, v23
	v_add_u32_e32 v23, 24, v5
	v_cmp_gt_i32_e32 vcc, s26, v23
	s_and_saveexec_b64 s[14:15], vcc
	s_cbranch_execz .LBB85_64
; %bb.63:
	v_mov_b32_e32 v5, 0x60
	v_mad_u64_u32 v[27:28], s[16:17], s40, v5, v[2:3]
	s_mul_i32 s16, s41, 0x60
	v_add_u32_e32 v28, s16, v28
	global_load_dword v28, v[27:28], off
.LBB85_64:
	s_or_b64 exec, exec, s[14:15]
	v_add_u32_e32 v27, 0x420, v25
	v_add_co_u32_e32 v2, vcc, v2, v26
	v_add_u32_e32 v5, v13, v27
	v_addc_co_u32_e32 v3, vcc, 0, v3, vcc
	s_waitcnt vmcnt(0)
	ds_write_b32 v5, v28
	v_mov_b32_e32 v5, s13
	v_subrev_co_u32_e32 v2, vcc, s12, v2
	v_subb_co_u32_e32 v3, vcc, v3, v5, vcc
	v_add_co_u32_e32 v2, vcc, 0x84, v2
	v_addc_co_u32_e32 v3, vcc, 0, v3, vcc
	v_cndmask_b32_e64 v11, v3, v11, s[10:11]
	v_cndmask_b32_e64 v10, v2, v10, s[10:11]
.LBB85_65:
	v_add_u32_e32 v2, v13, v15
	s_waitcnt lgkmcnt(0)
	s_barrier
	v_add_u32_e32 v3, v13, v22
	ds_read_b32 v22, v2
	ds_read_b32 v26, v12 offset:4544
	ds_read_b32 v28, v3
	v_lshlrev_b32_e32 v2, 2, v14
	v_add_u32_e32 v3, v13, v25
	v_lshlrev_b32_e32 v5, 2, v21
	v_add_u32_e32 v13, v13, v27
	v_lshlrev_b32_e32 v14, 2, v23
	v_lshl_add_u32 v12, v12, 2, v17
	s_waitcnt lgkmcnt(1)
	v_fma_f32 v22, v22, v26, 0
	ds_read_b32 v21, v2 offset:4544
	ds_read_b32 v23, v3
	ds_read_b32 v25, v5 offset:4544
	ds_read_b32 v27, v13
	ds_read_b32 v29, v14 offset:4544
	ds_read2_b32 v[14:15], v12 offset1:1
	ds_read_b128 v[2:5], v4 offset:128
	ds_read2_b32 v[12:13], v12 offset0:2 offset1:3
	s_waitcnt lgkmcnt(7)
	v_fmac_f32_e32 v22, v28, v21
	s_waitcnt lgkmcnt(5)
	v_fmac_f32_e32 v22, v23, v25
	;; [unrolled: 2-line block ×3, first 2 shown]
	s_waitcnt lgkmcnt(0)
	s_barrier
	ds_write_b32 v20, v22
	s_waitcnt lgkmcnt(0)
	s_barrier
	s_and_saveexec_b64 s[10:11], s[8:9]
	s_cbranch_execz .LBB85_67
; %bb.66:
	ds_read2_b32 v[21:22], v17 offset1:1
	ds_read2_b32 v[25:26], v17 offset0:2 offset1:3
	ds_read2_b32 v[27:28], v17 offset0:4 offset1:5
	;; [unrolled: 1-line block ×3, first 2 shown]
	s_waitcnt lgkmcnt(3)
	v_add_f32_e32 v21, v24, v21
	v_add_f32_e32 v21, v21, v22
	s_waitcnt lgkmcnt(2)
	v_add_f32_e32 v21, v21, v25
	v_add_f32_e32 v21, v21, v26
	;; [unrolled: 3-line block ×4, first 2 shown]
.LBB85_67:
	s_or_b64 exec, exec, s[10:11]
	v_fma_f32 v2, v14, v2, 0
	v_fmac_f32_e32 v2, v15, v3
	v_fmac_f32_e32 v2, v12, v4
	;; [unrolled: 1-line block ×3, first 2 shown]
	s_barrier
	ds_write_b32 v20, v2
	s_waitcnt lgkmcnt(0)
	s_barrier
	s_and_saveexec_b64 s[8:9], s[20:21]
	s_cbranch_execz .LBB85_69
; %bb.68:
	ds_read2_b32 v[2:3], v17 offset1:1
	ds_read2_b32 v[4:5], v17 offset0:2 offset1:3
	ds_read2_b32 v[12:13], v17 offset0:4 offset1:5
	;; [unrolled: 1-line block ×3, first 2 shown]
	s_waitcnt lgkmcnt(3)
	v_add_f32_e32 v2, v24, v2
	v_add_f32_e32 v2, v2, v3
	s_waitcnt lgkmcnt(2)
	v_add_f32_e32 v2, v2, v4
	v_add_f32_e32 v2, v2, v5
	;; [unrolled: 3-line block ×4, first 2 shown]
.LBB85_69:
	s_or_b64 exec, exec, s[8:9]
	s_load_dwordx2 s[4:5], s[4:5], 0x60
	s_mul_hi_u32 s8, s24, s7
	s_mul_i32 s33, s33, s7
	s_add_i32 s8, s8, s33
	s_mul_i32 s7, s24, s7
	s_mul_i32 s8, s8, s25
	s_mul_hi_u32 s9, s7, s25
	s_add_i32 s9, s9, s8
	s_mul_i32 s8, s7, s25
	s_lshl_b64 s[8:9], s[8:9], 2
	s_waitcnt lgkmcnt(0)
	s_add_u32 s7, s4, s8
	s_mul_i32 s4, s24, s6
	s_addc_u32 s8, s5, s9
	s_ashr_i32 s5, s4, 31
	s_lshl_b64 s[4:5], s[4:5], 2
	s_add_u32 s7, s7, s4
	v_cmp_le_i32_e32 vcc, s26, v0
	s_addc_u32 s20, s8, s5
	s_and_b64 vcc, s[34:35], vcc
	s_cmp_lt_i32 s6, 1
	v_lshlrev_b32_e32 v25, 2, v0
	s_barrier
	s_cbranch_scc1 .LBB85_76
; %bb.70:
	s_mul_i32 s4, s48, s29
	s_mul_hi_u32 s5, s48, s28
	s_add_i32 s4, s5, s4
	s_mul_i32 s5, s49, s28
	s_add_i32 s5, s4, s5
	s_mul_i32 s4, s48, s28
	s_lshl_b64 s[4:5], s[4:5], 2
	v_mov_b32_e32 v2, s5
	v_subrev_co_u32_e64 v26, s[4:5], s4, v6
	v_lshlrev_b32_e32 v6, 2, v1
	v_subb_co_u32_e64 v27, s[4:5], v7, v2, s[4:5]
	v_mad_u64_u32 v[2:3], s[4:5], s40, v6, 0
	v_mov_b32_e32 v4, s31
	v_subrev_co_u32_e64 v7, s[4:5], s30, v10
	v_subb_co_u32_e64 v10, s[4:5], v11, v4, s[4:5]
	v_mad_u64_u32 v[3:4], s[4:5], s41, v6, v[3:4]
	v_sub_co_u32_e64 v4, s[4:5], v7, v8
	v_lshlrev_b64 v[2:3], 2, v[2:3]
	v_subb_co_u32_e64 v6, s[4:5], v10, v9, s[4:5]
	v_add_co_u32_e64 v2, s[4:5], v4, v2
	v_addc_co_u32_e64 v3, s[4:5], v6, v3, s[4:5]
	s_ashr_i32 s27, s26, 31
	s_lshl_b64 s[4:5], s[26:27], 2
	v_mov_b32_e32 v4, s5
	v_add_co_u32_e64 v6, s[4:5], s4, v2
	v_addc_co_u32_e64 v4, s[4:5], v3, v4, s[4:5]
	s_movk_i32 s4, 0xff7c
	v_add_co_u32_e64 v6, s[4:5], s4, v6
	v_addc_co_u32_e64 v4, s[4:5], -1, v4, s[4:5]
	v_add_co_u32_e64 v2, s[4:5], v2, v25
	v_addc_co_u32_e64 v3, s[4:5], 0, v3, s[4:5]
	s_movk_i32 s4, 0xff80
	v_add_co_u32_e64 v2, s[4:5], s4, v2
	v_addc_co_u32_e64 v3, s[4:5], -1, v3, s[4:5]
	v_cndmask_b32_e32 v23, v3, v4, vcc
	v_lshrrev_b32_e32 v4, 2, v16
	v_and_b32_e32 v5, 15, v0
	s_movk_i32 s8, 0x10c
	v_and_b32_e32 v4, 0x1ffc, v4
	v_mad_u32_u24 v32, v5, s8, v4
	v_and_b32_e32 v4, 48, v0
	v_lshlrev_b32_e32 v4, 2, v4
	v_mad_u32_u24 v33, v5, s8, v4
	v_or_b32_e32 v4, 60, v25
	v_mad_u32_u24 v34, v5, s8, v4
	s_mul_i32 s8, s41, 12
	s_mul_hi_u32 s9, s40, 12
	s_add_i32 s8, s9, s8
	s_mul_i32 s9, s41, 0x48
	s_mul_hi_u32 s16, s40, 0x48
	s_add_i32 s9, s16, s9
	;; [unrolled: 3-line block ×9, first 2 shown]
	s_mul_i32 s16, s41, 0x84
	s_mul_hi_u32 s17, s40, 0x84
	v_cndmask_b32_e32 v22, v2, v6, vcc
	v_mov_b32_e32 v2, 0x10c0
	s_add_i32 s43, s17, s16
	s_mul_i32 s16, s41, 0x44
	s_mul_hi_u32 s17, s40, 0x44
	v_lshl_add_u32 v29, v1, 4, v2
	s_movk_i32 s4, 0x430
	v_mul_u32_u24_e32 v2, 0x10c, v5
	v_and_b32_e32 v3, 0x7ff0, v16
	s_lshl_b64 s[10:11], s[40:41], 2
	s_lshl_b64 s[14:15], s[40:41], 3
	s_add_i32 s44, s17, s16
	s_lshl_b64 s[16:17], s[40:41], 6
	v_mov_b32_e32 v21, 0
	v_add_u32_e32 v28, 0x10c0, v25
	v_add_u32_e32 v30, 0x11c0, v25
	v_mad_u32_u24 v31, v1, s4, v25
	v_cmp_gt_u32_e64 s[4:5], 64, v16
	s_lshl_b64 s[12:13], s[40:41], 8
	s_mul_i32 s21, s40, 12
	s_mul_i32 s24, s40, 0x48
	;; [unrolled: 1-line block ×11, first 2 shown]
	s_mov_b32 s35, 0
	v_mov_b32_e32 v35, s11
	v_mov_b32_e32 v36, s15
	;; [unrolled: 1-line block ×3, first 2 shown]
	v_add_u32_e32 v38, v2, v3
	v_mov_b32_e32 v39, s17
	v_mov_b32_e32 v40, s44
	;; [unrolled: 1-line block ×12, first 2 shown]
	s_branch .LBB85_72
.LBB85_71:                              ;   in Loop: Header=BB85_72 Depth=1
	s_or_b64 exec, exec, s[18:19]
	v_fmac_f32_e32 v24, v54, v2
	v_fmac_f32_e32 v24, v52, v3
	v_fmac_f32_e32 v24, v51, v4
	v_fmac_f32_e32 v24, v53, v5
	v_fmac_f32_e32 v24, v58, v6
	v_fmac_f32_e32 v24, v56, v7
	v_fmac_f32_e32 v24, v55, v8
	v_fmac_f32_e32 v24, v57, v9
	v_fmac_f32_e32 v24, v62, v10
	v_fmac_f32_e32 v24, v60, v11
	v_fmac_f32_e32 v24, v59, v12
	v_fmac_f32_e32 v24, v61, v13
	v_fmac_f32_e32 v24, v66, v14
	v_fmac_f32_e32 v24, v65, v15
	v_fmac_f32_e32 v24, v64, v16
	v_mov_b32_e32 v2, s13
	s_add_i32 s35, s35, 64
	s_add_i32 s6, s6, -1
	v_add_co_u32_e64 v22, s[8:9], s12, v22
	v_fmac_f32_e32 v24, v63, v17
	s_cmp_eq_u32 s6, 0
	v_addc_co_u32_e64 v23, s[8:9], v23, v2, s[8:9]
	s_waitcnt vmcnt(0)
	s_barrier
	s_cbranch_scc1 .LBB85_76
.LBB85_72:                              ; =>This Inner Loop Header: Depth=1
	s_and_saveexec_b64 s[18:19], s[2:3]
	s_cbranch_execz .LBB85_74
; %bb.73:                               ;   in Loop: Header=BB85_72 Depth=1
	s_mul_i32 s8, s49, s35
	s_mul_hi_u32 s9, s48, s35
	s_add_i32 s9, s9, s8
	s_mul_i32 s8, s48, s35
	s_lshl_b64 s[8:9], s[8:9], 2
	v_mov_b32_e32 v3, s9
	v_add_co_u32_e64 v2, s[8:9], s8, v26
	v_addc_co_u32_e64 v3, s[8:9], v27, v3, s[8:9]
	global_load_dword v2, v[2:3], off
	s_waitcnt vmcnt(0)
	ds_write_b32 v28, v2
.LBB85_74:                              ;   in Loop: Header=BB85_72 Depth=1
	s_or_b64 exec, exec, s[18:19]
	v_add_co_u32_e64 v2, s[8:9], s10, v22
	v_addc_co_u32_e64 v3, s[8:9], v23, v35, s[8:9]
	v_add_co_u32_e64 v4, s[8:9], s14, v22
	v_addc_co_u32_e64 v5, s[8:9], v23, v36, s[8:9]
	v_add_co_u32_e64 v6, s[8:9], s21, v22
	s_waitcnt lgkmcnt(0)
	s_barrier
	v_addc_co_u32_e64 v7, s[8:9], v23, v37, s[8:9]
	global_load_dword v54, v[22:23], off
	global_load_dword v52, v[2:3], off
	;; [unrolled: 1-line block ×4, first 2 shown]
	v_add_co_u32_e64 v6, s[8:9], s16, v22
	v_addc_co_u32_e64 v7, s[8:9], v23, v39, s[8:9]
	ds_read_b32 v14, v30
	ds_read_b128 v[2:5], v29
	v_add_co_u32_e64 v8, s[8:9], s34, v22
	v_addc_co_u32_e64 v9, s[8:9], v23, v40, s[8:9]
	v_add_co_u32_e64 v10, s[8:9], s24, v22
	v_addc_co_u32_e64 v11, s[8:9], v23, v41, s[8:9]
	;; [unrolled: 2-line block ×3, first 2 shown]
	s_waitcnt vmcnt(3) lgkmcnt(1)
	v_mul_f32_e32 v15, v54, v14
	s_waitcnt vmcnt(2)
	v_mul_f32_e32 v16, v52, v14
	s_waitcnt vmcnt(1)
	;; [unrolled: 2-line block ×3, first 2 shown]
	v_mul_f32_e32 v14, v53, v14
	ds_write2_b32 v31, v15, v16 offset1:67
	ds_write2_b32 v31, v17, v14 offset0:134 offset1:201
	s_waitcnt lgkmcnt(0)
	s_barrier
	ds_read2_b32 v[14:15], v38 offset1:1
	ds_read2_b32 v[16:17], v38 offset0:2 offset1:3
	s_waitcnt lgkmcnt(0)
	s_barrier
	global_load_dword v58, v[6:7], off
	global_load_dword v56, v[8:9], off
	global_load_dword v55, v[10:11], off
	global_load_dword v57, v[12:13], off
	v_add_co_u32_e64 v10, s[8:9], s22, v22
	v_addc_co_u32_e64 v11, s[8:9], v23, v43, s[8:9]
	ds_read_b32 v20, v30
	ds_read_b128 v[6:9], v29 offset:64
	v_add_co_u32_e64 v12, s[8:9], s33, v22
	v_addc_co_u32_e64 v13, s[8:9], v23, v44, s[8:9]
	v_add_co_u32_e64 v63, s[8:9], s26, v22
	v_addc_co_u32_e64 v64, s[8:9], v23, v45, s[8:9]
	;; [unrolled: 2-line block ×7, first 2 shown]
	v_add_f32_e32 v14, 0, v14
	v_add_f32_e32 v14, v14, v15
	;; [unrolled: 1-line block ×3, first 2 shown]
	s_waitcnt vmcnt(3) lgkmcnt(1)
	v_mul_f32_e32 v59, v58, v20
	s_waitcnt vmcnt(2)
	v_mul_f32_e32 v60, v56, v20
	s_waitcnt vmcnt(1)
	;; [unrolled: 2-line block ×3, first 2 shown]
	v_mul_f32_e32 v20, v57, v20
	ds_write2_b32 v31, v59, v60 offset1:67
	ds_write2_b32 v31, v61, v20 offset0:134 offset1:201
	s_waitcnt lgkmcnt(0)
	s_barrier
	ds_read2_b32 v[67:68], v38 offset1:1
	ds_read2_b32 v[69:70], v38 offset0:2 offset1:3
	s_waitcnt lgkmcnt(0)
	s_barrier
	global_load_dword v62, v[10:11], off
	global_load_dword v60, v[12:13], off
	;; [unrolled: 1-line block ×4, first 2 shown]
	ds_read_b32 v20, v30
	ds_read_b128 v[10:13], v29 offset:128
	s_waitcnt vmcnt(3) lgkmcnt(1)
	v_mul_f32_e32 v63, v62, v20
	s_waitcnt vmcnt(2)
	v_mul_f32_e32 v64, v60, v20
	s_waitcnt vmcnt(1)
	;; [unrolled: 2-line block ×3, first 2 shown]
	v_mul_f32_e32 v20, v61, v20
	ds_write2_b32 v31, v63, v64 offset1:67
	ds_write2_b32 v31, v65, v20 offset0:134 offset1:201
	s_waitcnt lgkmcnt(0)
	s_barrier
	ds_read2_b32 v[79:80], v38 offset1:1
	ds_read2_b32 v[81:82], v38 offset0:2 offset1:3
	s_waitcnt lgkmcnt(0)
	s_barrier
	global_load_dword v66, v[71:72], off
	global_load_dword v65, v[73:74], off
	global_load_dword v64, v[75:76], off
	global_load_dword v63, v[77:78], off
	v_add_f32_e32 v20, v14, v17
	v_add_f32_e32 v14, 0, v67
	;; [unrolled: 1-line block ×5, first 2 shown]
	ds_read_b32 v67, v30
	ds_read_b128 v[14:17], v29 offset:192
	v_add_f32_e32 v68, 0, v79
	v_add_f32_e32 v68, v68, v80
	;; [unrolled: 1-line block ×4, first 2 shown]
	s_waitcnt vmcnt(3) lgkmcnt(1)
	v_mul_f32_e32 v68, v66, v67
	s_waitcnt vmcnt(2)
	v_mul_f32_e32 v69, v65, v67
	s_waitcnt vmcnt(1)
	;; [unrolled: 2-line block ×3, first 2 shown]
	v_mul_f32_e32 v67, v63, v67
	ds_write2_b32 v31, v68, v69 offset1:67
	ds_write2_b32 v31, v70, v67 offset0:134 offset1:201
	s_waitcnt lgkmcnt(0)
	s_barrier
	ds_read2_b32 v[67:68], v38 offset1:1
	ds_read2_b32 v[69:70], v38 offset0:2 offset1:3
	s_waitcnt lgkmcnt(0)
	s_barrier
	ds_write2_b32 v32, v20, v71 offset1:16
	v_add_f32_e32 v20, 0, v67
	v_add_f32_e32 v20, v20, v68
	v_add_f32_e32 v20, v20, v69
	v_add_f32_e32 v20, v20, v70
	ds_write2_b32 v32, v72, v20 offset0:32 offset1:48
	s_waitcnt lgkmcnt(0)
	s_barrier
	s_and_saveexec_b64 s[18:19], s[4:5]
	s_cbranch_execz .LBB85_71
; %bb.75:                               ;   in Loop: Header=BB85_72 Depth=1
	ds_read2_b32 v[67:68], v33 offset1:1
	ds_read2_b32 v[69:70], v33 offset0:2 offset1:3
	ds_read2_b32 v[71:72], v33 offset0:4 offset1:5
	;; [unrolled: 1-line block ×4, first 2 shown]
	s_waitcnt lgkmcnt(4)
	v_add_f32_e32 v20, v67, v68
	s_waitcnt lgkmcnt(3)
	v_add_f32_e32 v20, v20, v69
	v_add_f32_e32 v20, v20, v70
	s_waitcnt lgkmcnt(2)
	v_add_f32_e32 v20, v20, v71
	;; [unrolled: 3-line block ×3, first 2 shown]
	v_add_f32_e32 v20, v20, v74
	ds_read2_b32 v[67:68], v33 offset0:10 offset1:11
	ds_read2_b32 v[69:70], v33 offset0:12 offset1:13
	ds_read_b32 v71, v33 offset:56
	s_waitcnt lgkmcnt(3)
	v_add_f32_e32 v20, v20, v75
	v_add_f32_e32 v20, v20, v76
	s_waitcnt lgkmcnt(2)
	v_add_f32_e32 v20, v20, v67
	ds_read_b32 v67, v34
	v_add_f32_e32 v20, v20, v68
	s_waitcnt lgkmcnt(2)
	v_add_f32_e32 v20, v20, v69
	v_add_f32_e32 v20, v20, v70
	s_waitcnt lgkmcnt(1)
	v_add_f32_e32 v20, v20, v71
	s_waitcnt lgkmcnt(0)
	v_add_f32_e32 v69, v20, v67
	v_add_u32_e32 v20, s35, v0
	v_lshlrev_b64 v[67:68], 2, v[20:21]
	v_mov_b32_e32 v20, s20
	v_add_co_u32_e64 v67, s[8:9], s7, v67
	v_addc_co_u32_e64 v68, s[8:9], v20, v68, s[8:9]
	global_store_dword v[67:68], v69, off
	s_branch .LBB85_71
.LBB85_76:
	s_movk_i32 s2, 0x10c
	v_mad_u32_u24 v0, v1, s2, v25
	s_nor_b64 s[0:1], s[0:1], vcc
	ds_write_b32 v0, v24
	s_waitcnt lgkmcnt(0)
	s_barrier
	s_and_saveexec_b64 s[2:3], s[0:1]
	s_cbranch_execz .LBB85_78
; %bb.77:
	ds_read2_b32 v[0:1], v25 offset1:67
	ds_read2_b32 v[2:3], v25 offset0:134 offset1:201
	v_lshlrev_b64 v[4:5], 2, v[18:19]
	v_mov_b32_e32 v6, s20
	s_waitcnt lgkmcnt(1)
	v_add_f32_e32 v0, v0, v1
	s_waitcnt lgkmcnt(0)
	v_add_f32_e32 v0, v0, v2
	v_add_f32_e32 v2, v0, v3
	v_add_co_u32_e32 v0, vcc, s7, v4
	v_addc_co_u32_e32 v1, vcc, v6, v5, vcc
	global_store_dword v[0:1], v2, off
.LBB85_78:
	s_endpgm
	.section	.rodata,"a",@progbits
	.p2align	6, 0x0
	.amdhsa_kernel _ZL26rocblas_hemvn_kernel_lowerILb0ELi64ELi4ELi33ELi32ELi16ElfPKfPfEviT6_lT7_lT5_lS4_lS5_lS3_lT8_i
		.amdhsa_group_segment_fixed_size 4800
		.amdhsa_private_segment_fixed_size 0
		.amdhsa_kernarg_size 368
		.amdhsa_user_sgpr_count 6
		.amdhsa_user_sgpr_private_segment_buffer 1
		.amdhsa_user_sgpr_dispatch_ptr 0
		.amdhsa_user_sgpr_queue_ptr 0
		.amdhsa_user_sgpr_kernarg_segment_ptr 1
		.amdhsa_user_sgpr_dispatch_id 0
		.amdhsa_user_sgpr_flat_scratch_init 0
		.amdhsa_user_sgpr_private_segment_size 0
		.amdhsa_uses_dynamic_stack 0
		.amdhsa_system_sgpr_private_segment_wavefront_offset 0
		.amdhsa_system_sgpr_workgroup_id_x 1
		.amdhsa_system_sgpr_workgroup_id_y 0
		.amdhsa_system_sgpr_workgroup_id_z 1
		.amdhsa_system_sgpr_workgroup_info 0
		.amdhsa_system_vgpr_workitem_id 1
		.amdhsa_next_free_vgpr 83
		.amdhsa_next_free_sgpr 52
		.amdhsa_reserve_vcc 1
		.amdhsa_reserve_flat_scratch 0
		.amdhsa_float_round_mode_32 0
		.amdhsa_float_round_mode_16_64 0
		.amdhsa_float_denorm_mode_32 3
		.amdhsa_float_denorm_mode_16_64 3
		.amdhsa_dx10_clamp 1
		.amdhsa_ieee_mode 1
		.amdhsa_fp16_overflow 0
		.amdhsa_exception_fp_ieee_invalid_op 0
		.amdhsa_exception_fp_denorm_src 0
		.amdhsa_exception_fp_ieee_div_zero 0
		.amdhsa_exception_fp_ieee_overflow 0
		.amdhsa_exception_fp_ieee_underflow 0
		.amdhsa_exception_fp_ieee_inexact 0
		.amdhsa_exception_int_div_zero 0
	.end_amdhsa_kernel
	.section	.text._ZL26rocblas_hemvn_kernel_lowerILb0ELi64ELi4ELi33ELi32ELi16ElfPKfPfEviT6_lT7_lT5_lS4_lS5_lS3_lT8_i,"axG",@progbits,_ZL26rocblas_hemvn_kernel_lowerILb0ELi64ELi4ELi33ELi32ELi16ElfPKfPfEviT6_lT7_lT5_lS4_lS5_lS3_lT8_i,comdat
.Lfunc_end85:
	.size	_ZL26rocblas_hemvn_kernel_lowerILb0ELi64ELi4ELi33ELi32ELi16ElfPKfPfEviT6_lT7_lT5_lS4_lS5_lS3_lT8_i, .Lfunc_end85-_ZL26rocblas_hemvn_kernel_lowerILb0ELi64ELi4ELi33ELi32ELi16ElfPKfPfEviT6_lT7_lT5_lS4_lS5_lS3_lT8_i
                                        ; -- End function
	.set _ZL26rocblas_hemvn_kernel_lowerILb0ELi64ELi4ELi33ELi32ELi16ElfPKfPfEviT6_lT7_lT5_lS4_lS5_lS3_lT8_i.num_vgpr, 83
	.set _ZL26rocblas_hemvn_kernel_lowerILb0ELi64ELi4ELi33ELi32ELi16ElfPKfPfEviT6_lT7_lT5_lS4_lS5_lS3_lT8_i.num_agpr, 0
	.set _ZL26rocblas_hemvn_kernel_lowerILb0ELi64ELi4ELi33ELi32ELi16ElfPKfPfEviT6_lT7_lT5_lS4_lS5_lS3_lT8_i.numbered_sgpr, 52
	.set _ZL26rocblas_hemvn_kernel_lowerILb0ELi64ELi4ELi33ELi32ELi16ElfPKfPfEviT6_lT7_lT5_lS4_lS5_lS3_lT8_i.num_named_barrier, 0
	.set _ZL26rocblas_hemvn_kernel_lowerILb0ELi64ELi4ELi33ELi32ELi16ElfPKfPfEviT6_lT7_lT5_lS4_lS5_lS3_lT8_i.private_seg_size, 0
	.set _ZL26rocblas_hemvn_kernel_lowerILb0ELi64ELi4ELi33ELi32ELi16ElfPKfPfEviT6_lT7_lT5_lS4_lS5_lS3_lT8_i.uses_vcc, 1
	.set _ZL26rocblas_hemvn_kernel_lowerILb0ELi64ELi4ELi33ELi32ELi16ElfPKfPfEviT6_lT7_lT5_lS4_lS5_lS3_lT8_i.uses_flat_scratch, 0
	.set _ZL26rocblas_hemvn_kernel_lowerILb0ELi64ELi4ELi33ELi32ELi16ElfPKfPfEviT6_lT7_lT5_lS4_lS5_lS3_lT8_i.has_dyn_sized_stack, 0
	.set _ZL26rocblas_hemvn_kernel_lowerILb0ELi64ELi4ELi33ELi32ELi16ElfPKfPfEviT6_lT7_lT5_lS4_lS5_lS3_lT8_i.has_recursion, 0
	.set _ZL26rocblas_hemvn_kernel_lowerILb0ELi64ELi4ELi33ELi32ELi16ElfPKfPfEviT6_lT7_lT5_lS4_lS5_lS3_lT8_i.has_indirect_call, 0
	.section	.AMDGPU.csdata,"",@progbits
; Kernel info:
; codeLenInByte = 5880
; TotalNumSgprs: 56
; NumVgprs: 83
; ScratchSize: 0
; MemoryBound: 0
; FloatMode: 240
; IeeeMode: 1
; LDSByteSize: 4800 bytes/workgroup (compile time only)
; SGPRBlocks: 6
; VGPRBlocks: 20
; NumSGPRsForWavesPerEU: 56
; NumVGPRsForWavesPerEU: 83
; Occupancy: 3
; WaveLimiterHint : 1
; COMPUTE_PGM_RSRC2:SCRATCH_EN: 0
; COMPUTE_PGM_RSRC2:USER_SGPR: 6
; COMPUTE_PGM_RSRC2:TRAP_HANDLER: 0
; COMPUTE_PGM_RSRC2:TGID_X_EN: 1
; COMPUTE_PGM_RSRC2:TGID_Y_EN: 0
; COMPUTE_PGM_RSRC2:TGID_Z_EN: 1
; COMPUTE_PGM_RSRC2:TIDIG_COMP_CNT: 1
	.section	.text._ZL36rocblas_hemvn_kernel_lower_block_sumILi64ElfPffEviT1_lS1_lT2_lT0_lPT3_i,"axG",@progbits,_ZL36rocblas_hemvn_kernel_lower_block_sumILi64ElfPffEviT1_lS1_lT2_lT0_lPT3_i,comdat
	.globl	_ZL36rocblas_hemvn_kernel_lower_block_sumILi64ElfPffEviT1_lS1_lT2_lT0_lPT3_i ; -- Begin function _ZL36rocblas_hemvn_kernel_lower_block_sumILi64ElfPffEviT1_lS1_lT2_lT0_lPT3_i
	.p2align	8
	.type	_ZL36rocblas_hemvn_kernel_lower_block_sumILi64ElfPffEviT1_lS1_lT2_lT0_lPT3_i,@function
_ZL36rocblas_hemvn_kernel_lower_block_sumILi64ElfPffEviT1_lS1_lT2_lT0_lPT3_i: ; @_ZL36rocblas_hemvn_kernel_lower_block_sumILi64ElfPffEviT1_lS1_lT2_lT0_lPT3_i
; %bb.0:
	s_load_dwordx2 s[8:9], s[4:5], 0x0
	s_load_dword s18, s[4:5], 0x10
	s_waitcnt lgkmcnt(0)
	v_cmp_eq_f32_e64 s[0:1], s9, 0
	v_cmp_eq_f32_e64 s[2:3], s18, 1.0
	s_and_b64 s[0:1], s[0:1], s[2:3]
	s_and_b64 vcc, exec, s[0:1]
	s_cbranch_vccnz .LBB86_19
; %bb.1:
	s_load_dwordx2 s[10:11], s[4:5], 0x38
	s_load_dwordx2 s[12:13], s[4:5], 0x20
	s_load_dwordx4 s[0:3], s[4:5], 0x28
	v_lshl_or_b32 v2, s6, 6, v0
	s_waitcnt lgkmcnt(0)
	s_mul_i32 s11, s11, s7
	s_mul_hi_u32 s14, s10, s7
	s_mul_i32 s10, s10, s7
	s_add_i32 s11, s14, s11
	s_lshl_b64 s[10:11], s[10:11], 2
	s_add_u32 s10, s12, s10
	s_addc_u32 s11, s13, s11
	s_lshl_b64 s[0:1], s[0:1], 2
	s_add_u32 s16, s10, s0
	s_addc_u32 s17, s11, s1
	v_cmp_neq_f32_e64 s[0:1], s9, 0
	s_and_b64 vcc, exec, s[0:1]
	v_cmp_gt_i32_e64 s[0:1], s8, v2
	s_cbranch_vccnz .LBB86_6
; %bb.2:
	s_mov_b64 s[12:13], 0
	s_mov_b64 s[10:11], 0
                                        ; implicit-def: $vgpr3
                                        ; implicit-def: $vgpr0_vgpr1
	s_and_saveexec_b64 s[14:15], s[0:1]
	s_cbranch_execz .LBB86_7
; %bb.3:
	v_ashrrev_i32_e32 v0, 31, v2
	v_mul_lo_u32 v4, s3, v2
	v_mul_lo_u32 v5, s2, v0
	v_mad_u64_u32 v[0:1], s[0:1], s2, v2, 0
	v_cmp_eq_f32_e64 s[0:1], s18, 0
	v_mov_b32_e32 v3, 0
	v_add3_u32 v1, v1, v5, v4
	s_and_b64 vcc, exec, s[0:1]
	s_cbranch_vccnz .LBB86_5
; %bb.4:
	v_lshlrev_b64 v[3:4], 2, v[0:1]
	v_mov_b32_e32 v5, s17
	v_add_co_u32_e32 v3, vcc, s16, v3
	v_addc_co_u32_e32 v4, vcc, v5, v4, vcc
	global_load_dword v3, v[3:4], off
	s_waitcnt vmcnt(0)
	v_mul_f32_e32 v3, s18, v3
.LBB86_5:
	s_mov_b64 s[10:11], exec
	s_or_b64 exec, exec, s[14:15]
	s_and_b64 vcc, exec, s[12:13]
	s_cbranch_vccnz .LBB86_8
	s_branch .LBB86_17
.LBB86_6:
	s_mov_b64 s[10:11], 0
                                        ; implicit-def: $vgpr3
                                        ; implicit-def: $vgpr0_vgpr1
	s_cbranch_execnz .LBB86_8
	s_branch .LBB86_17
.LBB86_7:
	s_or_b64 exec, exec, s[14:15]
	s_and_b64 vcc, exec, s[12:13]
	s_cbranch_vccz .LBB86_17
.LBB86_8:
	v_cmp_gt_i32_e32 vcc, s8, v2
                                        ; implicit-def: $vgpr3
                                        ; implicit-def: $vgpr0_vgpr1
	s_and_saveexec_b64 s[0:1], vcc
	s_cbranch_execz .LBB86_16
; %bb.9:
	s_load_dword s12, s[4:5], 0x50
	v_mov_b32_e32 v4, 0
	s_waitcnt lgkmcnt(0)
	s_cmp_ge_i32 s6, s12
	s_cbranch_scc1 .LBB86_12
; %bb.10:
	s_ashr_i32 s15, s8, 31
	s_mul_i32 s13, s8, s6
	s_load_dwordx2 s[4:5], s[4:5], 0x40
	v_add_u32_e32 v0, s13, v2
	s_mul_hi_u32 s13, s8, s7
	s_mul_i32 s19, s15, s7
	s_add_i32 s13, s13, s19
	s_mul_i32 s7, s8, s7
	s_mov_b32 s14, s8
	s_mul_i32 s13, s13, s12
	s_mul_hi_u32 s8, s7, s12
	s_add_i32 s21, s8, s13
	s_mul_i32 s20, s7, s12
	v_ashrrev_i32_e32 v1, 31, v0
	s_lshl_b64 s[20:21], s[20:21], 2
	v_lshlrev_b64 v[0:1], 2, v[0:1]
	s_waitcnt lgkmcnt(0)
	s_add_u32 s4, s4, s20
	s_addc_u32 s5, s5, s21
	v_mov_b32_e32 v3, s5
	v_add_co_u32_e32 v0, vcc, s4, v0
	s_lshl_b64 s[4:5], s[14:15], 2
	v_addc_co_u32_e32 v1, vcc, v3, v1, vcc
	v_mov_b32_e32 v4, 0
	v_mov_b32_e32 v3, s5
.LBB86_11:                              ; =>This Inner Loop Header: Depth=1
	global_load_dword v5, v[0:1], off
	s_add_i32 s6, s6, 1
	v_add_co_u32_e32 v0, vcc, s4, v0
	v_addc_co_u32_e32 v1, vcc, v1, v3, vcc
	s_cmp_ge_i32 s6, s12
	s_waitcnt vmcnt(0)
	v_add_f32_e32 v4, v4, v5
	s_cbranch_scc0 .LBB86_11
.LBB86_12:
	v_ashrrev_i32_e32 v0, 31, v2
	v_mul_lo_u32 v5, s3, v2
	v_mul_lo_u32 v6, s2, v0
	v_cmp_eq_f32_e64 s[4:5], s18, 0
	s_and_b64 vcc, exec, s[4:5]
	s_cbranch_vccz .LBB86_20
; %bb.13:
	v_mad_u64_u32 v[0:1], s[4:5], s2, v2, 0
	v_mul_f32_e32 v3, s9, v4
	v_add3_u32 v1, v1, v6, v5
	s_cbranch_execnz .LBB86_15
.LBB86_14:
	v_mad_u64_u32 v[0:1], s[2:3], s2, v2, 0
	v_mov_b32_e32 v7, s17
	v_add3_u32 v1, v1, v6, v5
	v_lshlrev_b64 v[2:3], 2, v[0:1]
	v_add_co_u32_e32 v2, vcc, s16, v2
	v_addc_co_u32_e32 v3, vcc, v7, v3, vcc
	global_load_dword v2, v[2:3], off
	s_waitcnt vmcnt(0)
	v_mul_f32_e32 v3, s18, v2
	v_fmac_f32_e32 v3, s9, v4
.LBB86_15:
	s_or_b64 s[10:11], s[10:11], exec
.LBB86_16:
	s_or_b64 exec, exec, s[0:1]
.LBB86_17:
	s_and_saveexec_b64 s[0:1], s[10:11]
	s_cbranch_execz .LBB86_19
; %bb.18:
	v_lshlrev_b64 v[0:1], 2, v[0:1]
	v_mov_b32_e32 v2, s17
	v_add_co_u32_e32 v0, vcc, s16, v0
	v_addc_co_u32_e32 v1, vcc, v2, v1, vcc
	global_store_dword v[0:1], v3, off
.LBB86_19:
	s_endpgm
.LBB86_20:
                                        ; implicit-def: $vgpr3
                                        ; implicit-def: $vgpr0_vgpr1
	s_branch .LBB86_14
	.section	.rodata,"a",@progbits
	.p2align	6, 0x0
	.amdhsa_kernel _ZL36rocblas_hemvn_kernel_lower_block_sumILi64ElfPffEviT1_lS1_lT2_lT0_lPT3_i
		.amdhsa_group_segment_fixed_size 0
		.amdhsa_private_segment_fixed_size 0
		.amdhsa_kernarg_size 336
		.amdhsa_user_sgpr_count 6
		.amdhsa_user_sgpr_private_segment_buffer 1
		.amdhsa_user_sgpr_dispatch_ptr 0
		.amdhsa_user_sgpr_queue_ptr 0
		.amdhsa_user_sgpr_kernarg_segment_ptr 1
		.amdhsa_user_sgpr_dispatch_id 0
		.amdhsa_user_sgpr_flat_scratch_init 0
		.amdhsa_user_sgpr_private_segment_size 0
		.amdhsa_uses_dynamic_stack 0
		.amdhsa_system_sgpr_private_segment_wavefront_offset 0
		.amdhsa_system_sgpr_workgroup_id_x 1
		.amdhsa_system_sgpr_workgroup_id_y 0
		.amdhsa_system_sgpr_workgroup_id_z 1
		.amdhsa_system_sgpr_workgroup_info 0
		.amdhsa_system_vgpr_workitem_id 0
		.amdhsa_next_free_vgpr 8
		.amdhsa_next_free_sgpr 22
		.amdhsa_reserve_vcc 1
		.amdhsa_reserve_flat_scratch 0
		.amdhsa_float_round_mode_32 0
		.amdhsa_float_round_mode_16_64 0
		.amdhsa_float_denorm_mode_32 3
		.amdhsa_float_denorm_mode_16_64 3
		.amdhsa_dx10_clamp 1
		.amdhsa_ieee_mode 1
		.amdhsa_fp16_overflow 0
		.amdhsa_exception_fp_ieee_invalid_op 0
		.amdhsa_exception_fp_denorm_src 0
		.amdhsa_exception_fp_ieee_div_zero 0
		.amdhsa_exception_fp_ieee_overflow 0
		.amdhsa_exception_fp_ieee_underflow 0
		.amdhsa_exception_fp_ieee_inexact 0
		.amdhsa_exception_int_div_zero 0
	.end_amdhsa_kernel
	.section	.text._ZL36rocblas_hemvn_kernel_lower_block_sumILi64ElfPffEviT1_lS1_lT2_lT0_lPT3_i,"axG",@progbits,_ZL36rocblas_hemvn_kernel_lower_block_sumILi64ElfPffEviT1_lS1_lT2_lT0_lPT3_i,comdat
.Lfunc_end86:
	.size	_ZL36rocblas_hemvn_kernel_lower_block_sumILi64ElfPffEviT1_lS1_lT2_lT0_lPT3_i, .Lfunc_end86-_ZL36rocblas_hemvn_kernel_lower_block_sumILi64ElfPffEviT1_lS1_lT2_lT0_lPT3_i
                                        ; -- End function
	.set _ZL36rocblas_hemvn_kernel_lower_block_sumILi64ElfPffEviT1_lS1_lT2_lT0_lPT3_i.num_vgpr, 8
	.set _ZL36rocblas_hemvn_kernel_lower_block_sumILi64ElfPffEviT1_lS1_lT2_lT0_lPT3_i.num_agpr, 0
	.set _ZL36rocblas_hemvn_kernel_lower_block_sumILi64ElfPffEviT1_lS1_lT2_lT0_lPT3_i.numbered_sgpr, 22
	.set _ZL36rocblas_hemvn_kernel_lower_block_sumILi64ElfPffEviT1_lS1_lT2_lT0_lPT3_i.num_named_barrier, 0
	.set _ZL36rocblas_hemvn_kernel_lower_block_sumILi64ElfPffEviT1_lS1_lT2_lT0_lPT3_i.private_seg_size, 0
	.set _ZL36rocblas_hemvn_kernel_lower_block_sumILi64ElfPffEviT1_lS1_lT2_lT0_lPT3_i.uses_vcc, 1
	.set _ZL36rocblas_hemvn_kernel_lower_block_sumILi64ElfPffEviT1_lS1_lT2_lT0_lPT3_i.uses_flat_scratch, 0
	.set _ZL36rocblas_hemvn_kernel_lower_block_sumILi64ElfPffEviT1_lS1_lT2_lT0_lPT3_i.has_dyn_sized_stack, 0
	.set _ZL36rocblas_hemvn_kernel_lower_block_sumILi64ElfPffEviT1_lS1_lT2_lT0_lPT3_i.has_recursion, 0
	.set _ZL36rocblas_hemvn_kernel_lower_block_sumILi64ElfPffEviT1_lS1_lT2_lT0_lPT3_i.has_indirect_call, 0
	.section	.AMDGPU.csdata,"",@progbits
; Kernel info:
; codeLenInByte = 648
; TotalNumSgprs: 26
; NumVgprs: 8
; ScratchSize: 0
; MemoryBound: 0
; FloatMode: 240
; IeeeMode: 1
; LDSByteSize: 0 bytes/workgroup (compile time only)
; SGPRBlocks: 3
; VGPRBlocks: 1
; NumSGPRsForWavesPerEU: 26
; NumVGPRsForWavesPerEU: 8
; Occupancy: 10
; WaveLimiterHint : 0
; COMPUTE_PGM_RSRC2:SCRATCH_EN: 0
; COMPUTE_PGM_RSRC2:USER_SGPR: 6
; COMPUTE_PGM_RSRC2:TRAP_HANDLER: 0
; COMPUTE_PGM_RSRC2:TGID_X_EN: 1
; COMPUTE_PGM_RSRC2:TGID_Y_EN: 0
; COMPUTE_PGM_RSRC2:TGID_Z_EN: 1
; COMPUTE_PGM_RSRC2:TIDIG_COMP_CNT: 0
	.section	.text._ZL26rocblas_hemvn_kernel_lowerILb0ELi64ELi4ELi33ELi32ELi16EifPKfPfEviT6_lT7_lT5_lS4_lS5_lS3_lT8_i,"axG",@progbits,_ZL26rocblas_hemvn_kernel_lowerILb0ELi64ELi4ELi33ELi32ELi16EifPKfPfEviT6_lT7_lT5_lS4_lS5_lS3_lT8_i,comdat
	.globl	_ZL26rocblas_hemvn_kernel_lowerILb0ELi64ELi4ELi33ELi32ELi16EifPKfPfEviT6_lT7_lT5_lS4_lS5_lS3_lT8_i ; -- Begin function _ZL26rocblas_hemvn_kernel_lowerILb0ELi64ELi4ELi33ELi32ELi16EifPKfPfEviT6_lT7_lT5_lS4_lS5_lS3_lT8_i
	.p2align	8
	.type	_ZL26rocblas_hemvn_kernel_lowerILb0ELi64ELi4ELi33ELi32ELi16EifPKfPfEviT6_lT7_lT5_lS4_lS5_lS3_lT8_i,@function
_ZL26rocblas_hemvn_kernel_lowerILb0ELi64ELi4ELi33ELi32ELi16EifPKfPfEviT6_lT7_lT5_lS4_lS5_lS3_lT8_i: ; @_ZL26rocblas_hemvn_kernel_lowerILb0ELi64ELi4ELi33ELi32ELi16EifPKfPfEviT6_lT7_lT5_lS4_lS5_lS3_lT8_i
; %bb.0:
	s_load_dwordx2 s[2:3], s[4:5], 0x7c
	s_add_u32 s0, s4, 0x70
	s_addc_u32 s1, s5, 0
	s_waitcnt lgkmcnt(0)
	s_lshr_b32 s8, s2, 16
	s_and_b32 s2, s2, 0xffff
	s_and_b32 s3, s3, 0xffff
	s_mul_i32 s2, s8, s2
	s_mul_i32 s2, s2, s3
	s_cmpk_lg_i32 s2, 0x100
	s_cbranch_scc1 .LBB87_78
; %bb.1:
	s_load_dwordx2 s[24:25], s[4:5], 0x0
	s_load_dword s8, s[4:5], 0x50
	s_waitcnt lgkmcnt(0)
	v_cmp_eq_f32_e64 s[2:3], s25, 0
	v_cmp_eq_f32_e64 s[8:9], s8, 1.0
	s_and_b64 s[8:9], s[2:3], s[8:9]
	s_and_b64 vcc, exec, s[8:9]
	s_cbranch_vccnz .LBB87_78
; %bb.2:
	s_and_b64 vcc, exec, s[2:3]
	s_cbranch_vccnz .LBB87_78
; %bb.3:
	s_load_dwordx2 s[2:3], s[4:5], 0x48
	s_load_dword s25, s[4:5], 0x40
	s_load_dword s33, s[0:1], 0x0
	s_load_dwordx4 s[8:11], s[4:5], 0x28
	s_load_dwordx2 s[12:13], s[4:5], 0x38
	s_waitcnt lgkmcnt(0)
	s_mul_i32 s0, s3, s7
	s_mul_hi_u32 s1, s2, s7
	s_add_i32 s1, s1, s0
	s_mul_i32 s0, s2, s7
	s_lshl_b64 s[0:1], s[0:1], 2
	s_add_u32 s2, s10, s0
	s_addc_u32 s3, s11, s1
	s_lshl_b64 s[0:1], s[12:13], 2
	s_add_u32 s0, s2, s0
	s_addc_u32 s1, s3, s1
	s_lshl_b32 s28, s6, 6
	v_add_u32_e32 v19, s28, v0
	v_mul_lo_u32 v3, s25, v19
	s_ashr_i32 s42, s24, 31
	s_lshr_b32 s3, s42, 26
	s_add_i32 s3, s24, s3
	v_ashrrev_i32_e32 v4, 31, v3
	s_andn2_b32 s3, s3, 63
	v_lshlrev_b64 v[3:4], 2, v[3:4]
	s_add_i32 s2, s33, -1
	s_sub_i32 s3, s24, s3
	v_mov_b32_e32 v2, v1
	s_cmp_eq_u32 s6, s2
	v_mov_b32_e32 v1, s1
	v_add_co_u32_e32 v7, vcc, s0, v3
	s_cselect_b32 s26, s3, 0
	v_addc_co_u32_e32 v8, vcc, v1, v4, vcc
	v_cmp_ne_u32_e64 s[0:1], 0, v2
	v_cmp_eq_u32_e64 s[2:3], 0, v2
	s_and_saveexec_b64 s[10:11], s[2:3]
	s_cbranch_execz .LBB87_7
; %bb.4:
	s_cmp_eq_u32 s26, 0
	s_cselect_b64 s[12:13], -1, 0
	v_cmp_gt_i32_e32 vcc, s26, v0
	s_or_b64 s[14:15], s[12:13], vcc
	v_mov_b32_e32 v1, 0
	s_and_saveexec_b64 s[12:13], s[14:15]
	s_cbranch_execz .LBB87_6
; %bb.5:
	global_load_dword v1, v[7:8], off
.LBB87_6:
	s_or_b64 exec, exec, s[12:13]
	v_lshlrev_b32_e32 v3, 2, v0
	s_waitcnt vmcnt(0)
	ds_write_b32 v3, v1 offset:4544
.LBB87_7:
	s_or_b64 exec, exec, s[10:11]
	s_load_dwordx4 s[12:15], s[4:5], 0x10
	s_load_dword s22, s[4:5], 0x20
	s_mul_i32 s9, s9, s7
	s_mul_hi_u32 s10, s8, s7
	s_add_i32 s9, s10, s9
	s_mul_i32 s8, s8, s7
	s_lshl_b64 s[8:9], s[8:9], 2
	s_waitcnt lgkmcnt(0)
	s_add_u32 s10, s12, s8
	v_lshl_add_u32 v17, v2, 6, v0
	s_addc_u32 s11, s13, s9
	s_lshl_b64 s[8:9], s[14:15], 2
	v_and_b32_e32 v1, 31, v0
	v_lshrrev_b32_e32 v13, 5, v17
	s_add_u32 s10, s10, s8
	s_addc_u32 s11, s11, s9
	v_mad_u64_u32 v[3:4], s[8:9], s22, v13, v[1:2]
	s_ashr_i32 s29, s28, 31
	s_lshl_b64 s[8:9], s[28:29], 2
	v_ashrrev_i32_e32 v4, 31, v3
	v_lshlrev_b64 v[9:10], 2, v[3:4]
	s_add_u32 s8, s10, s8
	s_addc_u32 s9, s11, s9
	v_add_co_u32_e32 v4, vcc, s8, v9
	s_mul_i32 s8, s22, s28
	v_mov_b32_e32 v3, s9
	s_ashr_i32 s9, s8, 31
	v_addc_co_u32_e32 v5, vcc, v3, v10, vcc
	s_lshl_b64 s[30:31], s[8:9], 2
	v_mov_b32_e32 v6, s31
	v_add_co_u32_e32 v3, vcc, s30, v4
	s_cmp_lg_u32 s26, 0
	v_addc_co_u32_e32 v4, vcc, v5, v6, vcc
	s_cselect_b64 s[34:35], -1, 0
	s_cmp_eq_u32 s26, 0
	s_cselect_b64 s[18:19], -1, 0
	s_mov_b64 s[8:9], -1
	s_and_b64 vcc, exec, s[34:35]
	s_cbranch_vccnz .LBB87_9
; %bb.8:
	s_lshl_b32 s8, s22, 3
	s_ashr_i32 s9, s8, 31
	s_lshl_b64 s[8:9], s[8:9], 2
	v_mov_b32_e32 v6, s9
	v_add_co_u32_e32 v5, vcc, s8, v3
	s_ashr_i32 s23, s22, 31
	v_addc_co_u32_e32 v6, vcc, v4, v6, vcc
	s_lshl_b64 s[8:9], s[22:23], 5
	v_mov_b32_e32 v15, s9
	v_add_co_u32_e32 v11, vcc, s8, v5
	v_addc_co_u32_e32 v12, vcc, v6, v15, vcc
	v_add_co_u32_e32 v14, vcc, s8, v11
	v_addc_co_u32_e32 v15, vcc, v12, v15, vcc
	global_load_dword v16, v[3:4], off
	global_load_dword v18, v[5:6], off
	;; [unrolled: 1-line block ×4, first 2 shown]
	v_mul_u32_u24_e32 v5, 0x84, v13
	v_lshl_add_u32 v5, v1, 2, v5
	s_mov_b64 s[8:9], 0
	s_waitcnt vmcnt(3)
	ds_write_b32 v5, v16
	s_waitcnt vmcnt(2)
	ds_write_b32 v5, v18 offset:1056
	s_waitcnt vmcnt(1)
	ds_write_b32 v5, v20 offset:2112
	;; [unrolled: 2-line block ×3, first 2 shown]
.LBB87_9:
	s_andn2_b64 vcc, exec, s[8:9]
	v_lshlrev_b32_e32 v14, 2, v1
	s_cbranch_vccnz .LBB87_19
; %bb.10:
	v_sub_co_u32_e32 v5, vcc, v3, v14
	s_ashr_i32 s27, s26, 31
	v_subbrev_co_u32_e32 v6, vcc, 0, v4, vcc
	s_lshl_b64 s[10:11], s[26:27], 2
	v_mov_b32_e32 v11, s11
	v_add_co_u32_e32 v5, vcc, s10, v5
	v_addc_co_u32_e32 v6, vcc, v6, v11, vcc
	v_add_co_u32_e32 v5, vcc, -4, v5
	v_addc_co_u32_e32 v6, vcc, -1, v6, vcc
	v_cmp_gt_i32_e32 vcc, s26, v1
	v_mov_b32_e32 v12, 0
	v_cndmask_b32_e32 v6, v6, v4, vcc
	v_cndmask_b32_e32 v5, v5, v3, vcc
	v_cmp_gt_i32_e64 s[8:9], s26, v13
	v_mov_b32_e32 v15, 0
	s_and_saveexec_b64 s[12:13], s[8:9]
	s_cbranch_execz .LBB87_12
; %bb.11:
	global_load_dword v15, v[5:6], off
.LBB87_12:
	s_or_b64 exec, exec, s[12:13]
	s_movk_i32 s8, 0x84
	v_mad_u32_u24 v16, v13, s8, v14
	s_waitcnt vmcnt(0)
	ds_write_b32 v16, v15
	v_add_u32_e32 v15, 8, v13
	v_mul_u32_u24_e32 v11, 0x84, v13
	v_cmp_gt_i32_e64 s[8:9], s26, v15
	s_and_saveexec_b64 s[12:13], s[8:9]
	s_cbranch_execz .LBB87_14
; %bb.13:
	s_lshl_b32 s8, s22, 3
	s_ashr_i32 s9, s8, 31
	s_lshl_b64 s[8:9], s[8:9], 2
	v_mov_b32_e32 v12, s9
	v_add_co_u32_e64 v15, s[8:9], s8, v5
	v_addc_co_u32_e64 v16, s[8:9], v6, v12, s[8:9]
	global_load_dword v12, v[15:16], off
.LBB87_14:
	s_or_b64 exec, exec, s[12:13]
	v_add_u32_e32 v11, v11, v14
	s_waitcnt vmcnt(0)
	ds_write_b32 v11, v12 offset:1056
	v_add_u32_e32 v12, 16, v13
	v_cmp_gt_i32_e64 s[8:9], s26, v12
	v_mov_b32_e32 v12, 0
	v_mov_b32_e32 v15, 0
	s_and_saveexec_b64 s[12:13], s[8:9]
	s_cbranch_execz .LBB87_16
; %bb.15:
	s_lshl_b32 s8, s22, 4
	s_ashr_i32 s9, s8, 31
	s_lshl_b64 s[8:9], s[8:9], 2
	v_mov_b32_e32 v16, s9
	v_add_co_u32_e64 v15, s[8:9], s8, v5
	v_addc_co_u32_e64 v16, s[8:9], v6, v16, s[8:9]
	global_load_dword v15, v[15:16], off
.LBB87_16:
	s_or_b64 exec, exec, s[12:13]
	s_waitcnt vmcnt(0)
	ds_write_b32 v11, v15 offset:2112
	v_add_u32_e32 v15, 24, v13
	v_cmp_gt_i32_e64 s[8:9], s26, v15
	s_and_saveexec_b64 s[12:13], s[8:9]
	s_cbranch_execz .LBB87_18
; %bb.17:
	s_mul_i32 s8, s22, 24
	s_ashr_i32 s9, s8, 31
	s_lshl_b64 s[8:9], s[8:9], 2
	v_mov_b32_e32 v12, s9
	v_add_co_u32_e64 v15, s[8:9], s8, v5
	v_addc_co_u32_e64 v16, s[8:9], v6, v12, s[8:9]
	global_load_dword v12, v[15:16], off
.LBB87_18:
	s_or_b64 exec, exec, s[12:13]
	v_add_co_u32_e64 v5, s[8:9], v5, v14
	v_addc_co_u32_e64 v6, s[8:9], 0, v6, s[8:9]
	s_waitcnt vmcnt(0)
	ds_write_b32 v11, v12 offset:3168
	v_mov_b32_e32 v11, s11
	v_subrev_co_u32_e64 v5, s[8:9], s10, v5
	v_subb_co_u32_e64 v6, s[8:9], v6, v11, s[8:9]
	v_add_co_u32_e64 v5, s[8:9], 4, v5
	v_addc_co_u32_e64 v6, s[8:9], 0, v6, s[8:9]
	v_cndmask_b32_e32 v4, v6, v4, vcc
	v_cndmask_b32_e32 v3, v5, v3, vcc
.LBB87_19:
	v_lshlrev_b32_e32 v5, 2, v13
	v_lshl_or_b32 v6, v1, 7, v14
	v_cmp_lt_u32_e64 s[8:9], v5, v1
	s_waitcnt lgkmcnt(0)
	s_barrier
	s_and_saveexec_b64 s[10:11], s[8:9]
	s_cbranch_execz .LBB87_21
; %bb.20:
	s_movk_i32 s12, 0x210
	v_mad_u32_u24 v11, v13, s12, v14
	ds_read_b32 v11, v11
	v_lshl_add_u32 v12, v5, 2, v6
	s_waitcnt lgkmcnt(0)
	ds_write_b32 v12, v11
.LBB87_21:
	s_or_b64 exec, exec, s[10:11]
	v_or_b32_e32 v11, 1, v5
	v_cmp_lt_u32_e64 s[10:11], v11, v1
	s_and_saveexec_b64 s[12:13], s[10:11]
	s_cbranch_execz .LBB87_23
; %bb.22:
	s_movk_i32 s14, 0x84
	v_mad_u32_u24 v12, v11, s14, v14
	ds_read_b32 v12, v12
	v_lshl_add_u32 v15, v5, 2, v6
	s_waitcnt lgkmcnt(0)
	ds_write_b32 v15, v12 offset:4
.LBB87_23:
	s_or_b64 exec, exec, s[12:13]
	v_or_b32_e32 v12, 2, v5
	v_cmp_lt_u32_e64 s[12:13], v12, v1
	s_and_saveexec_b64 s[14:15], s[12:13]
	s_cbranch_execz .LBB87_25
; %bb.24:
	s_movk_i32 s16, 0x84
	v_mad_u32_u24 v12, v12, s16, v14
	ds_read_b32 v12, v12
	v_lshl_add_u32 v15, v5, 2, v6
	s_waitcnt lgkmcnt(0)
	ds_write_b32 v15, v12 offset:8
.LBB87_25:
	s_or_b64 exec, exec, s[14:15]
	v_or_b32_e32 v15, 3, v5
	v_cmp_lt_u32_e64 s[14:15], v15, v1
	v_cmp_ge_u32_e32 vcc, v15, v1
                                        ; implicit-def: $vgpr12
	s_and_saveexec_b64 s[16:17], vcc
	s_xor_b64 s[16:17], exec, s[16:17]
; %bb.26:
	v_mul_u32_u24_e32 v12, 0x84, v15
                                        ; implicit-def: $vgpr6
                                        ; implicit-def: $vgpr15
; %bb.27:
	s_andn2_saveexec_b64 s[16:17], s[16:17]
	s_cbranch_execz .LBB87_29
; %bb.28:
	s_movk_i32 s20, 0x84
	v_mad_u32_u24 v12, v15, s20, v14
	ds_read_b32 v16, v12
	v_lshl_add_u32 v6, v5, 2, v6
	v_mul_u32_u24_e32 v12, 0x84, v15
	s_waitcnt lgkmcnt(0)
	ds_write_b32 v6, v16 offset:12
.LBB87_29:
	s_or_b64 exec, exec, s[16:17]
	s_movk_i32 s16, 0x210
	v_mad_u32_u24 v15, v13, s16, v14
	s_movk_i32 s16, 0x84
	s_waitcnt lgkmcnt(0)
	s_barrier
	v_lshlrev_b32_e32 v6, 2, v5
	ds_read_b32 v18, v15
	ds_read_b128 v[23:26], v6 offset:4544
	v_mad_u32_u24 v15, v11, s16, v14
	ds_read2_b32 v[15:16], v15 offset1:33
	v_add_u32_e32 v12, v14, v12
	ds_read_b32 v20, v12
	s_waitcnt lgkmcnt(2)
	v_fma_f32 v21, v18, v23, 0
	v_mov_b32_e32 v22, 0
	s_waitcnt lgkmcnt(1)
	v_fmac_f32_e32 v21, v15, v24
	v_mul_u32_u24_e32 v15, 33, v1
	v_fmac_f32_e32 v21, v16, v25
	v_lshlrev_b32_e32 v18, 2, v15
	s_waitcnt lgkmcnt(0)
	v_fmac_f32_e32 v21, v20, v26
	v_lshl_add_u32 v20, v13, 2, v18
	v_cmp_gt_u32_e64 s[20:21], 32, v17
	s_barrier
	ds_write_b32 v20, v21
	s_waitcnt lgkmcnt(0)
	s_barrier
	s_and_saveexec_b64 s[16:17], s[20:21]
	s_cbranch_execz .LBB87_31
; %bb.30:
	ds_read2_b32 v[15:16], v18 offset1:1
	ds_read2_b32 v[21:22], v18 offset0:2 offset1:3
	ds_read2_b32 v[23:24], v18 offset0:4 offset1:5
	;; [unrolled: 1-line block ×3, first 2 shown]
	s_waitcnt lgkmcnt(3)
	v_add_f32_e32 v15, v15, v16
	s_waitcnt lgkmcnt(2)
	v_add_f32_e32 v15, v15, v21
	v_add_f32_e32 v15, v15, v22
	s_waitcnt lgkmcnt(1)
	v_add_f32_e32 v15, v15, v23
	;; [unrolled: 3-line block ×3, first 2 shown]
	v_add_f32_e32 v22, v15, v26
.LBB87_31:
	s_or_b64 exec, exec, s[16:17]
	s_lshl_b32 s16, s22, 5
	s_ashr_i32 s17, s16, 31
	s_lshl_b64 s[36:37], s[16:17], 2
	v_mov_b32_e32 v15, s37
	v_add_co_u32_e32 v3, vcc, s36, v3
	v_addc_co_u32_e32 v4, vcc, v4, v15, vcc
	v_add_co_u32_e32 v15, vcc, 0x80, v3
	v_addc_co_u32_e32 v16, vcc, 0, v4, vcc
	v_cndmask_b32_e64 v21, 0, 1, s[18:19]
	v_cmp_ne_u32_e64 s[16:17], 1, v21
	s_andn2_b64 vcc, exec, s[18:19]
	s_mov_b64 s[18:19], -1
	s_barrier
	s_cbranch_vccnz .LBB87_33
; %bb.32:
	s_lshl_b32 s18, s22, 3
	s_ashr_i32 s19, s18, 31
	s_lshl_b64 s[18:19], s[18:19], 2
	v_mov_b32_e32 v21, s19
	v_add_co_u32_e32 v23, vcc, s18, v3
	s_ashr_i32 s23, s22, 31
	v_addc_co_u32_e32 v24, vcc, v4, v21, vcc
	s_lshl_b64 s[18:19], s[22:23], 5
	v_mov_b32_e32 v21, s19
	v_add_co_u32_e32 v25, vcc, s18, v23
	v_addc_co_u32_e32 v26, vcc, v24, v21, vcc
	v_add_co_u32_e32 v27, vcc, s18, v25
	v_addc_co_u32_e32 v28, vcc, v26, v21, vcc
	global_load_dword v21, v[3:4], off offset:128
	global_load_dword v29, v[23:24], off offset:128
	;; [unrolled: 1-line block ×4, first 2 shown]
	s_movk_i32 s18, 0x84
	v_mad_u32_u24 v23, v13, s18, v14
	s_mov_b64 s[18:19], 0
	s_waitcnt vmcnt(3)
	ds_write_b32 v23, v21
	s_waitcnt vmcnt(2)
	ds_write_b32 v23, v29 offset:1056
	s_waitcnt vmcnt(1)
	ds_write_b32 v23, v30 offset:2112
	;; [unrolled: 2-line block ×3, first 2 shown]
.LBB87_33:
	s_andn2_b64 vcc, exec, s[18:19]
	s_cbranch_vccnz .LBB87_43
; %bb.34:
	v_sub_co_u32_e32 v3, vcc, v3, v14
	s_ashr_i32 s27, s26, 31
	v_subbrev_co_u32_e32 v4, vcc, 0, v4, vcc
	s_lshl_b64 s[38:39], s[26:27], 2
	v_mov_b32_e32 v24, s39
	v_add_co_u32_e32 v3, vcc, s38, v3
	v_addc_co_u32_e32 v4, vcc, v4, v24, vcc
	v_or_b32_e32 v21, 32, v1
	v_add_co_u32_e32 v3, vcc, -4, v3
	v_addc_co_u32_e32 v4, vcc, -1, v4, vcc
	v_cmp_gt_i32_e64 s[18:19], s26, v21
	s_sub_i32 s23, s26, 32
	v_mov_b32_e32 v23, 0
	v_cndmask_b32_e64 v4, v4, v16, s[18:19]
	v_cndmask_b32_e64 v3, v3, v15, s[18:19]
	v_cmp_gt_i32_e32 vcc, s23, v13
	v_mov_b32_e32 v24, 0
	s_and_saveexec_b64 s[40:41], vcc
	s_cbranch_execz .LBB87_36
; %bb.35:
	global_load_dword v24, v[3:4], off
.LBB87_36:
	s_or_b64 exec, exec, s[40:41]
	s_movk_i32 s27, 0x84
	v_mad_u32_u24 v25, v13, s27, v14
	s_waitcnt vmcnt(0)
	ds_write_b32 v25, v24
	v_add_u32_e32 v24, 8, v13
	v_mul_u32_u24_e32 v21, 0x84, v13
	v_cmp_gt_i32_e32 vcc, s23, v24
	s_and_saveexec_b64 s[40:41], vcc
	s_cbranch_execz .LBB87_38
; %bb.37:
	s_lshl_b32 s44, s22, 3
	s_ashr_i32 s45, s44, 31
	s_lshl_b64 s[44:45], s[44:45], 2
	v_mov_b32_e32 v24, s45
	v_add_co_u32_e32 v23, vcc, s44, v3
	v_addc_co_u32_e32 v24, vcc, v4, v24, vcc
	global_load_dword v23, v[23:24], off
.LBB87_38:
	s_or_b64 exec, exec, s[40:41]
	v_add_u32_e32 v21, v21, v14
	s_waitcnt vmcnt(0)
	ds_write_b32 v21, v23 offset:1056
	v_add_u32_e32 v23, 16, v13
	v_cmp_gt_i32_e32 vcc, s23, v23
	v_mov_b32_e32 v23, 0
	v_mov_b32_e32 v24, 0
	s_and_saveexec_b64 s[40:41], vcc
	s_cbranch_execz .LBB87_40
; %bb.39:
	s_lshl_b32 s44, s22, 4
	s_ashr_i32 s45, s44, 31
	s_lshl_b64 s[44:45], s[44:45], 2
	v_mov_b32_e32 v25, s45
	v_add_co_u32_e32 v24, vcc, s44, v3
	v_addc_co_u32_e32 v25, vcc, v4, v25, vcc
	global_load_dword v24, v[24:25], off
.LBB87_40:
	s_or_b64 exec, exec, s[40:41]
	s_waitcnt vmcnt(0)
	ds_write_b32 v21, v24 offset:2112
	v_add_u32_e32 v24, 24, v13
	v_cmp_gt_i32_e32 vcc, s23, v24
	s_and_saveexec_b64 s[40:41], vcc
	s_cbranch_execz .LBB87_42
; %bb.41:
	s_mul_i32 s44, s22, 24
	s_ashr_i32 s45, s44, 31
	s_lshl_b64 s[44:45], s[44:45], 2
	v_mov_b32_e32 v24, s45
	v_add_co_u32_e32 v23, vcc, s44, v3
	v_addc_co_u32_e32 v24, vcc, v4, v24, vcc
	global_load_dword v23, v[23:24], off
.LBB87_42:
	s_or_b64 exec, exec, s[40:41]
	v_add_co_u32_e32 v3, vcc, v3, v14
	v_addc_co_u32_e32 v4, vcc, 0, v4, vcc
	s_waitcnt vmcnt(0)
	ds_write_b32 v21, v23 offset:3168
	v_mov_b32_e32 v21, s39
	v_subrev_co_u32_e32 v3, vcc, s38, v3
	v_subb_co_u32_e32 v4, vcc, v4, v21, vcc
	v_add_co_u32_e32 v3, vcc, 0x84, v3
	v_addc_co_u32_e32 v4, vcc, 0, v4, vcc
	v_cndmask_b32_e64 v16, v4, v16, s[18:19]
	v_cndmask_b32_e64 v15, v3, v15, s[18:19]
.LBB87_43:
	v_mul_u32_u24_e32 v3, 0x210, v13
	v_add_u32_e32 v6, 0x11c0, v6
	v_mul_u32_u24_e32 v4, 0x84, v11
	v_add_u32_e32 v3, v14, v3
	s_waitcnt lgkmcnt(0)
	s_barrier
	s_and_saveexec_b64 s[18:19], s[8:9]
	s_cbranch_execnz .LBB87_52
; %bb.44:
	s_or_b64 exec, exec, s[18:19]
	v_add_u32_e32 v4, v14, v4
	s_and_saveexec_b64 s[8:9], s[10:11]
	s_cbranch_execnz .LBB87_53
.LBB87_45:
	s_or_b64 exec, exec, s[8:9]
	s_and_saveexec_b64 s[8:9], s[12:13]
	s_cbranch_execnz .LBB87_54
.LBB87_46:
	s_or_b64 exec, exec, s[8:9]
	s_and_saveexec_b64 s[8:9], s[14:15]
	s_cbranch_execz .LBB87_48
.LBB87_47:
	ds_read_b32 v11, v12
	v_lshl_add_u32 v21, v5, 2, v18
	s_waitcnt lgkmcnt(0)
	ds_write_b32 v21, v11 offset:12
.LBB87_48:
	s_or_b64 exec, exec, s[8:9]
	s_waitcnt lgkmcnt(0)
	s_barrier
	ds_read_b32 v11, v3
	ds_read_b128 v[23:26], v6 offset:128
	ds_read2_b32 v[3:4], v4 offset1:33
	ds_read_b32 v12, v12
	v_cmp_eq_u32_e64 s[8:9], 1, v13
	s_waitcnt lgkmcnt(0)
	v_fma_f32 v11, v11, v23, 0
	v_fmac_f32_e32 v11, v3, v24
	v_fmac_f32_e32 v11, v4, v25
	;; [unrolled: 1-line block ×3, first 2 shown]
	s_barrier
	ds_write_b32 v20, v11
	s_waitcnt lgkmcnt(0)
	s_barrier
	s_and_saveexec_b64 s[10:11], s[8:9]
	s_cbranch_execz .LBB87_50
; %bb.49:
	ds_read2_b32 v[3:4], v18 offset1:1
	ds_read2_b32 v[11:12], v18 offset0:2 offset1:3
	ds_read2_b32 v[21:22], v18 offset0:4 offset1:5
	;; [unrolled: 1-line block ×3, first 2 shown]
	s_waitcnt lgkmcnt(3)
	v_add_f32_e32 v3, v3, v4
	s_waitcnt lgkmcnt(2)
	v_add_f32_e32 v3, v3, v11
	v_add_f32_e32 v3, v3, v12
	s_waitcnt lgkmcnt(1)
	v_add_f32_e32 v3, v3, v21
	;; [unrolled: 3-line block ×3, first 2 shown]
	v_add_f32_e32 v22, v3, v24
.LBB87_50:
	s_or_b64 exec, exec, s[10:11]
	v_mov_b32_e32 v3, s37
	v_subrev_co_u32_e64 v11, s[10:11], s36, v15
	s_and_b64 vcc, exec, s[16:17]
	v_subb_co_u32_e64 v12, s[10:11], v16, v3, s[10:11]
	s_barrier
	s_cbranch_vccnz .LBB87_55
; %bb.51:
	s_lshl_b32 s10, s22, 3
	s_ashr_i32 s11, s10, 31
	s_lshl_b64 s[10:11], s[10:11], 2
	v_mov_b32_e32 v4, s11
	v_add_co_u32_e32 v3, vcc, s10, v11
	s_ashr_i32 s23, s22, 31
	v_addc_co_u32_e32 v4, vcc, v12, v4, vcc
	s_lshl_b64 s[10:11], s[22:23], 5
	v_mov_b32_e32 v21, s11
	v_add_co_u32_e32 v15, vcc, s10, v3
	v_addc_co_u32_e32 v16, vcc, v4, v21, vcc
	v_add_co_u32_e32 v23, vcc, s10, v15
	v_addc_co_u32_e32 v24, vcc, v16, v21, vcc
	global_load_dword v27, v[11:12], off
	global_load_dword v28, v[3:4], off
	;; [unrolled: 1-line block ×4, first 2 shown]
	s_movk_i32 s10, 0x84
	v_mov_b32_e32 v3, 0x420
	v_mov_b32_e32 v4, 0x840
	;; [unrolled: 1-line block ×3, first 2 shown]
	v_mul_u32_u24_e32 v16, 0x84, v13
	v_add_u32_e32 v15, 8, v13
	v_add_u32_e32 v21, 16, v13
	;; [unrolled: 1-line block ×3, first 2 shown]
	v_mad_u32_u24 v31, v13, s10, v14
	v_mad_u32_u24 v23, v13, s10, v3
	;; [unrolled: 1-line block ×4, first 2 shown]
	v_add_u32_e32 v3, v14, v23
	v_add_u32_e32 v4, v14, v25
	;; [unrolled: 1-line block ×3, first 2 shown]
	s_waitcnt vmcnt(3)
	ds_write_b32 v31, v27
	s_waitcnt vmcnt(2)
	ds_write_b32 v3, v28
	;; [unrolled: 2-line block ×4, first 2 shown]
	s_cbranch_execz .LBB87_56
	s_branch .LBB87_65
.LBB87_52:
	ds_read_b32 v11, v3
	v_lshl_add_u32 v21, v5, 2, v18
	s_waitcnt lgkmcnt(0)
	ds_write_b32 v21, v11
	s_or_b64 exec, exec, s[18:19]
	v_add_u32_e32 v4, v14, v4
	s_and_saveexec_b64 s[8:9], s[10:11]
	s_cbranch_execz .LBB87_45
.LBB87_53:
	ds_read_b32 v11, v4
	v_lshl_add_u32 v21, v5, 2, v18
	s_waitcnt lgkmcnt(0)
	ds_write_b32 v21, v11 offset:4
	s_or_b64 exec, exec, s[8:9]
	s_and_saveexec_b64 s[8:9], s[12:13]
	s_cbranch_execz .LBB87_46
.LBB87_54:
	ds_read_b32 v11, v4 offset:132
	v_lshl_add_u32 v21, v5, 2, v18
	s_waitcnt lgkmcnt(0)
	ds_write_b32 v21, v11 offset:8
	s_or_b64 exec, exec, s[8:9]
	s_and_saveexec_b64 s[8:9], s[14:15]
	s_cbranch_execnz .LBB87_47
	s_branch .LBB87_48
.LBB87_55:
                                        ; implicit-def: $vgpr16
                                        ; implicit-def: $vgpr15
                                        ; implicit-def: $vgpr23
                                        ; implicit-def: $vgpr21
                                        ; implicit-def: $vgpr25
                                        ; implicit-def: $vgpr24
                                        ; implicit-def: $vgpr26
.LBB87_56:
	v_sub_co_u32_e32 v4, vcc, v11, v14
	s_ashr_i32 s27, s26, 31
	v_subbrev_co_u32_e32 v15, vcc, 0, v12, vcc
	s_lshl_b64 s[12:13], s[26:27], 2
	v_mov_b32_e32 v16, s13
	v_add_co_u32_e32 v4, vcc, s12, v4
	v_addc_co_u32_e32 v15, vcc, v15, v16, vcc
	v_or_b32_e32 v3, 32, v1
	v_add_co_u32_e32 v16, vcc, 0xffffff7c, v4
	v_addc_co_u32_e32 v4, vcc, -1, v15, vcc
	v_cmp_gt_i32_e64 s[10:11], s26, v3
	v_mov_b32_e32 v1, 0
	v_cndmask_b32_e64 v4, v4, v12, s[10:11]
	v_cndmask_b32_e64 v3, v16, v11, s[10:11]
	v_cmp_gt_i32_e32 vcc, s26, v13
	v_mov_b32_e32 v15, 0
	s_and_saveexec_b64 s[14:15], vcc
	s_cbranch_execz .LBB87_58
; %bb.57:
	global_load_dword v15, v[3:4], off
.LBB87_58:
	s_or_b64 exec, exec, s[14:15]
	s_movk_i32 s14, 0x84
	v_mad_u32_u24 v21, v13, s14, v14
	s_waitcnt vmcnt(0)
	ds_write_b32 v21, v15
	v_add_u32_e32 v15, 8, v13
	v_mul_u32_u24_e32 v16, 0x84, v13
	v_cmp_gt_i32_e32 vcc, s26, v15
	s_and_saveexec_b64 s[14:15], vcc
	s_cbranch_execz .LBB87_60
; %bb.59:
	s_lshl_b32 s16, s22, 3
	s_ashr_i32 s17, s16, 31
	s_lshl_b64 s[16:17], s[16:17], 2
	v_mov_b32_e32 v1, s17
	v_add_co_u32_e32 v23, vcc, s16, v3
	v_addc_co_u32_e32 v24, vcc, v4, v1, vcc
	global_load_dword v1, v[23:24], off
.LBB87_60:
	s_or_b64 exec, exec, s[14:15]
	v_add_u32_e32 v23, 0x420, v16
	v_add_u32_e32 v21, v14, v23
	s_waitcnt vmcnt(0)
	ds_write_b32 v21, v1
	v_add_u32_e32 v21, 16, v13
	v_cmp_gt_i32_e32 vcc, s26, v21
	v_mov_b32_e32 v1, 0
	v_mov_b32_e32 v24, 0
	s_and_saveexec_b64 s[14:15], vcc
	s_cbranch_execz .LBB87_62
; %bb.61:
	s_lshl_b32 s16, s22, 4
	s_ashr_i32 s17, s16, 31
	s_lshl_b64 s[16:17], s[16:17], 2
	v_mov_b32_e32 v25, s17
	v_add_co_u32_e32 v24, vcc, s16, v3
	v_addc_co_u32_e32 v25, vcc, v4, v25, vcc
	global_load_dword v24, v[24:25], off
.LBB87_62:
	s_or_b64 exec, exec, s[14:15]
	v_add_u32_e32 v25, 0x420, v23
	v_add_u32_e32 v26, v14, v25
	s_waitcnt vmcnt(0)
	ds_write_b32 v26, v24
	v_add_u32_e32 v24, 24, v13
	v_cmp_gt_i32_e32 vcc, s26, v24
	s_and_saveexec_b64 s[14:15], vcc
	s_cbranch_execz .LBB87_64
; %bb.63:
	s_mul_i32 s16, s22, 24
	s_ashr_i32 s17, s16, 31
	s_lshl_b64 s[16:17], s[16:17], 2
	v_mov_b32_e32 v1, s17
	v_add_co_u32_e32 v26, vcc, s16, v3
	v_addc_co_u32_e32 v27, vcc, v4, v1, vcc
	global_load_dword v1, v[26:27], off
.LBB87_64:
	s_or_b64 exec, exec, s[14:15]
	v_add_u32_e32 v26, 0x420, v25
	v_add_u32_e32 v13, v14, v26
	s_waitcnt vmcnt(0)
	ds_write_b32 v13, v1
	v_add_co_u32_e32 v1, vcc, v3, v14
	v_addc_co_u32_e32 v3, vcc, 0, v4, vcc
	v_mov_b32_e32 v4, s13
	v_subrev_co_u32_e32 v1, vcc, s12, v1
	v_subb_co_u32_e32 v3, vcc, v3, v4, vcc
	v_add_co_u32_e32 v1, vcc, 0x84, v1
	v_addc_co_u32_e32 v3, vcc, 0, v3, vcc
	v_cndmask_b32_e64 v12, v3, v12, s[10:11]
	v_cndmask_b32_e64 v11, v1, v11, s[10:11]
.LBB87_65:
	v_add_u32_e32 v1, v14, v16
	s_waitcnt lgkmcnt(0)
	s_barrier
	v_add_u32_e32 v3, v14, v23
	ds_read_b32 v1, v1
	ds_read_b32 v23, v5 offset:4544
	ds_read_b32 v27, v3
	v_lshlrev_b32_e32 v3, 2, v15
	v_add_u32_e32 v4, v14, v25
	v_lshlrev_b32_e32 v13, 2, v21
	v_add_u32_e32 v14, v14, v26
	v_lshlrev_b32_e32 v15, 2, v24
	s_waitcnt lgkmcnt(1)
	v_fma_f32 v1, v1, v23, 0
	v_lshl_add_u32 v21, v5, 2, v18
	ds_read_b32 v24, v3 offset:4544
	ds_read_b32 v25, v4
	ds_read_b32 v26, v13 offset:4544
	ds_read_b32 v28, v14
	ds_read_b32 v29, v15 offset:4544
	ds_read2_b32 v[15:16], v21 offset1:1
	ds_read_b128 v[3:6], v6 offset:128
	ds_read2_b32 v[13:14], v21 offset0:2 offset1:3
	s_waitcnt lgkmcnt(7)
	v_fmac_f32_e32 v1, v27, v24
	s_waitcnt lgkmcnt(5)
	v_fmac_f32_e32 v1, v25, v26
	;; [unrolled: 2-line block ×3, first 2 shown]
	s_waitcnt lgkmcnt(0)
	s_barrier
	ds_write_b32 v20, v1
	s_waitcnt lgkmcnt(0)
	s_barrier
	s_and_saveexec_b64 s[10:11], s[8:9]
	s_cbranch_execz .LBB87_67
; %bb.66:
	ds_read2_b32 v[23:24], v18 offset1:1
	ds_read2_b32 v[25:26], v18 offset0:2 offset1:3
	ds_read2_b32 v[27:28], v18 offset0:4 offset1:5
	ds_read2_b32 v[29:30], v18 offset0:6 offset1:7
	s_waitcnt lgkmcnt(3)
	v_add_f32_e32 v1, v22, v23
	v_add_f32_e32 v1, v1, v24
	s_waitcnt lgkmcnt(2)
	v_add_f32_e32 v1, v1, v25
	v_add_f32_e32 v1, v1, v26
	;; [unrolled: 3-line block ×4, first 2 shown]
.LBB87_67:
	s_or_b64 exec, exec, s[10:11]
	v_fma_f32 v1, v15, v3, 0
	v_fmac_f32_e32 v1, v16, v4
	v_fmac_f32_e32 v1, v13, v5
	;; [unrolled: 1-line block ×3, first 2 shown]
	s_barrier
	ds_write_b32 v20, v1
	s_waitcnt lgkmcnt(0)
	s_barrier
	s_and_saveexec_b64 s[8:9], s[20:21]
	s_cbranch_execz .LBB87_69
; %bb.68:
	ds_read2_b32 v[3:4], v18 offset1:1
	ds_read2_b32 v[5:6], v18 offset0:2 offset1:3
	ds_read2_b32 v[13:14], v18 offset0:4 offset1:5
	;; [unrolled: 1-line block ×3, first 2 shown]
	s_waitcnt lgkmcnt(3)
	v_add_f32_e32 v1, v22, v3
	v_add_f32_e32 v1, v1, v4
	s_waitcnt lgkmcnt(2)
	v_add_f32_e32 v1, v1, v5
	v_add_f32_e32 v1, v1, v6
	;; [unrolled: 3-line block ×4, first 2 shown]
.LBB87_69:
	s_or_b64 exec, exec, s[8:9]
	s_load_dwordx2 s[4:5], s[4:5], 0x60
	s_mul_hi_u32 s8, s24, s7
	s_mul_i32 s42, s42, s7
	s_add_i32 s8, s8, s42
	s_mul_i32 s7, s24, s7
	s_mul_i32 s8, s8, s33
	s_mul_hi_u32 s9, s7, s33
	s_add_i32 s9, s9, s8
	s_mul_i32 s8, s7, s33
	s_lshl_b64 s[8:9], s[8:9], 2
	s_waitcnt lgkmcnt(0)
	s_add_u32 s7, s4, s8
	s_mul_i32 s4, s24, s6
	s_addc_u32 s8, s5, s9
	s_ashr_i32 s5, s4, 31
	s_lshl_b64 s[4:5], s[4:5], 2
	s_add_u32 s7, s7, s4
	v_cmp_le_i32_e32 vcc, s26, v0
	s_addc_u32 s24, s8, s5
	s_and_b64 vcc, s[34:35], vcc
	s_cmp_lt_i32 s6, 1
	v_lshlrev_b32_e32 v23, 2, v0
	s_barrier
	s_cbranch_scc1 .LBB87_76
; %bb.70:
	s_mul_i32 s4, s25, s28
	s_ashr_i32 s5, s4, 31
	s_lshl_b64 s[4:5], s[4:5], 2
	v_mov_b32_e32 v1, s5
	v_subrev_co_u32_e64 v24, s[4:5], s4, v7
	v_mul_lo_u32 v4, v2, s22
	v_subb_co_u32_e64 v25, s[4:5], v8, v1, s[4:5]
	v_mov_b32_e32 v1, s31
	v_subrev_co_u32_e64 v3, s[4:5], s30, v11
	v_subb_co_u32_e64 v1, s[4:5], v12, v1, s[4:5]
	v_sub_co_u32_e64 v6, s[4:5], v3, v9
	v_lshl_add_u32 v3, v4, 2, v0
	v_ashrrev_i32_e32 v4, 31, v3
	v_lshlrev_b64 v[3:4], 2, v[3:4]
	v_subb_co_u32_e64 v1, s[4:5], v1, v10, s[4:5]
	v_add_co_u32_e64 v3, s[4:5], v6, v3
	v_addc_co_u32_e64 v4, s[4:5], v1, v4, s[4:5]
	s_movk_i32 s4, 0xff80
	v_add_co_u32_e64 v6, s[4:5], s4, v3
	v_addc_co_u32_e64 v7, s[4:5], -1, v4, s[4:5]
	v_sub_co_u32_e64 v3, s[4:5], v3, v23
	v_subbrev_co_u32_e64 v4, s[4:5], 0, v4, s[4:5]
	s_ashr_i32 s27, s26, 31
	s_lshl_b64 s[4:5], s[26:27], 2
	v_mov_b32_e32 v8, s5
	v_add_co_u32_e64 v3, s[4:5], s4, v3
	v_addc_co_u32_e64 v4, s[4:5], v4, v8, s[4:5]
	s_movk_i32 s4, 0xff7c
	v_add_co_u32_e64 v3, s[4:5], s4, v3
	v_cndmask_b32_e32 v20, v6, v3, vcc
	v_lshrrev_b32_e32 v6, 2, v17
	v_and_b32_e32 v5, 15, v0
	s_movk_i32 s8, 0x10c
	v_and_b32_e32 v6, 0x1ffc, v6
	v_mad_u32_u24 v30, v5, s8, v6
	v_and_b32_e32 v6, 48, v0
	v_lshlrev_b32_e32 v6, 2, v6
	v_addc_co_u32_e64 v4, s[4:5], -1, v4, s[4:5]
	v_mov_b32_e32 v3, 0x10c0
	v_mad_u32_u24 v31, v5, s8, v6
	v_or_b32_e32 v6, 60, v23
	s_ashr_i32 s23, s22, 31
	v_cndmask_b32_e32 v21, v7, v4, vcc
	v_lshl_add_u32 v27, v2, 4, v3
	s_movk_i32 s4, 0x430
	v_mul_u32_u24_e32 v3, 0x10c, v5
	v_and_b32_e32 v4, 0x7ff0, v17
	v_mad_u32_u24 v32, v5, s8, v6
	s_lshl_b64 s[10:11], s[22:23], 2
	s_lshl_b64 s[14:15], s[22:23], 3
	s_mul_hi_i32 s8, s22, 12
	s_mul_hi_i32 s9, s22, 0x48
	;; [unrolled: 1-line block ×10, first 2 shown]
	s_lshl_b64 s[16:17], s[22:23], 7
	s_mul_hi_i32 s45, s22, 0x44
	s_lshl_b64 s[18:19], s[22:23], 6
	v_mov_b32_e32 v1, 0
	s_lshl_b32 s25, s25, 6
	v_add_u32_e32 v26, 0x10c0, v23
	v_add_u32_e32 v28, 0x11c0, v23
	v_mad_u32_u24 v29, v2, s4, v23
	v_cmp_gt_u32_e64 s[4:5], 64, v17
	s_lshl_b64 s[12:13], s[22:23], 8
	s_mul_i32 s26, s22, 12
	s_mul_i32 s27, s22, 0x48
	s_mul_i32 s28, s22, 0x4c
	s_mul_i32 s29, s22, 0x88
	s_mul_i32 s30, s22, 0x8c
	s_mul_i32 s31, s22, 0xc8
	s_mul_i32 s33, s22, 0xcc
	s_mul_i32 s34, s22, 0xc4
	s_mul_i32 s35, s22, 0xc0
	s_mul_i32 s36, s22, 0x84
	s_mul_i32 s37, s22, 0x44
	s_mov_b32 s20, 0
	v_mov_b32_e32 v33, s11
	v_mov_b32_e32 v34, s15
	;; [unrolled: 1-line block ×3, first 2 shown]
	v_add_u32_e32 v36, v3, v4
	v_mov_b32_e32 v37, s19
	v_mov_b32_e32 v38, s45
	;; [unrolled: 1-line block ×12, first 2 shown]
	s_branch .LBB87_72
.LBB87_71:                              ;   in Loop: Header=BB87_72 Depth=1
	s_or_b64 exec, exec, s[22:23]
	v_fmac_f32_e32 v22, v52, v3
	v_fmac_f32_e32 v22, v50, v4
	;; [unrolled: 1-line block ×15, first 2 shown]
	v_mov_b32_e32 v3, s13
	v_add_co_u32_e64 v20, s[8:9], s12, v20
	s_add_i32 s6, s6, -1
	s_add_i32 s20, s20, s25
	v_fmac_f32_e32 v22, v61, v18
	v_addc_co_u32_e64 v21, s[8:9], v21, v3, s[8:9]
	s_cmp_eq_u32 s6, 0
	v_add_u32_e32 v0, 64, v0
	s_waitcnt vmcnt(0)
	s_barrier
	s_cbranch_scc1 .LBB87_76
.LBB87_72:                              ; =>This Inner Loop Header: Depth=1
	s_and_saveexec_b64 s[22:23], s[2:3]
	s_cbranch_execz .LBB87_74
; %bb.73:                               ;   in Loop: Header=BB87_72 Depth=1
	s_ashr_i32 s21, s20, 31
	s_lshl_b64 s[8:9], s[20:21], 2
	v_mov_b32_e32 v4, s9
	v_add_co_u32_e64 v3, s[8:9], s8, v24
	v_addc_co_u32_e64 v4, s[8:9], v25, v4, s[8:9]
	global_load_dword v3, v[3:4], off
	s_waitcnt vmcnt(0)
	ds_write_b32 v26, v3
.LBB87_74:                              ;   in Loop: Header=BB87_72 Depth=1
	s_or_b64 exec, exec, s[22:23]
	v_add_co_u32_e64 v3, s[8:9], s10, v20
	v_addc_co_u32_e64 v4, s[8:9], v21, v33, s[8:9]
	v_add_co_u32_e64 v5, s[8:9], s14, v20
	v_addc_co_u32_e64 v6, s[8:9], v21, v34, s[8:9]
	v_add_co_u32_e64 v7, s[8:9], s26, v20
	s_waitcnt lgkmcnt(0)
	s_barrier
	v_addc_co_u32_e64 v8, s[8:9], v21, v35, s[8:9]
	global_load_dword v52, v[20:21], off
	global_load_dword v50, v[3:4], off
	;; [unrolled: 1-line block ×4, first 2 shown]
	v_add_co_u32_e64 v7, s[8:9], s18, v20
	v_addc_co_u32_e64 v8, s[8:9], v21, v37, s[8:9]
	ds_read_b32 v15, v28
	ds_read_b128 v[3:6], v27
	v_add_co_u32_e64 v9, s[8:9], s37, v20
	v_addc_co_u32_e64 v10, s[8:9], v21, v38, s[8:9]
	v_add_co_u32_e64 v11, s[8:9], s27, v20
	v_addc_co_u32_e64 v12, s[8:9], v21, v39, s[8:9]
	;; [unrolled: 2-line block ×3, first 2 shown]
	s_waitcnt vmcnt(3) lgkmcnt(1)
	v_mul_f32_e32 v16, v52, v15
	s_waitcnt vmcnt(2)
	v_mul_f32_e32 v17, v50, v15
	s_waitcnt vmcnt(1)
	;; [unrolled: 2-line block ×3, first 2 shown]
	v_mul_f32_e32 v15, v51, v15
	ds_write2_b32 v29, v16, v17 offset1:67
	ds_write2_b32 v29, v18, v15 offset0:134 offset1:201
	s_waitcnt lgkmcnt(0)
	s_barrier
	ds_read2_b32 v[15:16], v36 offset1:1
	ds_read2_b32 v[17:18], v36 offset0:2 offset1:3
	s_waitcnt lgkmcnt(0)
	s_barrier
	global_load_dword v56, v[7:8], off
	global_load_dword v54, v[9:10], off
	;; [unrolled: 1-line block ×4, first 2 shown]
	v_add_co_u32_e64 v11, s[8:9], s16, v20
	v_addc_co_u32_e64 v12, s[8:9], v21, v41, s[8:9]
	ds_read_b32 v57, v28
	ds_read_b128 v[7:10], v27 offset:64
	v_add_co_u32_e64 v13, s[8:9], s36, v20
	v_addc_co_u32_e64 v14, s[8:9], v21, v42, s[8:9]
	v_add_co_u32_e64 v61, s[8:9], s29, v20
	v_addc_co_u32_e64 v62, s[8:9], v21, v43, s[8:9]
	;; [unrolled: 2-line block ×7, first 2 shown]
	v_add_f32_e32 v15, 0, v15
	v_add_f32_e32 v15, v15, v16
	;; [unrolled: 1-line block ×3, first 2 shown]
	s_waitcnt vmcnt(3) lgkmcnt(1)
	v_mul_f32_e32 v58, v56, v57
	s_waitcnt vmcnt(2)
	v_mul_f32_e32 v59, v54, v57
	s_waitcnt vmcnt(1)
	;; [unrolled: 2-line block ×3, first 2 shown]
	v_mul_f32_e32 v57, v55, v57
	ds_write2_b32 v29, v58, v59 offset1:67
	ds_write2_b32 v29, v60, v57 offset0:134 offset1:201
	s_waitcnt lgkmcnt(0)
	s_barrier
	ds_read2_b32 v[65:66], v36 offset1:1
	ds_read2_b32 v[67:68], v36 offset0:2 offset1:3
	s_waitcnt lgkmcnt(0)
	s_barrier
	global_load_dword v60, v[11:12], off
	global_load_dword v58, v[13:14], off
	;; [unrolled: 1-line block ×4, first 2 shown]
	ds_read_b32 v61, v28
	ds_read_b128 v[11:14], v27 offset:128
	s_waitcnt vmcnt(3) lgkmcnt(1)
	v_mul_f32_e32 v62, v60, v61
	s_waitcnt vmcnt(2)
	v_mul_f32_e32 v63, v58, v61
	s_waitcnt vmcnt(1)
	;; [unrolled: 2-line block ×3, first 2 shown]
	v_mul_f32_e32 v61, v59, v61
	ds_write2_b32 v29, v62, v63 offset1:67
	ds_write2_b32 v29, v64, v61 offset0:134 offset1:201
	s_waitcnt lgkmcnt(0)
	s_barrier
	ds_read2_b32 v[77:78], v36 offset1:1
	ds_read2_b32 v[79:80], v36 offset0:2 offset1:3
	s_waitcnt lgkmcnt(0)
	s_barrier
	global_load_dword v64, v[69:70], off
	global_load_dword v63, v[71:72], off
	;; [unrolled: 1-line block ×4, first 2 shown]
	v_add_f32_e32 v69, v15, v18
	v_add_f32_e32 v15, 0, v65
	v_add_f32_e32 v15, v15, v66
	v_add_f32_e32 v15, v15, v67
	v_add_f32_e32 v70, v15, v68
	ds_read_b32 v65, v28
	ds_read_b128 v[15:18], v27 offset:192
	v_add_f32_e32 v66, 0, v77
	v_add_f32_e32 v66, v66, v78
	;; [unrolled: 1-line block ×4, first 2 shown]
	s_waitcnt vmcnt(3) lgkmcnt(1)
	v_mul_f32_e32 v66, v64, v65
	s_waitcnt vmcnt(2)
	v_mul_f32_e32 v67, v63, v65
	s_waitcnt vmcnt(1)
	;; [unrolled: 2-line block ×3, first 2 shown]
	v_mul_f32_e32 v65, v61, v65
	ds_write2_b32 v29, v66, v67 offset1:67
	ds_write2_b32 v29, v68, v65 offset0:134 offset1:201
	s_waitcnt lgkmcnt(0)
	s_barrier
	ds_read2_b32 v[65:66], v36 offset1:1
	ds_read2_b32 v[67:68], v36 offset0:2 offset1:3
	s_waitcnt lgkmcnt(0)
	s_barrier
	v_add_f32_e32 v65, 0, v65
	v_add_f32_e32 v65, v65, v66
	;; [unrolled: 1-line block ×4, first 2 shown]
	ds_write2_b32 v30, v69, v70 offset1:16
	ds_write2_b32 v30, v71, v65 offset0:32 offset1:48
	s_waitcnt lgkmcnt(0)
	s_barrier
	s_and_saveexec_b64 s[22:23], s[4:5]
	s_cbranch_execz .LBB87_71
; %bb.75:                               ;   in Loop: Header=BB87_72 Depth=1
	ds_read2_b32 v[65:66], v31 offset1:1
	ds_read2_b32 v[67:68], v31 offset0:2 offset1:3
	ds_read2_b32 v[69:70], v31 offset0:4 offset1:5
	;; [unrolled: 1-line block ×4, first 2 shown]
	s_waitcnt lgkmcnt(4)
	v_add_f32_e32 v65, v65, v66
	s_waitcnt lgkmcnt(3)
	v_add_f32_e32 v65, v65, v67
	v_add_f32_e32 v65, v65, v68
	s_waitcnt lgkmcnt(2)
	v_add_f32_e32 v65, v65, v69
	;; [unrolled: 3-line block ×3, first 2 shown]
	v_add_f32_e32 v69, v65, v72
	ds_read2_b32 v[65:66], v31 offset0:10 offset1:11
	ds_read2_b32 v[67:68], v31 offset0:12 offset1:13
	ds_read_b32 v70, v31 offset:56
	s_waitcnt lgkmcnt(3)
	v_add_f32_e32 v69, v69, v73
	v_add_f32_e32 v69, v69, v74
	s_waitcnt lgkmcnt(2)
	v_add_f32_e32 v65, v69, v65
	ds_read_b32 v69, v32
	v_add_f32_e32 v65, v65, v66
	s_waitcnt lgkmcnt(2)
	v_add_f32_e32 v65, v65, v67
	v_add_f32_e32 v65, v65, v68
	s_waitcnt lgkmcnt(1)
	v_add_f32_e32 v65, v65, v70
	s_waitcnt lgkmcnt(0)
	v_add_f32_e32 v67, v65, v69
	v_lshlrev_b64 v[65:66], 2, v[0:1]
	v_mov_b32_e32 v68, s24
	v_add_co_u32_e64 v65, s[8:9], s7, v65
	v_addc_co_u32_e64 v66, s[8:9], v68, v66, s[8:9]
	global_store_dword v[65:66], v67, off
	s_branch .LBB87_71
.LBB87_76:
	s_movk_i32 s2, 0x10c
	v_mad_u32_u24 v0, v2, s2, v23
	s_nor_b64 s[0:1], s[0:1], vcc
	ds_write_b32 v0, v22
	s_waitcnt lgkmcnt(0)
	s_barrier
	s_and_saveexec_b64 s[2:3], s[0:1]
	s_cbranch_execz .LBB87_78
; %bb.77:
	ds_read2_b32 v[0:1], v23 offset1:67
	ds_read2_b32 v[2:3], v23 offset0:134 offset1:201
	v_ashrrev_i32_e32 v20, 31, v19
	v_lshlrev_b64 v[4:5], 2, v[19:20]
	v_mov_b32_e32 v6, s24
	s_waitcnt lgkmcnt(1)
	v_add_f32_e32 v0, v0, v1
	s_waitcnt lgkmcnt(0)
	v_add_f32_e32 v0, v0, v2
	v_add_f32_e32 v2, v0, v3
	v_add_co_u32_e32 v0, vcc, s7, v4
	v_addc_co_u32_e32 v1, vcc, v6, v5, vcc
	global_store_dword v[0:1], v2, off
.LBB87_78:
	s_endpgm
	.section	.rodata,"a",@progbits
	.p2align	6, 0x0
	.amdhsa_kernel _ZL26rocblas_hemvn_kernel_lowerILb0ELi64ELi4ELi33ELi32ELi16EifPKfPfEviT6_lT7_lT5_lS4_lS5_lS3_lT8_i
		.amdhsa_group_segment_fixed_size 4800
		.amdhsa_private_segment_fixed_size 0
		.amdhsa_kernarg_size 368
		.amdhsa_user_sgpr_count 6
		.amdhsa_user_sgpr_private_segment_buffer 1
		.amdhsa_user_sgpr_dispatch_ptr 0
		.amdhsa_user_sgpr_queue_ptr 0
		.amdhsa_user_sgpr_kernarg_segment_ptr 1
		.amdhsa_user_sgpr_dispatch_id 0
		.amdhsa_user_sgpr_flat_scratch_init 0
		.amdhsa_user_sgpr_private_segment_size 0
		.amdhsa_uses_dynamic_stack 0
		.amdhsa_system_sgpr_private_segment_wavefront_offset 0
		.amdhsa_system_sgpr_workgroup_id_x 1
		.amdhsa_system_sgpr_workgroup_id_y 0
		.amdhsa_system_sgpr_workgroup_id_z 1
		.amdhsa_system_sgpr_workgroup_info 0
		.amdhsa_system_vgpr_workitem_id 1
		.amdhsa_next_free_vgpr 81
		.amdhsa_next_free_sgpr 46
		.amdhsa_reserve_vcc 1
		.amdhsa_reserve_flat_scratch 0
		.amdhsa_float_round_mode_32 0
		.amdhsa_float_round_mode_16_64 0
		.amdhsa_float_denorm_mode_32 3
		.amdhsa_float_denorm_mode_16_64 3
		.amdhsa_dx10_clamp 1
		.amdhsa_ieee_mode 1
		.amdhsa_fp16_overflow 0
		.amdhsa_exception_fp_ieee_invalid_op 0
		.amdhsa_exception_fp_denorm_src 0
		.amdhsa_exception_fp_ieee_div_zero 0
		.amdhsa_exception_fp_ieee_overflow 0
		.amdhsa_exception_fp_ieee_underflow 0
		.amdhsa_exception_fp_ieee_inexact 0
		.amdhsa_exception_int_div_zero 0
	.end_amdhsa_kernel
	.section	.text._ZL26rocblas_hemvn_kernel_lowerILb0ELi64ELi4ELi33ELi32ELi16EifPKfPfEviT6_lT7_lT5_lS4_lS5_lS3_lT8_i,"axG",@progbits,_ZL26rocblas_hemvn_kernel_lowerILb0ELi64ELi4ELi33ELi32ELi16EifPKfPfEviT6_lT7_lT5_lS4_lS5_lS3_lT8_i,comdat
.Lfunc_end87:
	.size	_ZL26rocblas_hemvn_kernel_lowerILb0ELi64ELi4ELi33ELi32ELi16EifPKfPfEviT6_lT7_lT5_lS4_lS5_lS3_lT8_i, .Lfunc_end87-_ZL26rocblas_hemvn_kernel_lowerILb0ELi64ELi4ELi33ELi32ELi16EifPKfPfEviT6_lT7_lT5_lS4_lS5_lS3_lT8_i
                                        ; -- End function
	.set _ZL26rocblas_hemvn_kernel_lowerILb0ELi64ELi4ELi33ELi32ELi16EifPKfPfEviT6_lT7_lT5_lS4_lS5_lS3_lT8_i.num_vgpr, 81
	.set _ZL26rocblas_hemvn_kernel_lowerILb0ELi64ELi4ELi33ELi32ELi16EifPKfPfEviT6_lT7_lT5_lS4_lS5_lS3_lT8_i.num_agpr, 0
	.set _ZL26rocblas_hemvn_kernel_lowerILb0ELi64ELi4ELi33ELi32ELi16EifPKfPfEviT6_lT7_lT5_lS4_lS5_lS3_lT8_i.numbered_sgpr, 46
	.set _ZL26rocblas_hemvn_kernel_lowerILb0ELi64ELi4ELi33ELi32ELi16EifPKfPfEviT6_lT7_lT5_lS4_lS5_lS3_lT8_i.num_named_barrier, 0
	.set _ZL26rocblas_hemvn_kernel_lowerILb0ELi64ELi4ELi33ELi32ELi16EifPKfPfEviT6_lT7_lT5_lS4_lS5_lS3_lT8_i.private_seg_size, 0
	.set _ZL26rocblas_hemvn_kernel_lowerILb0ELi64ELi4ELi33ELi32ELi16EifPKfPfEviT6_lT7_lT5_lS4_lS5_lS3_lT8_i.uses_vcc, 1
	.set _ZL26rocblas_hemvn_kernel_lowerILb0ELi64ELi4ELi33ELi32ELi16EifPKfPfEviT6_lT7_lT5_lS4_lS5_lS3_lT8_i.uses_flat_scratch, 0
	.set _ZL26rocblas_hemvn_kernel_lowerILb0ELi64ELi4ELi33ELi32ELi16EifPKfPfEviT6_lT7_lT5_lS4_lS5_lS3_lT8_i.has_dyn_sized_stack, 0
	.set _ZL26rocblas_hemvn_kernel_lowerILb0ELi64ELi4ELi33ELi32ELi16EifPKfPfEviT6_lT7_lT5_lS4_lS5_lS3_lT8_i.has_recursion, 0
	.set _ZL26rocblas_hemvn_kernel_lowerILb0ELi64ELi4ELi33ELi32ELi16EifPKfPfEviT6_lT7_lT5_lS4_lS5_lS3_lT8_i.has_indirect_call, 0
	.section	.AMDGPU.csdata,"",@progbits
; Kernel info:
; codeLenInByte = 5836
; TotalNumSgprs: 50
; NumVgprs: 81
; ScratchSize: 0
; MemoryBound: 0
; FloatMode: 240
; IeeeMode: 1
; LDSByteSize: 4800 bytes/workgroup (compile time only)
; SGPRBlocks: 6
; VGPRBlocks: 20
; NumSGPRsForWavesPerEU: 50
; NumVGPRsForWavesPerEU: 81
; Occupancy: 3
; WaveLimiterHint : 1
; COMPUTE_PGM_RSRC2:SCRATCH_EN: 0
; COMPUTE_PGM_RSRC2:USER_SGPR: 6
; COMPUTE_PGM_RSRC2:TRAP_HANDLER: 0
; COMPUTE_PGM_RSRC2:TGID_X_EN: 1
; COMPUTE_PGM_RSRC2:TGID_Y_EN: 0
; COMPUTE_PGM_RSRC2:TGID_Z_EN: 1
; COMPUTE_PGM_RSRC2:TIDIG_COMP_CNT: 1
	.section	.text._ZL36rocblas_hemvn_kernel_lower_block_sumILi64EifPffEviT1_lS1_lT2_lT0_lPT3_i,"axG",@progbits,_ZL36rocblas_hemvn_kernel_lower_block_sumILi64EifPffEviT1_lS1_lT2_lT0_lPT3_i,comdat
	.globl	_ZL36rocblas_hemvn_kernel_lower_block_sumILi64EifPffEviT1_lS1_lT2_lT0_lPT3_i ; -- Begin function _ZL36rocblas_hemvn_kernel_lower_block_sumILi64EifPffEviT1_lS1_lT2_lT0_lPT3_i
	.p2align	8
	.type	_ZL36rocblas_hemvn_kernel_lower_block_sumILi64EifPffEviT1_lS1_lT2_lT0_lPT3_i,@function
_ZL36rocblas_hemvn_kernel_lower_block_sumILi64EifPffEviT1_lS1_lT2_lT0_lPT3_i: ; @_ZL36rocblas_hemvn_kernel_lower_block_sumILi64EifPffEviT1_lS1_lT2_lT0_lPT3_i
; %bb.0:
	s_load_dwordx2 s[2:3], s[4:5], 0x0
	s_load_dword s16, s[4:5], 0x10
	s_waitcnt lgkmcnt(0)
	v_cmp_eq_f32_e64 s[0:1], s3, 0
	v_cmp_eq_f32_e64 s[8:9], s16, 1.0
	s_and_b64 s[0:1], s[0:1], s[8:9]
	s_and_b64 vcc, exec, s[0:1]
	s_cbranch_vccnz .LBB88_19
; %bb.1:
	s_load_dwordx2 s[0:1], s[4:5], 0x38
	s_load_dwordx4 s[8:11], s[4:5], 0x20
	s_load_dword s17, s[4:5], 0x30
	v_lshl_or_b32 v2, s6, 6, v0
	s_waitcnt lgkmcnt(0)
	s_mul_i32 s1, s1, s7
	s_mul_hi_u32 s12, s0, s7
	s_mul_i32 s0, s0, s7
	s_add_i32 s1, s12, s1
	s_lshl_b64 s[0:1], s[0:1], 2
	s_add_u32 s8, s8, s0
	s_addc_u32 s9, s9, s1
	s_lshl_b64 s[0:1], s[10:11], 2
	s_add_u32 s14, s8, s0
	s_addc_u32 s15, s9, s1
	v_cmp_neq_f32_e64 s[0:1], s3, 0
	s_and_b64 vcc, exec, s[0:1]
	v_cmp_gt_i32_e64 s[0:1], s2, v2
	s_cbranch_vccnz .LBB88_6
; %bb.2:
	s_mov_b64 s[10:11], 0
	s_mov_b64 s[8:9], 0
                                        ; implicit-def: $vgpr3
                                        ; implicit-def: $vgpr0_vgpr1
	s_and_saveexec_b64 s[12:13], s[0:1]
	s_cbranch_execz .LBB88_7
; %bb.3:
	v_mul_lo_u32 v0, s17, v2
	v_cmp_eq_f32_e64 s[0:1], s16, 0
	v_mov_b32_e32 v3, 0
	s_and_b64 vcc, exec, s[0:1]
	v_ashrrev_i32_e32 v1, 31, v0
	s_cbranch_vccnz .LBB88_5
; %bb.4:
	v_lshlrev_b64 v[3:4], 2, v[0:1]
	v_mov_b32_e32 v5, s15
	v_add_co_u32_e32 v3, vcc, s14, v3
	v_addc_co_u32_e32 v4, vcc, v5, v4, vcc
	global_load_dword v3, v[3:4], off
	s_waitcnt vmcnt(0)
	v_mul_f32_e32 v3, s16, v3
.LBB88_5:
	s_mov_b64 s[8:9], exec
	s_or_b64 exec, exec, s[12:13]
	s_and_b64 vcc, exec, s[10:11]
	s_cbranch_vccnz .LBB88_8
	s_branch .LBB88_17
.LBB88_6:
	s_mov_b64 s[8:9], 0
                                        ; implicit-def: $vgpr3
                                        ; implicit-def: $vgpr0_vgpr1
	s_cbranch_execnz .LBB88_8
	s_branch .LBB88_17
.LBB88_7:
	s_or_b64 exec, exec, s[12:13]
	s_and_b64 vcc, exec, s[10:11]
	s_cbranch_vccz .LBB88_17
.LBB88_8:
	v_cmp_gt_i32_e32 vcc, s2, v2
                                        ; implicit-def: $vgpr3
                                        ; implicit-def: $vgpr0_vgpr1
	s_and_saveexec_b64 s[0:1], vcc
	s_cbranch_execz .LBB88_16
; %bb.9:
	s_load_dword s10, s[4:5], 0x50
	v_mov_b32_e32 v4, 0
	s_waitcnt lgkmcnt(0)
	s_cmp_ge_i32 s6, s10
	s_cbranch_scc1 .LBB88_12
; %bb.10:
	s_ashr_i32 s13, s2, 31
	s_mul_i32 s11, s2, s6
	s_load_dwordx2 s[4:5], s[4:5], 0x40
	v_add_u32_e32 v0, s11, v2
	s_mul_hi_u32 s11, s2, s7
	s_mul_i32 s18, s13, s7
	s_mov_b32 s12, s2
	s_add_i32 s11, s11, s18
	s_mul_i32 s2, s2, s7
	s_mul_i32 s11, s11, s10
	s_mul_hi_u32 s7, s2, s10
	s_add_i32 s19, s7, s11
	s_mul_i32 s18, s2, s10
	v_ashrrev_i32_e32 v1, 31, v0
	s_lshl_b64 s[18:19], s[18:19], 2
	v_lshlrev_b64 v[0:1], 2, v[0:1]
	s_waitcnt lgkmcnt(0)
	s_add_u32 s2, s4, s18
	s_addc_u32 s4, s5, s19
	v_mov_b32_e32 v3, s4
	v_add_co_u32_e32 v0, vcc, s2, v0
	s_lshl_b64 s[4:5], s[12:13], 2
	v_addc_co_u32_e32 v1, vcc, v3, v1, vcc
	v_mov_b32_e32 v4, 0
	v_mov_b32_e32 v3, s5
.LBB88_11:                              ; =>This Inner Loop Header: Depth=1
	global_load_dword v5, v[0:1], off
	s_add_i32 s6, s6, 1
	v_add_co_u32_e32 v0, vcc, s4, v0
	v_addc_co_u32_e32 v1, vcc, v1, v3, vcc
	s_cmp_ge_i32 s6, s10
	s_waitcnt vmcnt(0)
	v_add_f32_e32 v4, v4, v5
	s_cbranch_scc0 .LBB88_11
.LBB88_12:
	v_mul_lo_u32 v0, s17, v2
	v_cmp_eq_f32_e64 s[4:5], s16, 0
	s_and_b64 vcc, exec, s[4:5]
	v_ashrrev_i32_e32 v1, 31, v0
	s_cbranch_vccz .LBB88_20
; %bb.13:
	v_mul_f32_e32 v3, s3, v4
	s_cbranch_execnz .LBB88_15
.LBB88_14:
	v_lshlrev_b64 v[2:3], 2, v[0:1]
	v_mov_b32_e32 v5, s15
	v_add_co_u32_e32 v2, vcc, s14, v2
	v_addc_co_u32_e32 v3, vcc, v5, v3, vcc
	global_load_dword v2, v[2:3], off
	s_waitcnt vmcnt(0)
	v_mul_f32_e32 v3, s16, v2
	v_fmac_f32_e32 v3, s3, v4
.LBB88_15:
	s_or_b64 s[8:9], s[8:9], exec
.LBB88_16:
	s_or_b64 exec, exec, s[0:1]
.LBB88_17:
	s_and_saveexec_b64 s[0:1], s[8:9]
	s_cbranch_execz .LBB88_19
; %bb.18:
	v_lshlrev_b64 v[0:1], 2, v[0:1]
	v_mov_b32_e32 v2, s15
	v_add_co_u32_e32 v0, vcc, s14, v0
	v_addc_co_u32_e32 v1, vcc, v2, v1, vcc
	global_store_dword v[0:1], v3, off
.LBB88_19:
	s_endpgm
.LBB88_20:
                                        ; implicit-def: $vgpr3
	s_branch .LBB88_14
	.section	.rodata,"a",@progbits
	.p2align	6, 0x0
	.amdhsa_kernel _ZL36rocblas_hemvn_kernel_lower_block_sumILi64EifPffEviT1_lS1_lT2_lT0_lPT3_i
		.amdhsa_group_segment_fixed_size 0
		.amdhsa_private_segment_fixed_size 0
		.amdhsa_kernarg_size 336
		.amdhsa_user_sgpr_count 6
		.amdhsa_user_sgpr_private_segment_buffer 1
		.amdhsa_user_sgpr_dispatch_ptr 0
		.amdhsa_user_sgpr_queue_ptr 0
		.amdhsa_user_sgpr_kernarg_segment_ptr 1
		.amdhsa_user_sgpr_dispatch_id 0
		.amdhsa_user_sgpr_flat_scratch_init 0
		.amdhsa_user_sgpr_private_segment_size 0
		.amdhsa_uses_dynamic_stack 0
		.amdhsa_system_sgpr_private_segment_wavefront_offset 0
		.amdhsa_system_sgpr_workgroup_id_x 1
		.amdhsa_system_sgpr_workgroup_id_y 0
		.amdhsa_system_sgpr_workgroup_id_z 1
		.amdhsa_system_sgpr_workgroup_info 0
		.amdhsa_system_vgpr_workitem_id 0
		.amdhsa_next_free_vgpr 6
		.amdhsa_next_free_sgpr 20
		.amdhsa_reserve_vcc 1
		.amdhsa_reserve_flat_scratch 0
		.amdhsa_float_round_mode_32 0
		.amdhsa_float_round_mode_16_64 0
		.amdhsa_float_denorm_mode_32 3
		.amdhsa_float_denorm_mode_16_64 3
		.amdhsa_dx10_clamp 1
		.amdhsa_ieee_mode 1
		.amdhsa_fp16_overflow 0
		.amdhsa_exception_fp_ieee_invalid_op 0
		.amdhsa_exception_fp_denorm_src 0
		.amdhsa_exception_fp_ieee_div_zero 0
		.amdhsa_exception_fp_ieee_overflow 0
		.amdhsa_exception_fp_ieee_underflow 0
		.amdhsa_exception_fp_ieee_inexact 0
		.amdhsa_exception_int_div_zero 0
	.end_amdhsa_kernel
	.section	.text._ZL36rocblas_hemvn_kernel_lower_block_sumILi64EifPffEviT1_lS1_lT2_lT0_lPT3_i,"axG",@progbits,_ZL36rocblas_hemvn_kernel_lower_block_sumILi64EifPffEviT1_lS1_lT2_lT0_lPT3_i,comdat
.Lfunc_end88:
	.size	_ZL36rocblas_hemvn_kernel_lower_block_sumILi64EifPffEviT1_lS1_lT2_lT0_lPT3_i, .Lfunc_end88-_ZL36rocblas_hemvn_kernel_lower_block_sumILi64EifPffEviT1_lS1_lT2_lT0_lPT3_i
                                        ; -- End function
	.set _ZL36rocblas_hemvn_kernel_lower_block_sumILi64EifPffEviT1_lS1_lT2_lT0_lPT3_i.num_vgpr, 6
	.set _ZL36rocblas_hemvn_kernel_lower_block_sumILi64EifPffEviT1_lS1_lT2_lT0_lPT3_i.num_agpr, 0
	.set _ZL36rocblas_hemvn_kernel_lower_block_sumILi64EifPffEviT1_lS1_lT2_lT0_lPT3_i.numbered_sgpr, 20
	.set _ZL36rocblas_hemvn_kernel_lower_block_sumILi64EifPffEviT1_lS1_lT2_lT0_lPT3_i.num_named_barrier, 0
	.set _ZL36rocblas_hemvn_kernel_lower_block_sumILi64EifPffEviT1_lS1_lT2_lT0_lPT3_i.private_seg_size, 0
	.set _ZL36rocblas_hemvn_kernel_lower_block_sumILi64EifPffEviT1_lS1_lT2_lT0_lPT3_i.uses_vcc, 1
	.set _ZL36rocblas_hemvn_kernel_lower_block_sumILi64EifPffEviT1_lS1_lT2_lT0_lPT3_i.uses_flat_scratch, 0
	.set _ZL36rocblas_hemvn_kernel_lower_block_sumILi64EifPffEviT1_lS1_lT2_lT0_lPT3_i.has_dyn_sized_stack, 0
	.set _ZL36rocblas_hemvn_kernel_lower_block_sumILi64EifPffEviT1_lS1_lT2_lT0_lPT3_i.has_recursion, 0
	.set _ZL36rocblas_hemvn_kernel_lower_block_sumILi64EifPffEviT1_lS1_lT2_lT0_lPT3_i.has_indirect_call, 0
	.section	.AMDGPU.csdata,"",@progbits
; Kernel info:
; codeLenInByte = 584
; TotalNumSgprs: 24
; NumVgprs: 6
; ScratchSize: 0
; MemoryBound: 0
; FloatMode: 240
; IeeeMode: 1
; LDSByteSize: 0 bytes/workgroup (compile time only)
; SGPRBlocks: 2
; VGPRBlocks: 1
; NumSGPRsForWavesPerEU: 24
; NumVGPRsForWavesPerEU: 6
; Occupancy: 10
; WaveLimiterHint : 0
; COMPUTE_PGM_RSRC2:SCRATCH_EN: 0
; COMPUTE_PGM_RSRC2:USER_SGPR: 6
; COMPUTE_PGM_RSRC2:TRAP_HANDLER: 0
; COMPUTE_PGM_RSRC2:TGID_X_EN: 1
; COMPUTE_PGM_RSRC2:TGID_Y_EN: 0
; COMPUTE_PGM_RSRC2:TGID_Z_EN: 1
; COMPUTE_PGM_RSRC2:TIDIG_COMP_CNT: 0
	.section	.text._ZL50rocblas_symv_kernel_upper_double_buffered_diagonalILi32ELi4E24rocblas_internal_val_ptrIdEPKdPdEvbiT1_lT2_lllS6_lllS5_lT3_llli,"axG",@progbits,_ZL50rocblas_symv_kernel_upper_double_buffered_diagonalILi32ELi4E24rocblas_internal_val_ptrIdEPKdPdEvbiT1_lT2_lllS6_lllS5_lT3_llli,comdat
	.globl	_ZL50rocblas_symv_kernel_upper_double_buffered_diagonalILi32ELi4E24rocblas_internal_val_ptrIdEPKdPdEvbiT1_lT2_lllS6_lllS5_lT3_llli ; -- Begin function _ZL50rocblas_symv_kernel_upper_double_buffered_diagonalILi32ELi4E24rocblas_internal_val_ptrIdEPKdPdEvbiT1_lT2_lllS6_lllS5_lT3_llli
	.p2align	8
	.type	_ZL50rocblas_symv_kernel_upper_double_buffered_diagonalILi32ELi4E24rocblas_internal_val_ptrIdEPKdPdEvbiT1_lT2_lllS6_lllS5_lT3_llli,@function
_ZL50rocblas_symv_kernel_upper_double_buffered_diagonalILi32ELi4E24rocblas_internal_val_ptrIdEPKdPdEvbiT1_lT2_lllS6_lllS5_lT3_llli: ; @_ZL50rocblas_symv_kernel_upper_double_buffered_diagonalILi32ELi4E24rocblas_internal_val_ptrIdEPKdPdEvbiT1_lT2_lllS6_lllS5_lT3_llli
; %bb.0:
	s_load_dword s0, s[4:5], 0x0
	s_load_dwordx16 s[8:23], s[4:5], 0x8
	s_load_dwordx8 s[24:31], s[4:5], 0x48
	s_waitcnt lgkmcnt(0)
	s_bitcmp1_b32 s0, 0
	s_cselect_b64 s[2:3], -1, 0
	v_mov_b32_e32 v2, s8
	s_xor_b64 s[0:1], s[2:3], -1
	s_and_b64 vcc, exec, s[2:3]
	v_mov_b32_e32 v3, s9
	s_cbranch_vccnz .LBB89_2
; %bb.1:
	s_mul_i32 s2, s11, s7
	s_mul_hi_u32 s3, s10, s7
	s_add_i32 s3, s3, s2
	s_mul_i32 s2, s10, s7
	s_lshl_b64 s[2:3], s[2:3], 3
	s_add_u32 s2, s8, s2
	s_addc_u32 s3, s9, s3
	v_mov_b32_e32 v2, s2
	v_mov_b32_e32 v3, s3
	flat_load_dwordx2 v[2:3], v[2:3]
.LBB89_2:
	v_mov_b32_e32 v4, s28
	s_andn2_b64 vcc, exec, s[0:1]
	v_mov_b32_e32 v5, s29
	s_cbranch_vccnz .LBB89_4
; %bb.3:
	s_mul_i32 s0, s31, s7
	s_mul_hi_u32 s1, s30, s7
	s_add_i32 s1, s1, s0
	s_mul_i32 s0, s30, s7
	s_lshl_b64 s[0:1], s[0:1], 3
	s_add_u32 s0, s28, s0
	s_addc_u32 s1, s29, s1
	v_mov_b32_e32 v5, s1
	v_mov_b32_e32 v4, s0
	flat_load_dwordx2 v[4:5], v[4:5]
.LBB89_4:
	s_waitcnt vmcnt(0) lgkmcnt(0)
	v_cmp_neq_f64_e32 vcc, 0, v[2:3]
	v_cmp_neq_f64_e64 s[0:1], 1.0, v[4:5]
	s_or_b64 s[0:1], vcc, s[0:1]
	s_and_saveexec_b64 s[2:3], s[0:1]
	s_cbranch_execz .LBB89_33
; %bb.5:
	s_load_dwordx2 s[8:9], s[4:5], 0x80
	s_load_dwordx2 s[10:11], s[4:5], 0x68
	s_load_dwordx4 s[0:3], s[4:5], 0x70
	v_cmp_eq_f64_e32 vcc, 0, v[2:3]
	s_waitcnt lgkmcnt(0)
	s_mul_i32 s5, s9, s7
	s_mul_hi_u32 s9, s8, s7
	s_mul_i32 s4, s8, s7
	s_add_i32 s5, s9, s5
	s_lshl_b64 s[4:5], s[4:5], 3
	s_add_u32 s4, s10, s4
	s_addc_u32 s5, s11, s5
	s_lshl_b64 s[0:1], s[0:1], 3
	s_add_u32 s4, s4, s0
	s_addc_u32 s5, s5, s1
	s_lshl_b32 s6, s6, 5
	s_ashr_i32 s10, s6, 31
	s_mul_i32 s0, s2, s10
	s_mul_hi_u32 s1, s2, s6
	s_add_i32 s0, s1, s0
	s_mul_i32 s1, s3, s6
	s_add_i32 s1, s0, s1
	s_mul_i32 s0, s2, s6
	s_lshl_b64 s[0:1], s[0:1], 3
	s_add_u32 s28, s4, s0
	s_addc_u32 s29, s5, s1
	s_and_saveexec_b64 s[0:1], vcc
	s_xor_b64 s[0:1], exec, s[0:1]
	s_cbranch_execz .LBB89_9
; %bb.6:
	v_cmp_eq_u32_e32 vcc, 0, v1
	s_and_saveexec_b64 s[4:5], vcc
	s_cbranch_execz .LBB89_8
; %bb.7:
	v_mad_u64_u32 v[1:2], s[8:9], s2, v0, 0
	v_mad_u64_u32 v[2:3], s[8:9], s3, v0, v[2:3]
	v_mov_b32_e32 v3, s29
	v_lshlrev_b64 v[0:1], 3, v[1:2]
	v_add_co_u32_e32 v0, vcc, s28, v0
	v_addc_co_u32_e32 v1, vcc, v3, v1, vcc
	global_load_dwordx2 v[2:3], v[0:1], off
	s_waitcnt vmcnt(0)
	v_mul_f64 v[2:3], v[4:5], v[2:3]
	global_store_dwordx2 v[0:1], v[2:3], off
.LBB89_8:
	s_or_b64 exec, exec, s[4:5]
                                        ; implicit-def: $vgpr1
                                        ; implicit-def: $vgpr0
                                        ; implicit-def: $vgpr2_vgpr3
                                        ; implicit-def: $vgpr4_vgpr5
.LBB89_9:
	s_andn2_saveexec_b64 s[0:1], s[0:1]
	s_cbranch_execz .LBB89_33
; %bb.10:
	v_mov_b32_e32 v6, 0
	v_mov_b32_e32 v7, 0
	v_cmp_eq_u32_e32 vcc, 0, v1
	s_and_saveexec_b64 s[4:5], vcc
	s_cbranch_execz .LBB89_14
; %bb.11:
	v_cmp_neq_f64_e64 s[0:1], 0, v[4:5]
	v_mov_b32_e32 v6, 0
	v_mov_b32_e32 v7, 0
	s_and_saveexec_b64 s[8:9], s[0:1]
	s_cbranch_execz .LBB89_13
; %bb.12:
	v_mad_u64_u32 v[6:7], s[0:1], s2, v0, 0
	v_mad_u64_u32 v[7:8], s[0:1], s3, v0, v[7:8]
	v_mov_b32_e32 v8, s29
	v_lshlrev_b64 v[6:7], 3, v[6:7]
	v_add_co_u32_e64 v6, s[0:1], s28, v6
	v_addc_co_u32_e64 v7, s[0:1], v8, v7, s[0:1]
	global_load_dwordx2 v[6:7], v[6:7], off
	s_waitcnt vmcnt(0)
	v_mul_f64 v[6:7], v[4:5], v[6:7]
.LBB89_13:
	s_or_b64 exec, exec, s[8:9]
	s_mul_i32 s0, s27, s7
	s_mul_hi_u32 s1, s26, s7
	s_add_i32 s1, s1, s0
	s_mul_i32 s0, s26, s7
	s_lshl_b64 s[0:1], s[0:1], 3
	s_add_u32 s8, s20, s0
	s_addc_u32 s9, s21, s1
	s_lshl_b64 s[0:1], s[22:23], 3
	s_add_u32 s11, s8, s0
	s_addc_u32 s20, s9, s1
	s_mul_i32 s0, s24, s10
	s_mul_hi_u32 s1, s24, s6
	s_add_i32 s8, s1, s0
	v_mad_u64_u32 v[8:9], s[0:1], s24, v0, 0
	s_mul_i32 s0, s25, s6
	s_add_i32 s1, s8, s0
	v_mad_u64_u32 v[9:10], s[8:9], s25, v0, v[9:10]
	s_mul_i32 s0, s24, s6
	s_lshl_b64 s[0:1], s[0:1], 3
	s_add_u32 s0, s11, s0
	v_lshlrev_b64 v[8:9], 3, v[8:9]
	s_addc_u32 s1, s20, s1
	v_mov_b32_e32 v10, s1
	v_add_co_u32_e64 v8, s[0:1], s0, v8
	v_addc_co_u32_e64 v9, s[0:1], v10, v9, s[0:1]
	global_load_dwordx2 v[8:9], v[8:9], off
	v_lshlrev_b32_e32 v10, 3, v0
	s_waitcnt vmcnt(0)
	ds_write_b64 v10, v[8:9] offset:10240
.LBB89_14:
	s_or_b64 exec, exec, s[4:5]
	s_mul_i32 s0, s19, s7
	s_mul_hi_u32 s1, s18, s7
	s_add_i32 s1, s1, s0
	s_mul_i32 s0, s18, s7
	s_lshl_b64 s[0:1], s[0:1], 3
	s_add_u32 s4, s12, s0
	s_addc_u32 s5, s13, s1
	s_lshl_b64 s[0:1], s[14:15], 3
	s_add_u32 s7, s4, s0
	s_addc_u32 s8, s5, s1
	s_add_u32 s4, s16, 1
	s_mul_i32 s0, s4, s10
	s_mul_hi_u32 s1, s4, s6
	s_addc_u32 s5, s17, 0
	s_add_i32 s9, s1, s0
	v_mad_u64_u32 v[8:9], s[0:1], s16, v1, 0
	s_mul_i32 s5, s5, s6
	s_add_i32 s1, s9, s5
	s_mul_i32 s0, s4, s6
	v_mad_u64_u32 v[9:10], s[4:5], s17, v1, v[9:10]
	s_lshl_b64 s[0:1], s[0:1], 3
	s_add_u32 s0, s7, s0
	v_lshlrev_b64 v[8:9], 3, v[8:9]
	s_addc_u32 s1, s8, s1
	v_mov_b32_e32 v10, s1
	v_add_co_u32_e64 v8, s[0:1], s0, v8
	v_addc_co_u32_e64 v9, s[0:1], v10, v9, s[0:1]
	v_lshlrev_b32_e32 v16, 3, v0
	v_add_co_u32_e64 v8, s[0:1], v8, v16
	v_addc_co_u32_e64 v9, s[0:1], 0, v9, s[0:1]
	v_cmp_lt_u32_e64 s[0:1], 15, v0
	s_mul_i32 s12, s17, 12
	s_mul_hi_u32 s13, s16, 12
	s_mul_i32 s4, s16, 12
                                        ; implicit-def: $sgpr8_sgpr9
                                        ; implicit-def: $sgpr10_sgpr11
	s_and_saveexec_b64 s[6:7], s[0:1]
	s_xor_b64 s[0:1], exec, s[6:7]
; %bb.15:
	s_lshl_b64 s[8:9], s[16:17], 2
	s_lshl_b64 s[10:11], s[16:17], 3
	s_add_i32 s5, s13, s12
; %bb.16:
	s_or_saveexec_b64 s[6:7], s[0:1]
	v_mov_b32_e32 v11, s5
	v_mov_b32_e32 v13, s11
	;; [unrolled: 1-line block ×6, first 2 shown]
	v_lshlrev_b32_e32 v17, 8, v1
	s_xor_b64 exec, exec, s[6:7]
	s_cbranch_execz .LBB89_18
; %bb.17:
	s_lshl_b64 s[8:9], s[16:17], 5
	v_mov_b32_e32 v15, s9
	v_add_co_u32_e64 v10, s[0:1], s8, v8
	v_addc_co_u32_e64 v11, s[0:1], v9, v15, s[0:1]
	v_add_co_u32_e64 v12, s[0:1], s8, v10
	v_addc_co_u32_e64 v13, s[0:1], v11, v15, s[0:1]
	;; [unrolled: 2-line block ×3, first 2 shown]
	global_load_dwordx2 v[18:19], v[8:9], off
	global_load_dwordx2 v[20:21], v[10:11], off
	;; [unrolled: 1-line block ×4, first 2 shown]
	v_lshl_add_u32 v14, v0, 3, v17
	s_lshl_b64 s[0:1], s[16:17], 2
	s_lshl_b64 s[8:9], s[16:17], 3
	s_add_i32 s5, s13, s12
	v_mov_b32_e32 v11, s5
	v_mov_b32_e32 v13, s9
	;; [unrolled: 1-line block ×4, first 2 shown]
	s_waitcnt vmcnt(2)
	ds_write2st64_b64 v14, v[18:19], v[20:21] offset1:2
	s_waitcnt vmcnt(0)
	ds_write2st64_b64 v14, v[22:23], v[24:25] offset0:4 offset1:6
	v_mov_b32_e32 v15, s1
	v_mov_b32_e32 v14, s0
.LBB89_18:
	s_or_b64 exec, exec, s[6:7]
	s_lshl_b64 s[0:1], s[16:17], 7
	v_mov_b32_e32 v18, s1
	v_add_co_u32_e64 v8, s[0:1], s0, v8
	v_lshlrev_b64 v[14:15], 3, v[14:15]
	v_addc_co_u32_e64 v9, s[0:1], v9, v18, s[0:1]
	v_add_co_u32_e64 v14, s[0:1], v8, v14
	v_lshlrev_b64 v[12:13], 3, v[12:13]
	v_addc_co_u32_e64 v15, s[0:1], v9, v15, s[0:1]
	;; [unrolled: 3-line block ×3, first 2 shown]
	v_add_co_u32_e64 v10, s[0:1], v8, v10
	v_addc_co_u32_e64 v11, s[0:1], v9, v11, s[0:1]
	global_load_dwordx2 v[18:19], v[8:9], off
	global_load_dwordx2 v[20:21], v[14:15], off
	;; [unrolled: 1-line block ×4, first 2 shown]
	v_add_u32_e32 v9, 0x1400, v17
	v_add_u32_e32 v12, 0x1800, v17
	v_sub_u32_e32 v14, v0, v1
	v_add_u32_e32 v8, 0x1000, v17
	v_add_u32_e32 v13, 0x1c00, v17
	s_movk_i32 s0, 0xf8
	v_add_u32_e32 v10, v16, v9
	v_add_u32_e32 v9, v16, v12
	v_sub_u32_e32 v12, 0, v14
	v_add_u32_e32 v11, v16, v8
	v_add_u32_e32 v8, v16, v13
	v_mad_u32_u24 v15, v0, s0, v16
	v_max_i32_e32 v13, v14, v12
	v_cmp_lt_u32_e64 s[0:1], 16, v13
	v_lshl_add_u32 v12, v1, 3, v15
	s_waitcnt vmcnt(3)
	ds_write_b64 v11, v[18:19]
	s_waitcnt vmcnt(2)
	ds_write_b64 v10, v[20:21]
	;; [unrolled: 2-line block ×4, first 2 shown]
	s_waitcnt lgkmcnt(0)
	s_barrier
	s_and_saveexec_b64 s[4:5], s[0:1]
	s_cbranch_execnz .LBB89_34
; %bb.19:
	s_or_b64 exec, exec, s[4:5]
	v_cmp_lt_u32_e64 s[0:1], 20, v13
	s_and_saveexec_b64 s[4:5], s[0:1]
	s_cbranch_execnz .LBB89_35
.LBB89_20:
	s_or_b64 exec, exec, s[4:5]
	v_cmp_lt_u32_e64 s[0:1], 24, v13
	s_and_saveexec_b64 s[4:5], s[0:1]
	s_cbranch_execnz .LBB89_36
.LBB89_21:
	s_or_b64 exec, exec, s[4:5]
	v_cmp_lt_u32_e64 s[0:1], 28, v13
	s_and_saveexec_b64 s[4:5], s[0:1]
	s_cbranch_execz .LBB89_23
.LBB89_22:
	ds_read_b64 v[14:15], v12 offset:224
	s_waitcnt lgkmcnt(0)
	ds_write_b64 v8, v[14:15]
.LBB89_23:
	s_or_b64 exec, exec, s[4:5]
	v_lshlrev_b32_e32 v14, 5, v1
	v_cmp_ge_u32_e64 s[0:1], v0, v1
	s_and_saveexec_b64 s[4:5], s[0:1]
	s_cbranch_execz .LBB89_25
; %bb.24:
	ds_read_b64 v[17:18], v12
	v_lshl_add_u32 v15, v14, 3, v16
	s_waitcnt lgkmcnt(0)
	ds_write_b64 v15, v[17:18]
.LBB89_25:
	s_or_b64 exec, exec, s[4:5]
	v_cmp_lt_u32_e64 s[0:1], 4, v13
	v_lshl_add_u32 v15, v1, 8, v16
	s_and_saveexec_b64 s[4:5], s[0:1]
	s_cbranch_execz .LBB89_27
; %bb.26:
	ds_read_b64 v[17:18], v12 offset:32
	s_waitcnt lgkmcnt(0)
	ds_write_b64 v15, v[17:18] offset:1024
.LBB89_27:
	s_or_b64 exec, exec, s[4:5]
	v_cmp_lt_u32_e64 s[0:1], 8, v13
	s_and_saveexec_b64 s[4:5], s[0:1]
	s_cbranch_execz .LBB89_29
; %bb.28:
	ds_read_b64 v[17:18], v12 offset:64
	s_waitcnt lgkmcnt(0)
	ds_write_b64 v15, v[17:18] offset:2048
.LBB89_29:
	s_or_b64 exec, exec, s[4:5]
	v_cmp_lt_u32_e64 s[0:1], 12, v13
	v_mov_b32_e32 v13, 0xc00
	v_lshl_add_u32 v13, v1, 8, v13
	v_add_u32_e32 v13, v16, v13
	s_and_saveexec_b64 s[4:5], s[0:1]
	s_cbranch_execz .LBB89_31
; %bb.30:
	ds_read_b64 v[17:18], v12 offset:96
	s_waitcnt lgkmcnt(0)
	ds_write_b64 v13, v[17:18]
.LBB89_31:
	s_or_b64 exec, exec, s[4:5]
	v_lshlrev_b32_e32 v1, 3, v1
	v_add_u32_e32 v1, 0x2800, v1
	s_waitcnt lgkmcnt(0)
	s_barrier
	ds_read2st64_b64 v[17:20], v15 offset1:2
	ds_read2_b64 v[21:24], v1 offset1:4
	s_waitcnt lgkmcnt(0)
	v_fma_f64 v[17:18], v[17:18], v[21:22], 0
	v_fma_f64 v[21:22], v[19:20], v[23:24], v[17:18]
	ds_read2_b64 v[17:20], v1 offset0:8 offset1:12
	ds_read_b64 v[23:24], v15 offset:2048
	ds_read_b64 v[12:13], v13
	s_waitcnt lgkmcnt(1)
	v_fma_f64 v[17:18], v[23:24], v[17:18], v[21:22]
	s_waitcnt lgkmcnt(0)
	v_fma_f64 v[12:13], v[12:13], v[19:20], v[17:18]
	ds_read2_b64 v[17:20], v1 offset0:16 offset1:20
	ds_read_b64 v[21:22], v11
	ds_read_b64 v[10:11], v10
	;; [unrolled: 1-line block ×4, first 2 shown]
	s_waitcnt lgkmcnt(3)
	v_fma_f64 v[8:9], v[21:22], v[17:18], v[12:13]
	s_waitcnt lgkmcnt(2)
	v_fma_f64 v[12:13], v[10:11], v[19:20], v[8:9]
	ds_read2_b64 v[8:11], v1 offset0:24 offset1:28
	v_add_lshl_u32 v1, v14, v0, 3
	s_waitcnt lgkmcnt(0)
	v_fma_f64 v[8:9], v[23:24], v[8:9], v[12:13]
	v_fma_f64 v[8:9], v[25:26], v[10:11], v[8:9]
	ds_write_b64 v1, v[8:9] offset:8192
	s_waitcnt lgkmcnt(0)
	s_barrier
	s_and_saveexec_b64 s[0:1], vcc
	s_cbranch_execz .LBB89_33
; %bb.32:
	v_add_u32_e32 v1, 0x2000, v16
	ds_read2_b64 v[8:11], v1 offset1:32
	v_cmp_neq_f64_e32 vcc, 0, v[4:5]
	v_mov_b32_e32 v4, s29
	s_waitcnt lgkmcnt(0)
	v_add_f64 v[8:9], v[8:9], 0
	v_add_f64 v[12:13], v[8:9], v[10:11]
	ds_read2_b64 v[8:11], v1 offset0:64 offset1:96
	s_waitcnt lgkmcnt(0)
	v_add_f64 v[8:9], v[12:13], v[8:9]
	v_add_f64 v[8:9], v[8:9], v[10:11]
	v_mad_u64_u32 v[10:11], s[0:1], s2, v0, 0
	v_mov_b32_e32 v1, v11
	v_mul_f64 v[12:13], v[2:3], v[8:9]
	v_fma_f64 v[2:3], v[2:3], v[8:9], v[6:7]
	v_mad_u64_u32 v[0:1], s[0:1], s3, v0, v[1:2]
	v_cndmask_b32_e32 v3, v13, v3, vcc
	v_cndmask_b32_e32 v2, v12, v2, vcc
	v_mov_b32_e32 v11, v0
	v_lshlrev_b64 v[0:1], 3, v[10:11]
	v_add_co_u32_e32 v0, vcc, s28, v0
	v_addc_co_u32_e32 v1, vcc, v4, v1, vcc
	global_store_dwordx2 v[0:1], v[2:3], off
.LBB89_33:
	s_endpgm
.LBB89_34:
	ds_read_b64 v[14:15], v12 offset:128
	s_waitcnt lgkmcnt(0)
	ds_write_b64 v11, v[14:15]
	s_or_b64 exec, exec, s[4:5]
	v_cmp_lt_u32_e64 s[0:1], 20, v13
	s_and_saveexec_b64 s[4:5], s[0:1]
	s_cbranch_execz .LBB89_20
.LBB89_35:
	ds_read_b64 v[14:15], v12 offset:160
	s_waitcnt lgkmcnt(0)
	ds_write_b64 v10, v[14:15]
	s_or_b64 exec, exec, s[4:5]
	v_cmp_lt_u32_e64 s[0:1], 24, v13
	s_and_saveexec_b64 s[4:5], s[0:1]
	s_cbranch_execz .LBB89_21
.LBB89_36:
	ds_read_b64 v[14:15], v12 offset:192
	s_waitcnt lgkmcnt(0)
	ds_write_b64 v9, v[14:15]
	s_or_b64 exec, exec, s[4:5]
	v_cmp_lt_u32_e64 s[0:1], 28, v13
	s_and_saveexec_b64 s[4:5], s[0:1]
	s_cbranch_execnz .LBB89_22
	s_branch .LBB89_23
	.section	.rodata,"a",@progbits
	.p2align	6, 0x0
	.amdhsa_kernel _ZL50rocblas_symv_kernel_upper_double_buffered_diagonalILi32ELi4E24rocblas_internal_val_ptrIdEPKdPdEvbiT1_lT2_lllS6_lllS5_lT3_llli
		.amdhsa_group_segment_fixed_size 10496
		.amdhsa_private_segment_fixed_size 0
		.amdhsa_kernarg_size 140
		.amdhsa_user_sgpr_count 6
		.amdhsa_user_sgpr_private_segment_buffer 1
		.amdhsa_user_sgpr_dispatch_ptr 0
		.amdhsa_user_sgpr_queue_ptr 0
		.amdhsa_user_sgpr_kernarg_segment_ptr 1
		.amdhsa_user_sgpr_dispatch_id 0
		.amdhsa_user_sgpr_flat_scratch_init 0
		.amdhsa_user_sgpr_private_segment_size 0
		.amdhsa_uses_dynamic_stack 0
		.amdhsa_system_sgpr_private_segment_wavefront_offset 0
		.amdhsa_system_sgpr_workgroup_id_x 1
		.amdhsa_system_sgpr_workgroup_id_y 0
		.amdhsa_system_sgpr_workgroup_id_z 1
		.amdhsa_system_sgpr_workgroup_info 0
		.amdhsa_system_vgpr_workitem_id 1
		.amdhsa_next_free_vgpr 65
		.amdhsa_next_free_sgpr 98
		.amdhsa_reserve_vcc 1
		.amdhsa_reserve_flat_scratch 0
		.amdhsa_float_round_mode_32 0
		.amdhsa_float_round_mode_16_64 0
		.amdhsa_float_denorm_mode_32 3
		.amdhsa_float_denorm_mode_16_64 3
		.amdhsa_dx10_clamp 1
		.amdhsa_ieee_mode 1
		.amdhsa_fp16_overflow 0
		.amdhsa_exception_fp_ieee_invalid_op 0
		.amdhsa_exception_fp_denorm_src 0
		.amdhsa_exception_fp_ieee_div_zero 0
		.amdhsa_exception_fp_ieee_overflow 0
		.amdhsa_exception_fp_ieee_underflow 0
		.amdhsa_exception_fp_ieee_inexact 0
		.amdhsa_exception_int_div_zero 0
	.end_amdhsa_kernel
	.section	.text._ZL50rocblas_symv_kernel_upper_double_buffered_diagonalILi32ELi4E24rocblas_internal_val_ptrIdEPKdPdEvbiT1_lT2_lllS6_lllS5_lT3_llli,"axG",@progbits,_ZL50rocblas_symv_kernel_upper_double_buffered_diagonalILi32ELi4E24rocblas_internal_val_ptrIdEPKdPdEvbiT1_lT2_lllS6_lllS5_lT3_llli,comdat
.Lfunc_end89:
	.size	_ZL50rocblas_symv_kernel_upper_double_buffered_diagonalILi32ELi4E24rocblas_internal_val_ptrIdEPKdPdEvbiT1_lT2_lllS6_lllS5_lT3_llli, .Lfunc_end89-_ZL50rocblas_symv_kernel_upper_double_buffered_diagonalILi32ELi4E24rocblas_internal_val_ptrIdEPKdPdEvbiT1_lT2_lllS6_lllS5_lT3_llli
                                        ; -- End function
	.set _ZL50rocblas_symv_kernel_upper_double_buffered_diagonalILi32ELi4E24rocblas_internal_val_ptrIdEPKdPdEvbiT1_lT2_lllS6_lllS5_lT3_llli.num_vgpr, 27
	.set _ZL50rocblas_symv_kernel_upper_double_buffered_diagonalILi32ELi4E24rocblas_internal_val_ptrIdEPKdPdEvbiT1_lT2_lllS6_lllS5_lT3_llli.num_agpr, 0
	.set _ZL50rocblas_symv_kernel_upper_double_buffered_diagonalILi32ELi4E24rocblas_internal_val_ptrIdEPKdPdEvbiT1_lT2_lllS6_lllS5_lT3_llli.numbered_sgpr, 32
	.set _ZL50rocblas_symv_kernel_upper_double_buffered_diagonalILi32ELi4E24rocblas_internal_val_ptrIdEPKdPdEvbiT1_lT2_lllS6_lllS5_lT3_llli.num_named_barrier, 0
	.set _ZL50rocblas_symv_kernel_upper_double_buffered_diagonalILi32ELi4E24rocblas_internal_val_ptrIdEPKdPdEvbiT1_lT2_lllS6_lllS5_lT3_llli.private_seg_size, 0
	.set _ZL50rocblas_symv_kernel_upper_double_buffered_diagonalILi32ELi4E24rocblas_internal_val_ptrIdEPKdPdEvbiT1_lT2_lllS6_lllS5_lT3_llli.uses_vcc, 1
	.set _ZL50rocblas_symv_kernel_upper_double_buffered_diagonalILi32ELi4E24rocblas_internal_val_ptrIdEPKdPdEvbiT1_lT2_lllS6_lllS5_lT3_llli.uses_flat_scratch, 0
	.set _ZL50rocblas_symv_kernel_upper_double_buffered_diagonalILi32ELi4E24rocblas_internal_val_ptrIdEPKdPdEvbiT1_lT2_lllS6_lllS5_lT3_llli.has_dyn_sized_stack, 0
	.set _ZL50rocblas_symv_kernel_upper_double_buffered_diagonalILi32ELi4E24rocblas_internal_val_ptrIdEPKdPdEvbiT1_lT2_lllS6_lllS5_lT3_llli.has_recursion, 0
	.set _ZL50rocblas_symv_kernel_upper_double_buffered_diagonalILi32ELi4E24rocblas_internal_val_ptrIdEPKdPdEvbiT1_lT2_lllS6_lllS5_lT3_llli.has_indirect_call, 0
	.section	.AMDGPU.csdata,"",@progbits
; Kernel info:
; codeLenInByte = 2116
; TotalNumSgprs: 36
; NumVgprs: 27
; ScratchSize: 0
; MemoryBound: 0
; FloatMode: 240
; IeeeMode: 1
; LDSByteSize: 10496 bytes/workgroup (compile time only)
; SGPRBlocks: 12
; VGPRBlocks: 16
; NumSGPRsForWavesPerEU: 102
; NumVGPRsForWavesPerEU: 65
; Occupancy: 3
; WaveLimiterHint : 0
; COMPUTE_PGM_RSRC2:SCRATCH_EN: 0
; COMPUTE_PGM_RSRC2:USER_SGPR: 6
; COMPUTE_PGM_RSRC2:TRAP_HANDLER: 0
; COMPUTE_PGM_RSRC2:TGID_X_EN: 1
; COMPUTE_PGM_RSRC2:TGID_Y_EN: 0
; COMPUTE_PGM_RSRC2:TGID_Z_EN: 1
; COMPUTE_PGM_RSRC2:TIDIG_COMP_CNT: 1
	.section	.text._ZL54rocblas_symv_kernel_upper_double_buffered_non_diagonalILi32ELi4ELi4E24rocblas_internal_val_ptrIdEPKdPdEvbiT2_lT3_lllS6_lllT4_llli,"axG",@progbits,_ZL54rocblas_symv_kernel_upper_double_buffered_non_diagonalILi32ELi4ELi4E24rocblas_internal_val_ptrIdEPKdPdEvbiT2_lT3_lllS6_lllT4_llli,comdat
	.globl	_ZL54rocblas_symv_kernel_upper_double_buffered_non_diagonalILi32ELi4ELi4E24rocblas_internal_val_ptrIdEPKdPdEvbiT2_lT3_lllS6_lllT4_llli ; -- Begin function _ZL54rocblas_symv_kernel_upper_double_buffered_non_diagonalILi32ELi4ELi4E24rocblas_internal_val_ptrIdEPKdPdEvbiT2_lT3_lllS6_lllT4_llli
	.p2align	8
	.type	_ZL54rocblas_symv_kernel_upper_double_buffered_non_diagonalILi32ELi4ELi4E24rocblas_internal_val_ptrIdEPKdPdEvbiT2_lT3_lllS6_lllT4_llli,@function
_ZL54rocblas_symv_kernel_upper_double_buffered_non_diagonalILi32ELi4ELi4E24rocblas_internal_val_ptrIdEPKdPdEvbiT2_lT3_lllS6_lllT4_llli: ; @_ZL54rocblas_symv_kernel_upper_double_buffered_non_diagonalILi32ELi4ELi4E24rocblas_internal_val_ptrIdEPKdPdEvbiT2_lT3_lllS6_lllT4_llli
; %bb.0:
	s_load_dword s0, s[4:5], 0x0
	s_load_dwordx16 s[12:27], s[4:5], 0x8
	s_waitcnt lgkmcnt(0)
	s_bitcmp1_b32 s0, 0
	s_cselect_b64 s[0:1], -1, 0
	v_mov_b32_e32 v5, s12
	s_and_b64 vcc, exec, s[0:1]
	v_mov_b32_e32 v6, s13
	s_cbranch_vccnz .LBB90_2
; %bb.1:
	s_mul_i32 s0, s15, s8
	s_mul_hi_u32 s1, s14, s8
	s_add_i32 s1, s1, s0
	s_mul_i32 s0, s14, s8
	s_lshl_b64 s[0:1], s[0:1], 3
	s_add_u32 s0, s12, s0
	s_addc_u32 s1, s13, s1
	v_mov_b32_e32 v3, s1
	v_mov_b32_e32 v2, s0
	flat_load_dwordx2 v[5:6], v[2:3]
.LBB90_2:
	s_waitcnt vmcnt(0) lgkmcnt(0)
	v_cmp_neq_f64_e32 vcc, 0, v[5:6]
	s_and_saveexec_b64 s[0:1], vcc
	s_cbranch_execz .LBB90_27
; %bb.3:
	s_load_dword s10, s[4:5], 0x84
	s_cmp_eq_u32 s6, 0
	s_waitcnt lgkmcnt(0)
	v_cvt_f32_u32_e32 v2, s10
	v_rcp_iflag_f32_e32 v2, v2
	v_mul_f32_e32 v2, 0x4f7ffffe, v2
	v_cvt_u32_f32_e32 v2, v2
	v_readfirstlane_b32 s0, v2
	s_cbranch_scc1 .LBB90_27
; %bb.4:
	s_load_dwordx4 s[12:15], s[4:5], 0x48
	s_sub_i32 s1, 0, s10
	s_mul_i32 s1, s1, s0
	s_mul_hi_u32 s1, s0, s1
	s_add_i32 s0, s0, s1
	s_mul_hi_u32 s11, s6, s0
	s_waitcnt lgkmcnt(0)
	s_mul_i32 s0, s15, s8
	s_mul_hi_u32 s1, s14, s8
	s_add_i32 s1, s1, s0
	s_mul_i32 s0, s14, s8
	s_lshl_b64 s[0:1], s[0:1], 3
	s_add_u32 s2, s24, s0
	s_addc_u32 s3, s25, s1
	s_lshl_b64 s[0:1], s[26:27], 3
	s_add_u32 s9, s2, s0
	s_addc_u32 s26, s3, s1
	s_lshl_b32 s14, s6, 5
	s_ashr_i32 s25, s14, 31
	v_cmp_eq_u32_e32 vcc, 0, v1
	s_and_saveexec_b64 s[2:3], vcc
	s_cbranch_execz .LBB90_6
; %bb.5:
	s_mul_i32 s0, s12, s25
	s_mul_hi_u32 s1, s12, s14
	s_add_i32 s15, s1, s0
	v_mad_u64_u32 v[2:3], s[0:1], s12, v0, 0
	s_mul_i32 s0, s13, s14
	s_add_i32 s1, s15, s0
	v_mad_u64_u32 v[3:4], s[28:29], s13, v0, v[3:4]
	s_mul_i32 s0, s12, s14
	s_lshl_b64 s[0:1], s[0:1], 3
	s_add_u32 s0, s9, s0
	v_lshlrev_b64 v[2:3], 3, v[2:3]
	s_addc_u32 s1, s26, s1
	v_mov_b32_e32 v4, s1
	v_add_co_u32_e64 v2, s[0:1], s0, v2
	v_addc_co_u32_e64 v3, s[0:1], v4, v3, s[0:1]
	global_load_dwordx2 v[2:3], v[2:3], off
	v_lshlrev_b32_e32 v4, 3, v0
	s_waitcnt vmcnt(0)
	ds_write_b64 v4, v[2:3] offset:6144
.LBB90_6:
	s_or_b64 exec, exec, s[2:3]
	s_mul_i32 s0, s11, s10
	s_sub_i32 s0, s6, s0
	s_add_i32 s1, s11, 1
	s_sub_i32 s2, s0, s10
	s_cmp_ge_u32 s0, s10
	s_cselect_b32 s1, s1, s11
	s_cselect_b32 s0, s2, s0
	s_add_i32 s2, s1, 1
	s_cmp_ge_u32 s0, s10
	s_cselect_b32 s11, s2, s1
	s_add_i32 s0, s10, -1
	s_cmp_lg_u32 s7, s0
	s_mov_b32 s27, s11
	s_cbranch_scc1 .LBB90_8
; %bb.7:
	s_mul_i32 s0, s11, s10
	s_sub_i32 s0, s6, s0
	s_add_i32 s27, s0, s11
.LBB90_8:
	s_cmp_eq_u32 s27, 0
	s_cbranch_scc1 .LBB90_27
; %bb.9:
	s_load_dwordx2 s[28:29], s[4:5], 0x70
	s_load_dwordx2 s[30:31], s[4:5], 0x58
	s_load_dwordx4 s[0:3], s[4:5], 0x60
	v_lshl_add_u32 v1, v1, 5, v0
	v_and_b32_e32 v7, 15, v0
	s_waitcnt lgkmcnt(0)
	s_mul_i32 s5, s29, s8
	s_mul_hi_u32 s6, s28, s8
	s_mul_i32 s4, s28, s8
	s_add_i32 s5, s6, s5
	s_lshl_b64 s[4:5], s[4:5], 3
	s_add_u32 s4, s30, s4
	s_addc_u32 s5, s31, s5
	s_lshl_b64 s[0:1], s[0:1], 3
	s_add_u32 s15, s4, s0
	s_addc_u32 s24, s5, s1
	v_lshrrev_b32_e32 v60, 4, v1
	s_cmp_lt_i32 s27, 1
	s_barrier
	s_cbranch_scc1 .LBB90_18
; %bb.10:
	s_mul_i32 s7, s7, s11
	s_mul_i32 s0, s23, s8
	s_mul_hi_u32 s1, s22, s8
	s_lshl_b32 s6, s7, 5
	s_add_i32 s1, s1, s0
	s_mul_i32 s0, s22, s8
	s_ashr_i32 s7, s6, 31
	s_lshl_b64 s[0:1], s[0:1], 3
	s_add_u32 s4, s16, s0
	s_addc_u32 s5, s17, s1
	s_lshl_b64 s[0:1], s[18:19], 3
	s_add_u32 s8, s4, s0
	s_addc_u32 s10, s5, s1
	s_mul_i32 s0, s20, s25
	s_mul_hi_u32 s1, s20, s14
	v_lshlrev_b32_e32 v3, 2, v60
	v_mov_b32_e32 v8, 0
	s_add_i32 s0, s1, s0
	s_mul_i32 s1, s21, s14
	v_mad_u64_u32 v[1:2], s[4:5], s20, v3, v[7:8]
	s_add_i32 s1, s0, s1
	s_mul_i32 s0, s20, s14
	s_lshl_b64 s[0:1], s[0:1], 3
	s_add_u32 s4, s8, s0
	s_addc_u32 s5, s10, s1
	v_mad_u64_u32 v[2:3], s[0:1], s21, v3, v[2:3]
	s_lshl_b64 s[0:1], s[6:7], 3
	s_add_u32 s16, s4, s0
	v_lshlrev_b64 v[8:9], 3, v[1:2]
	s_addc_u32 s17, s5, s1
	v_mov_b32_e32 v2, s17
	v_add_co_u32_e64 v1, s[0:1], s16, v8
	v_addc_co_u32_e64 v2, s[0:1], v2, v9, s[0:1]
	s_lshl_b64 s[4:5], s[20:21], 3
	v_mov_b32_e32 v15, s5
	v_add_co_u32_e64 v3, s[0:1], s4, v1
	v_addc_co_u32_e64 v4, s[0:1], v2, v15, s[0:1]
	v_add_co_u32_e64 v10, s[0:1], s4, v3
	v_addc_co_u32_e64 v11, s[0:1], v4, v15, s[0:1]
	v_mad_u64_u32 v[12:13], s[0:1], s12, v7, 0
	v_add_co_u32_e64 v14, s[0:1], s4, v10
	v_addc_co_u32_e64 v15, s[0:1], v11, v15, s[0:1]
	v_mad_u64_u32 v[16:17], s[0:1], s13, v7, v[13:14]
	s_mul_i32 s0, s2, s7
	s_mul_hi_u32 s1, s2, s6
	s_add_i32 s0, s1, s0
	s_mul_i32 s1, s3, s6
	s_add_i32 s1, s0, s1
	s_mul_i32 s0, s2, s6
	s_lshl_b64 s[0:1], s[0:1], 3
	s_add_u32 s10, s15, s0
	s_addc_u32 s11, s24, s1
	s_mul_i32 s0, s12, s7
	s_mul_hi_u32 s1, s12, s6
	s_add_i32 s0, s1, s0
	s_mul_i32 s1, s13, s6
	s_add_i32 s1, s0, s1
	s_mul_i32 s0, s12, s6
	v_mov_b32_e32 v13, v16
	s_lshl_b64 s[0:1], s[0:1], 3
	s_add_u32 s18, s9, s0
	v_lshlrev_b64 v[32:33], 3, v[12:13]
	s_addc_u32 s19, s26, s1
	global_load_dwordx2 v[24:25], v[1:2], off
	global_load_dwordx2 v[26:27], v[3:4], off
	;; [unrolled: 1-line block ×4, first 2 shown]
	v_mov_b32_e32 v2, s19
	v_add_co_u32_e64 v1, s[0:1], s18, v32
	v_addc_co_u32_e64 v2, s[0:1], v2, v33, s[0:1]
	global_load_dwordx2 v[34:35], v[1:2], off
	v_or_b32_e32 v3, 16, v7
	v_mad_u64_u32 v[1:2], s[0:1], s12, v3, 0
	v_mad_u64_u32 v[10:11], s[0:1], s2, v0, 0
	;; [unrolled: 1-line block ×3, first 2 shown]
	v_mov_b32_e32 v3, v11
	v_mad_u64_u32 v[3:4], s[0:1], s3, v0, v[3:4]
	v_mov_b32_e32 v12, 0x1000
	v_lshl_or_b32 v16, v7, 3, v12
	v_mov_b32_e32 v13, 0x1800
	v_lshlrev_b32_e32 v4, 8, v60
	v_mov_b32_e32 v14, 0
	v_lshlrev_b64 v[18:19], 3, v[1:2]
	v_lshl_add_u32 v63, v60, 5, v13
	v_lshl_or_b32 v61, v0, 3, v12
	v_mov_b32_e32 v11, v3
	v_mov_b32_e32 v15, 0
	s_cmp_eq_u32 s27, 1
	v_add_u32_e32 v62, v16, v4
	s_cbranch_scc1 .LBB90_19
; %bb.11:
	s_lshl_b64 s[6:7], s[12:13], 8
	s_lshl_b64 s[8:9], s[2:3], 8
	s_add_i32 s22, s27, -2
	s_lshl_b64 s[0:1], s[20:21], 4
	s_sub_u32 s20, 0, s0
	s_subb_u32 s0, 0, s1
	v_mov_b32_e32 v16, 0
	v_mov_b32_e32 v13, s11
	;; [unrolled: 1-line block ×6, first 2 shown]
	s_mov_b32 s21, 0
	v_mov_b32_e32 v12, s10
	v_mov_b32_e32 v64, s5
	;; [unrolled: 1-line block ×7, first 2 shown]
.LBB90_12:                              ; =>This Loop Header: Depth=1
                                        ;     Child Loop BB90_14 Depth 2
	v_mov_b32_e32 v2, s19
	v_add_co_u32_e64 v1, s[0:1], s18, v18
	v_addc_co_u32_e64 v2, s[0:1], v2, v19, s[0:1]
	global_load_dwordx2 v[46:47], v[1:2], off
	v_mov_b32_e32 v2, s17
	v_add_co_u32_e64 v1, s[0:1], s16, v8
	v_addc_co_u32_e64 v2, s[0:1], v2, v9, s[0:1]
	global_load_dwordx2 v[48:49], v[1:2], off offset:128
	v_add_co_u32_e64 v3, s[0:1], s4, v1
	v_addc_co_u32_e64 v4, s[0:1], v2, v66, s[0:1]
	global_load_dwordx2 v[50:51], v[3:4], off offset:128
	v_add_co_u32_e64 v3, s[0:1], s4, v3
	v_addc_co_u32_e64 v4, s[0:1], v4, v64, s[0:1]
	v_add_co_u32_e64 v38, s[0:1], s4, v3
	v_addc_co_u32_e64 v39, s[0:1], v4, v64, s[0:1]
	global_load_dwordx2 v[52:53], v[38:39], off offset:128
	global_load_dwordx2 v[54:55], v[3:4], off offset:128
	;; [unrolled: 1-line block ×3, first 2 shown]
	v_add_co_u32_e64 v1, s[0:1], s20, v38
	v_addc_co_u32_e64 v2, s[0:1], v39, v65, s[0:1]
	v_add_co_u32_e64 v3, s[0:1], s4, v1
	v_addc_co_u32_e64 v4, s[0:1], v2, v64, s[0:1]
	s_add_u32 s18, s18, s6
	v_add_co_u32_e64 v56, s[0:1], s4, v3
	s_addc_u32 s19, s19, s7
	v_addc_co_u32_e64 v57, s[0:1], v4, v64, s[0:1]
	v_mov_b32_e32 v38, s19
	v_add_co_u32_e64 v58, s[0:1], s18, v32
	v_addc_co_u32_e64 v59, s[0:1], v38, v33, s[0:1]
	global_load_dwordx2 v[44:45], v[58:59], off
	global_load_dwordx2 v[42:43], v[1:2], off offset:256
	global_load_dwordx2 v[40:41], v[3:4], off offset:256
	;; [unrolled: 1-line block ×3, first 2 shown]
	ds_read_b128 v[1:4], v63
	ds_read_b128 v[56:59], v63 offset:16
	s_waitcnt vmcnt(0) lgkmcnt(0)
	s_barrier
	v_fma_f64 v[67:68], v[24:25], v[1:2], 0
	v_fma_f64 v[67:68], v[26:27], v[3:4], v[67:68]
	;; [unrolled: 1-line block ×8, first 2 shown]
	ds_write2_b64 v62, v[3:4], v[1:2] offset1:16
	s_waitcnt lgkmcnt(0)
	s_barrier
	s_and_saveexec_b64 s[10:11], vcc
	s_cbranch_execz .LBB90_16
; %bb.13:                               ;   in Loop: Header=BB90_12 Depth=1
	v_lshlrev_b64 v[1:2], 3, v[10:11]
	ds_read2_b64 v[67:70], v61 offset1:32
	v_add_co_u32_e64 v56, s[0:1], v12, v1
	v_addc_co_u32_e64 v57, s[0:1], v13, v2, s[0:1]
	global_load_dwordx2 v[3:4], v[56:57], off
	s_waitcnt lgkmcnt(0)
	v_add_f64 v[1:2], v[67:68], 0
	s_mov_b64 s[12:13], 0
	v_add_f64 v[1:2], v[1:2], v[69:70]
	ds_read2_b64 v[67:70], v61 offset0:64 offset1:96
	s_waitcnt lgkmcnt(0)
	v_add_f64 v[1:2], v[1:2], v[67:68]
	v_add_f64 v[1:2], v[1:2], v[69:70]
	ds_read2_b64 v[67:70], v61 offset0:128 offset1:160
	s_waitcnt lgkmcnt(0)
	v_add_f64 v[1:2], v[1:2], v[67:68]
	;; [unrolled: 4-line block ×3, first 2 shown]
	v_add_f64 v[1:2], v[1:2], v[69:70]
	v_mul_f64 v[58:59], v[5:6], v[1:2]
.LBB90_14:                              ;   Parent Loop BB90_12 Depth=1
                                        ; =>  This Inner Loop Header: Depth=2
	s_waitcnt vmcnt(0)
	v_add_f64 v[1:2], v[3:4], v[58:59]
	global_atomic_cmpswap_x2 v[1:2], v[56:57], v[1:4], off glc
	s_waitcnt vmcnt(0)
	v_cmp_eq_u64_e64 s[0:1], v[1:2], v[3:4]
	v_mov_b32_e32 v4, v2
	s_or_b64 s[12:13], s[0:1], s[12:13]
	v_mov_b32_e32 v3, v1
	s_andn2_b64 exec, exec, s[12:13]
	s_cbranch_execnz .LBB90_14
; %bb.15:                               ;   in Loop: Header=BB90_12 Depth=1
	s_or_b64 exec, exec, s[12:13]
	v_mov_b32_e32 v1, s9
	v_add_co_u32_e64 v12, s[0:1], s8, v12
	v_addc_co_u32_e64 v13, s[0:1], v13, v1, s[0:1]
.LBB90_16:                              ;   in Loop: Header=BB90_12 Depth=1
	s_or_b64 exec, exec, s[10:11]
	v_fma_f64 v[1:2], v[34:35], v[24:25], v[16:17]
	v_fma_f64 v[3:4], v[34:35], v[26:27], v[22:23]
	;; [unrolled: 1-line block ×4, first 2 shown]
	s_add_u32 s16, s16, 0x100
	s_addc_u32 s17, s17, 0
	s_add_i32 s0, s21, 1
	s_cmp_eq_u32 s21, s22
	v_fma_f64 v[16:17], v[46:47], v[48:49], v[1:2]
	v_fma_f64 v[22:23], v[46:47], v[50:51], v[3:4]
	;; [unrolled: 1-line block ×4, first 2 shown]
	s_cbranch_scc1 .LBB90_20
; %bb.17:                               ;   in Loop: Header=BB90_12 Depth=1
	v_mov_b32_e32 v34, v44
	v_mov_b32_e32 v24, v36
	;; [unrolled: 1-line block ×5, first 2 shown]
	s_mov_b32 s21, s0
	v_mov_b32_e32 v35, v45
	v_mov_b32_e32 v25, v37
	;; [unrolled: 1-line block ×5, first 2 shown]
	s_branch .LBB90_12
.LBB90_18:
	v_mov_b32_e32 v1, 0
	v_mov_b32_e32 v3, 0
	;; [unrolled: 1-line block ×8, first 2 shown]
	s_branch .LBB90_24
.LBB90_19:
	v_mov_b32_e32 v13, s11
	s_waitcnt vmcnt(1)
	v_mov_b32_e32 v39, v31
	v_mov_b32_e32 v41, v29
	;; [unrolled: 1-line block ×7, first 2 shown]
	s_waitcnt vmcnt(0)
	v_mov_b32_e32 v45, v35
	v_mov_b32_e32 v12, s10
	;; [unrolled: 1-line block ×10, first 2 shown]
.LBB90_20:
	v_mov_b32_e32 v2, s17
	v_add_co_u32_e64 v1, s[0:1], s16, v8
	v_addc_co_u32_e64 v2, s[0:1], v2, v9, s[0:1]
	global_load_dwordx2 v[8:9], v[1:2], off offset:128
	v_mov_b32_e32 v3, s5
	v_add_co_u32_e64 v1, s[0:1], s4, v1
	v_addc_co_u32_e64 v2, s[0:1], v2, v3, s[0:1]
	global_load_dwordx2 v[24:25], v[1:2], off offset:128
	v_add_co_u32_e64 v1, s[0:1], s4, v1
	v_addc_co_u32_e64 v2, s[0:1], v2, v3, s[0:1]
	global_load_dwordx2 v[26:27], v[1:2], off offset:128
	;; [unrolled: 3-line block ×3, first 2 shown]
	v_mov_b32_e32 v2, s19
	v_add_co_u32_e64 v1, s[0:1], s18, v18
	v_addc_co_u32_e64 v2, s[0:1], v2, v19, s[0:1]
	global_load_dwordx2 v[18:19], v[1:2], off
	ds_read_b128 v[1:4], v63
	ds_read_b128 v[30:33], v63 offset:16
	v_fma_f64 v[16:17], v[44:45], v[36:37], v[16:17]
	v_fma_f64 v[22:23], v[44:45], v[42:43], v[22:23]
	;; [unrolled: 1-line block ×3, first 2 shown]
	s_waitcnt lgkmcnt(1)
	v_fma_f64 v[34:35], v[36:37], v[1:2], 0
	v_fma_f64 v[14:15], v[44:45], v[38:39], v[14:15]
	s_mov_b64 s[4:5], 0
	s_waitcnt vmcnt(0) lgkmcnt(0)
	s_barrier
	v_fma_f64 v[34:35], v[42:43], v[3:4], v[34:35]
	v_fma_f64 v[1:2], v[8:9], v[1:2], 0
	;; [unrolled: 1-line block ×7, first 2 shown]
	ds_write2_b64 v62, v[3:4], v[1:2] offset1:16
	s_waitcnt lgkmcnt(0)
	s_barrier
	s_and_saveexec_b64 s[6:7], vcc
	s_cbranch_execz .LBB90_23
; %bb.21:
	v_lshlrev_b64 v[1:2], 3, v[10:11]
	ds_read2_b64 v[30:33], v61 offset1:32
	v_add_co_u32_e64 v10, s[0:1], v12, v1
	v_addc_co_u32_e64 v11, s[0:1], v13, v2, s[0:1]
	global_load_dwordx2 v[3:4], v[10:11], off
	s_waitcnt lgkmcnt(0)
	v_add_f64 v[1:2], v[30:31], 0
	v_add_f64 v[1:2], v[1:2], v[32:33]
	ds_read2_b64 v[30:33], v61 offset0:64 offset1:96
	s_waitcnt lgkmcnt(0)
	v_add_f64 v[1:2], v[1:2], v[30:31]
	v_add_f64 v[1:2], v[1:2], v[32:33]
	ds_read2_b64 v[30:33], v61 offset0:128 offset1:160
	;; [unrolled: 4-line block ×3, first 2 shown]
	s_waitcnt lgkmcnt(0)
	v_add_f64 v[1:2], v[1:2], v[30:31]
	v_add_f64 v[1:2], v[1:2], v[32:33]
	v_mul_f64 v[12:13], v[5:6], v[1:2]
.LBB90_22:                              ; =>This Inner Loop Header: Depth=1
	s_waitcnt vmcnt(0)
	v_add_f64 v[1:2], v[3:4], v[12:13]
	global_atomic_cmpswap_x2 v[1:2], v[10:11], v[1:4], off glc
	s_waitcnt vmcnt(0)
	v_cmp_eq_u64_e64 s[0:1], v[1:2], v[3:4]
	v_mov_b32_e32 v4, v2
	s_or_b64 s[4:5], s[0:1], s[4:5]
	v_mov_b32_e32 v3, v1
	s_andn2_b64 exec, exec, s[4:5]
	s_cbranch_execnz .LBB90_22
.LBB90_23:
	s_or_b64 exec, exec, s[6:7]
	v_fma_f64 v[10:11], v[18:19], v[8:9], v[16:17]
	v_fma_f64 v[8:9], v[18:19], v[24:25], v[22:23]
	;; [unrolled: 1-line block ×4, first 2 shown]
.LBB90_24:
	v_lshlrev_b32_e32 v12, 9, v60
	v_lshl_or_b32 v12, v7, 3, v12
	ds_write2_b64 v12, v[10:11], v[8:9] offset1:16
	ds_write2_b64 v12, v[3:4], v[1:2] offset0:32 offset1:48
	s_waitcnt lgkmcnt(0)
	s_barrier
	s_and_b64 exec, exec, vcc
	s_cbranch_execz .LBB90_27
; %bb.25:
	v_lshlrev_b32_e32 v20, 7, v0
	v_lshl_or_b32 v1, v7, 3, v20
	ds_read_b64 v[1:2], v1
	v_add_u32_e32 v4, 2, v0
	v_and_b32_e32 v4, 15, v4
	v_add_u32_e32 v3, 1, v0
	v_lshl_or_b32 v8, v4, 3, v20
	s_waitcnt lgkmcnt(0)
	v_add_f64 v[1:2], v[1:2], 0
	v_add_u32_e32 v4, 3, v0
	v_and_b32_e32 v3, 15, v3
	v_and_b32_e32 v4, 15, v4
	v_lshl_or_b32 v3, v3, 3, v20
	v_lshl_or_b32 v10, v4, 3, v20
	ds_read_b64 v[3:4], v3
	ds_read_b64 v[8:9], v8
	;; [unrolled: 1-line block ×3, first 2 shown]
	v_xor_b32_e32 v7, 8, v7
	v_add_u32_e32 v14, 9, v0
	s_waitcnt lgkmcnt(2)
	v_add_f64 v[1:2], v[1:2], v[3:4]
	v_add_u32_e32 v3, 4, v0
	v_add_u32_e32 v4, 5, v0
	v_and_b32_e32 v3, 15, v3
	v_and_b32_e32 v4, 15, v4
	v_lshl_or_b32 v3, v3, 3, v20
	v_add_u32_e32 v15, 10, v0
	v_lshl_or_b32 v7, v7, 3, v20
	s_waitcnt lgkmcnt(1)
	v_add_f64 v[1:2], v[1:2], v[8:9]
	v_add_u32_e32 v8, 6, v0
	v_add_u32_e32 v9, 7, v0
	v_and_b32_e32 v8, 15, v8
	v_and_b32_e32 v9, 15, v9
	v_lshl_or_b32 v12, v9, 3, v20
	s_mul_i32 s1, s2, s25
	s_mul_hi_u32 s6, s2, s14
	s_waitcnt lgkmcnt(0)
	v_add_f64 v[1:2], v[1:2], v[10:11]
	v_lshl_or_b32 v10, v4, 3, v20
	ds_read_b64 v[3:4], v3
	v_lshl_or_b32 v11, v8, 3, v20
	ds_read_b64 v[8:9], v10
	ds_read_b64 v[10:11], v11
	;; [unrolled: 1-line block ×3, first 2 shown]
	s_mul_i32 s7, s3, s14
	s_mul_i32 s0, s2, s14
	s_add_i32 s1, s6, s1
	s_waitcnt lgkmcnt(3)
	v_add_f64 v[1:2], v[1:2], v[3:4]
	v_mad_u64_u32 v[3:4], s[4:5], s2, v0, 0
	s_add_i32 s1, s1, s7
	s_lshl_b64 s[0:1], s[0:1], 3
	s_add_u32 s0, s15, s0
	s_addc_u32 s1, s24, s1
	s_waitcnt lgkmcnt(2)
	v_add_f64 v[1:2], v[1:2], v[8:9]
	v_and_b32_e32 v8, 15, v14
	v_and_b32_e32 v9, 15, v15
	ds_read_b64 v[14:15], v7
	v_lshl_or_b32 v16, v8, 3, v20
	v_mad_u64_u32 v[7:8], s[2:3], s3, v0, v[4:5]
	v_lshl_or_b32 v17, v9, 3, v20
	s_waitcnt lgkmcnt(2)
	v_add_f64 v[1:2], v[1:2], v[10:11]
	v_mov_b32_e32 v4, v7
	v_lshlrev_b64 v[3:4], 3, v[3:4]
	v_add_co_u32_e32 v7, vcc, s0, v3
	s_waitcnt lgkmcnt(1)
	v_add_f64 v[9:10], v[1:2], v[12:13]
	v_mov_b32_e32 v1, s1
	v_addc_co_u32_e32 v8, vcc, v1, v4, vcc
	global_load_dwordx2 v[2:3], v[7:8], off
	v_add_u32_e32 v1, 11, v0
	v_and_b32_e32 v1, 15, v1
	v_lshl_or_b32 v1, v1, 3, v20
	s_waitcnt lgkmcnt(0)
	v_add_f64 v[9:10], v[9:10], v[14:15]
	ds_read_b64 v[11:12], v16
	ds_read_b64 v[16:17], v17
	;; [unrolled: 1-line block ×3, first 2 shown]
	v_add_u32_e32 v1, 12, v0
	v_and_b32_e32 v1, 15, v1
	v_lshl_or_b32 v1, v1, 3, v20
	v_add_u32_e32 v4, 13, v0
	v_add_u32_e32 v13, 14, v0
	v_add_u32_e32 v0, -1, v0
	s_waitcnt lgkmcnt(2)
	v_add_f64 v[9:10], v[9:10], v[11:12]
	ds_read_b64 v[11:12], v1
	v_and_b32_e32 v4, 15, v4
	v_and_b32_e32 v1, 15, v13
	;; [unrolled: 1-line block ×3, first 2 shown]
	v_lshl_or_b32 v4, v4, 3, v20
	v_lshl_or_b32 v13, v1, 3, v20
	;; [unrolled: 1-line block ×3, first 2 shown]
	s_waitcnt lgkmcnt(2)
	v_add_f64 v[9:10], v[9:10], v[16:17]
	ds_read_b64 v[0:1], v4
	ds_read_b64 v[13:14], v13
	;; [unrolled: 1-line block ×3, first 2 shown]
	s_mov_b64 s[0:1], 0
	s_waitcnt lgkmcnt(4)
	v_add_f64 v[9:10], v[9:10], v[18:19]
	s_waitcnt lgkmcnt(3)
	v_add_f64 v[9:10], v[9:10], v[11:12]
	;; [unrolled: 2-line block ×5, first 2 shown]
	v_mul_f64 v[4:5], v[5:6], v[0:1]
.LBB90_26:                              ; =>This Inner Loop Header: Depth=1
	s_waitcnt vmcnt(0)
	v_add_f64 v[0:1], v[2:3], v[4:5]
	global_atomic_cmpswap_x2 v[0:1], v[7:8], v[0:3], off glc
	s_waitcnt vmcnt(0)
	v_cmp_eq_u64_e32 vcc, v[0:1], v[2:3]
	v_mov_b32_e32 v3, v1
	s_or_b64 s[0:1], vcc, s[0:1]
	v_mov_b32_e32 v2, v0
	s_andn2_b64 exec, exec, s[0:1]
	s_cbranch_execnz .LBB90_26
.LBB90_27:
	s_endpgm
	.section	.rodata,"a",@progbits
	.p2align	6, 0x0
	.amdhsa_kernel _ZL54rocblas_symv_kernel_upper_double_buffered_non_diagonalILi32ELi4ELi4E24rocblas_internal_val_ptrIdEPKdPdEvbiT2_lT3_lllS6_lllT4_llli
		.amdhsa_group_segment_fixed_size 6400
		.amdhsa_private_segment_fixed_size 0
		.amdhsa_kernarg_size 384
		.amdhsa_user_sgpr_count 6
		.amdhsa_user_sgpr_private_segment_buffer 1
		.amdhsa_user_sgpr_dispatch_ptr 0
		.amdhsa_user_sgpr_queue_ptr 0
		.amdhsa_user_sgpr_kernarg_segment_ptr 1
		.amdhsa_user_sgpr_dispatch_id 0
		.amdhsa_user_sgpr_flat_scratch_init 0
		.amdhsa_user_sgpr_private_segment_size 0
		.amdhsa_uses_dynamic_stack 0
		.amdhsa_system_sgpr_private_segment_wavefront_offset 0
		.amdhsa_system_sgpr_workgroup_id_x 1
		.amdhsa_system_sgpr_workgroup_id_y 1
		.amdhsa_system_sgpr_workgroup_id_z 1
		.amdhsa_system_sgpr_workgroup_info 0
		.amdhsa_system_vgpr_workitem_id 1
		.amdhsa_next_free_vgpr 71
		.amdhsa_next_free_sgpr 98
		.amdhsa_reserve_vcc 1
		.amdhsa_reserve_flat_scratch 0
		.amdhsa_float_round_mode_32 0
		.amdhsa_float_round_mode_16_64 0
		.amdhsa_float_denorm_mode_32 3
		.amdhsa_float_denorm_mode_16_64 3
		.amdhsa_dx10_clamp 1
		.amdhsa_ieee_mode 1
		.amdhsa_fp16_overflow 0
		.amdhsa_exception_fp_ieee_invalid_op 0
		.amdhsa_exception_fp_denorm_src 0
		.amdhsa_exception_fp_ieee_div_zero 0
		.amdhsa_exception_fp_ieee_overflow 0
		.amdhsa_exception_fp_ieee_underflow 0
		.amdhsa_exception_fp_ieee_inexact 0
		.amdhsa_exception_int_div_zero 0
	.end_amdhsa_kernel
	.section	.text._ZL54rocblas_symv_kernel_upper_double_buffered_non_diagonalILi32ELi4ELi4E24rocblas_internal_val_ptrIdEPKdPdEvbiT2_lT3_lllS6_lllT4_llli,"axG",@progbits,_ZL54rocblas_symv_kernel_upper_double_buffered_non_diagonalILi32ELi4ELi4E24rocblas_internal_val_ptrIdEPKdPdEvbiT2_lT3_lllS6_lllT4_llli,comdat
.Lfunc_end90:
	.size	_ZL54rocblas_symv_kernel_upper_double_buffered_non_diagonalILi32ELi4ELi4E24rocblas_internal_val_ptrIdEPKdPdEvbiT2_lT3_lllS6_lllT4_llli, .Lfunc_end90-_ZL54rocblas_symv_kernel_upper_double_buffered_non_diagonalILi32ELi4ELi4E24rocblas_internal_val_ptrIdEPKdPdEvbiT2_lT3_lllS6_lllT4_llli
                                        ; -- End function
	.set _ZL54rocblas_symv_kernel_upper_double_buffered_non_diagonalILi32ELi4ELi4E24rocblas_internal_val_ptrIdEPKdPdEvbiT2_lT3_lllS6_lllT4_llli.num_vgpr, 71
	.set _ZL54rocblas_symv_kernel_upper_double_buffered_non_diagonalILi32ELi4ELi4E24rocblas_internal_val_ptrIdEPKdPdEvbiT2_lT3_lllS6_lllT4_llli.num_agpr, 0
	.set _ZL54rocblas_symv_kernel_upper_double_buffered_non_diagonalILi32ELi4ELi4E24rocblas_internal_val_ptrIdEPKdPdEvbiT2_lT3_lllS6_lllT4_llli.numbered_sgpr, 32
	.set _ZL54rocblas_symv_kernel_upper_double_buffered_non_diagonalILi32ELi4ELi4E24rocblas_internal_val_ptrIdEPKdPdEvbiT2_lT3_lllS6_lllT4_llli.num_named_barrier, 0
	.set _ZL54rocblas_symv_kernel_upper_double_buffered_non_diagonalILi32ELi4ELi4E24rocblas_internal_val_ptrIdEPKdPdEvbiT2_lT3_lllS6_lllT4_llli.private_seg_size, 0
	.set _ZL54rocblas_symv_kernel_upper_double_buffered_non_diagonalILi32ELi4ELi4E24rocblas_internal_val_ptrIdEPKdPdEvbiT2_lT3_lllS6_lllT4_llli.uses_vcc, 1
	.set _ZL54rocblas_symv_kernel_upper_double_buffered_non_diagonalILi32ELi4ELi4E24rocblas_internal_val_ptrIdEPKdPdEvbiT2_lT3_lllS6_lllT4_llli.uses_flat_scratch, 0
	.set _ZL54rocblas_symv_kernel_upper_double_buffered_non_diagonalILi32ELi4ELi4E24rocblas_internal_val_ptrIdEPKdPdEvbiT2_lT3_lllS6_lllT4_llli.has_dyn_sized_stack, 0
	.set _ZL54rocblas_symv_kernel_upper_double_buffered_non_diagonalILi32ELi4ELi4E24rocblas_internal_val_ptrIdEPKdPdEvbiT2_lT3_lllS6_lllT4_llli.has_recursion, 0
	.set _ZL54rocblas_symv_kernel_upper_double_buffered_non_diagonalILi32ELi4ELi4E24rocblas_internal_val_ptrIdEPKdPdEvbiT2_lT3_lllS6_lllT4_llli.has_indirect_call, 0
	.section	.AMDGPU.csdata,"",@progbits
; Kernel info:
; codeLenInByte = 3212
; TotalNumSgprs: 36
; NumVgprs: 71
; ScratchSize: 0
; MemoryBound: 0
; FloatMode: 240
; IeeeMode: 1
; LDSByteSize: 6400 bytes/workgroup (compile time only)
; SGPRBlocks: 12
; VGPRBlocks: 17
; NumSGPRsForWavesPerEU: 102
; NumVGPRsForWavesPerEU: 71
; Occupancy: 3
; WaveLimiterHint : 0
; COMPUTE_PGM_RSRC2:SCRATCH_EN: 0
; COMPUTE_PGM_RSRC2:USER_SGPR: 6
; COMPUTE_PGM_RSRC2:TRAP_HANDLER: 0
; COMPUTE_PGM_RSRC2:TGID_X_EN: 1
; COMPUTE_PGM_RSRC2:TGID_Y_EN: 1
; COMPUTE_PGM_RSRC2:TGID_Z_EN: 1
; COMPUTE_PGM_RSRC2:TIDIG_COMP_CNT: 1
	.section	.text._ZL58rocblas_symv_kernel_upper_double_buffered_diagonal_genericILi32ELi8E24rocblas_internal_val_ptrIdEPKdPdEvbiT1_lT2_lllS6_lllS5_lT3_lllii,"axG",@progbits,_ZL58rocblas_symv_kernel_upper_double_buffered_diagonal_genericILi32ELi8E24rocblas_internal_val_ptrIdEPKdPdEvbiT1_lT2_lllS6_lllS5_lT3_lllii,comdat
	.globl	_ZL58rocblas_symv_kernel_upper_double_buffered_diagonal_genericILi32ELi8E24rocblas_internal_val_ptrIdEPKdPdEvbiT1_lT2_lllS6_lllS5_lT3_lllii ; -- Begin function _ZL58rocblas_symv_kernel_upper_double_buffered_diagonal_genericILi32ELi8E24rocblas_internal_val_ptrIdEPKdPdEvbiT1_lT2_lllS6_lllS5_lT3_lllii
	.p2align	8
	.type	_ZL58rocblas_symv_kernel_upper_double_buffered_diagonal_genericILi32ELi8E24rocblas_internal_val_ptrIdEPKdPdEvbiT1_lT2_lllS6_lllS5_lT3_lllii,@function
_ZL58rocblas_symv_kernel_upper_double_buffered_diagonal_genericILi32ELi8E24rocblas_internal_val_ptrIdEPKdPdEvbiT1_lT2_lllS6_lllS5_lT3_lllii: ; @_ZL58rocblas_symv_kernel_upper_double_buffered_diagonal_genericILi32ELi8E24rocblas_internal_val_ptrIdEPKdPdEvbiT1_lT2_lllS6_lllS5_lT3_lllii
; %bb.0:
	s_load_dword s0, s[4:5], 0x0
	s_load_dwordx16 s[8:23], s[4:5], 0x8
	s_load_dwordx8 s[24:31], s[4:5], 0x48
	s_waitcnt lgkmcnt(0)
	s_bitcmp1_b32 s0, 0
	s_cselect_b64 s[2:3], -1, 0
	v_mov_b32_e32 v4, s8
	s_xor_b64 s[0:1], s[2:3], -1
	s_and_b64 vcc, exec, s[2:3]
	v_mov_b32_e32 v5, s9
	s_cbranch_vccnz .LBB91_2
; %bb.1:
	s_mul_i32 s2, s11, s7
	s_mul_hi_u32 s3, s10, s7
	s_add_i32 s3, s3, s2
	s_mul_i32 s2, s10, s7
	s_lshl_b64 s[2:3], s[2:3], 3
	s_add_u32 s2, s8, s2
	s_addc_u32 s3, s9, s3
	v_mov_b32_e32 v2, s2
	v_mov_b32_e32 v3, s3
	flat_load_dwordx2 v[4:5], v[2:3]
.LBB91_2:
	v_mov_b32_e32 v2, s28
	s_andn2_b64 vcc, exec, s[0:1]
	v_mov_b32_e32 v3, s29
	s_cbranch_vccnz .LBB91_4
; %bb.3:
	s_mul_i32 s0, s31, s7
	s_mul_hi_u32 s1, s30, s7
	s_add_i32 s1, s1, s0
	s_mul_i32 s0, s30, s7
	s_lshl_b64 s[0:1], s[0:1], 3
	s_add_u32 s0, s28, s0
	s_addc_u32 s1, s29, s1
	v_mov_b32_e32 v3, s1
	v_mov_b32_e32 v2, s0
	flat_load_dwordx2 v[2:3], v[2:3]
.LBB91_4:
	s_waitcnt vmcnt(0) lgkmcnt(0)
	v_cmp_neq_f64_e32 vcc, 0, v[4:5]
	v_cmp_neq_f64_e64 s[0:1], 1.0, v[2:3]
	s_or_b64 s[0:1], vcc, s[0:1]
	s_and_saveexec_b64 s[2:3], s[0:1]
	s_cbranch_execz .LBB91_42
; %bb.5:
	s_load_dwordx2 s[0:1], s[4:5], 0x80
	s_load_dwordx2 s[2:3], s[4:5], 0x68
	s_load_dwordx4 s[8:11], s[4:5], 0x70
	s_load_dword s35, s[4:5], 0x88
	v_cmp_eq_f64_e32 vcc, 0, v[4:5]
	s_waitcnt lgkmcnt(0)
	s_mul_i32 s1, s1, s7
	s_mul_hi_u32 s28, s0, s7
	s_add_i32 s1, s28, s1
	s_mul_i32 s0, s0, s7
	s_lshl_b64 s[0:1], s[0:1], 3
	s_add_u32 s2, s2, s0
	s_addc_u32 s3, s3, s1
	s_lshl_b64 s[0:1], s[8:9], 3
	s_add_u32 s2, s2, s0
	s_addc_u32 s3, s3, s1
	s_lshl_b32 s36, s6, 5
	s_ashr_i32 s37, s36, 31
	s_mul_i32 s0, s10, s37
	s_mul_hi_u32 s1, s10, s36
	s_add_i32 s0, s1, s0
	s_mul_i32 s1, s11, s36
	s_add_i32 s1, s0, s1
	s_mul_i32 s0, s10, s36
	s_lshl_b64 s[0:1], s[0:1], 3
	s_add_u32 s33, s2, s0
	s_addc_u32 s34, s3, s1
	s_and_saveexec_b64 s[0:1], vcc
	s_xor_b64 s[0:1], exec, s[0:1]
	s_cbranch_execz .LBB91_12
; %bb.6:
	v_cmp_eq_u32_e32 vcc, 0, v1
	s_and_saveexec_b64 s[2:3], vcc
	s_cbranch_execz .LBB91_11
; %bb.7:
	v_cmp_gt_i32_e64 s[8:9], s35, v0
	v_cmp_le_i32_e32 vcc, s35, v0
	s_and_saveexec_b64 s[28:29], vcc
	s_cbranch_execz .LBB91_9
; %bb.8:
	s_load_dword s30, s[4:5], 0x90
	s_waitcnt lgkmcnt(0)
	s_add_i32 s30, s30, -1
	s_cmp_lt_u32 s6, s30
	s_cselect_b64 s[30:31], -1, 0
	s_andn2_b64 s[8:9], s[8:9], exec
	s_and_b64 s[30:31], s[30:31], exec
	s_or_b64 s[8:9], s[8:9], s[30:31]
.LBB91_9:
	s_or_b64 exec, exec, s[28:29]
	s_and_b64 exec, exec, s[8:9]
	s_cbranch_execz .LBB91_11
; %bb.10:
	v_mad_u64_u32 v[4:5], s[8:9], s10, v0, 0
	v_mov_b32_e32 v6, s34
	v_mov_b32_e32 v1, v5
	v_mad_u64_u32 v[0:1], s[8:9], s11, v0, v[1:2]
	v_mov_b32_e32 v5, v0
	v_lshlrev_b64 v[0:1], 3, v[4:5]
	v_add_co_u32_e32 v0, vcc, s33, v0
	v_addc_co_u32_e32 v1, vcc, v6, v1, vcc
	global_load_dwordx2 v[4:5], v[0:1], off
	s_waitcnt vmcnt(0)
	v_mul_f64 v[2:3], v[2:3], v[4:5]
	global_store_dwordx2 v[0:1], v[2:3], off
.LBB91_11:
	s_or_b64 exec, exec, s[2:3]
                                        ; implicit-def: $vgpr1
                                        ; implicit-def: $vgpr0
                                        ; implicit-def: $vgpr2_vgpr3
                                        ; implicit-def: $vgpr4_vgpr5
.LBB91_12:
	s_andn2_saveexec_b64 s[0:1], s[0:1]
	s_cbranch_execz .LBB91_42
; %bb.13:
	v_mov_b32_e32 v6, 0
	v_cmp_ne_u32_e64 s[2:3], 0, v1
	v_mov_b32_e32 v7, 0
	v_cmp_eq_u32_e64 s[0:1], 0, v1
	s_and_saveexec_b64 s[8:9], s[0:1]
	s_cbranch_execz .LBB91_21
; %bb.14:
	v_cmp_gt_i32_e64 s[30:31], s35, v0
	v_cmp_le_i32_e32 vcc, s35, v0
	s_and_saveexec_b64 s[28:29], vcc
	s_cbranch_execz .LBB91_16
; %bb.15:
	s_load_dword s38, s[4:5], 0x90
	s_waitcnt lgkmcnt(0)
	s_add_i32 s38, s38, -1
	s_cmp_lt_u32 s6, s38
	s_cselect_b64 s[38:39], -1, 0
	s_andn2_b64 s[30:31], s[30:31], exec
	s_and_b64 s[38:39], s[38:39], exec
	s_or_b64 s[30:31], s[30:31], s[38:39]
.LBB91_16:
	s_or_b64 exec, exec, s[28:29]
	v_mov_b32_e32 v6, 0
	v_mov_b32_e32 v7, 0
	s_and_saveexec_b64 s[28:29], s[30:31]
	s_cbranch_execz .LBB91_20
; %bb.17:
	s_mul_i32 s27, s27, s7
	s_mul_hi_u32 s30, s26, s7
	s_add_i32 s27, s30, s27
	s_mul_i32 s26, s26, s7
	s_lshl_b64 s[26:27], s[26:27], 3
	s_add_u32 s26, s20, s26
	s_addc_u32 s27, s21, s27
	s_lshl_b64 s[20:21], s[22:23], 3
	s_add_u32 s26, s26, s20
	s_addc_u32 s27, s27, s21
	s_mul_i32 s20, s24, s37
	s_mul_hi_u32 s21, s24, s36
	s_add_i32 s22, s21, s20
	v_mad_u64_u32 v[6:7], s[20:21], s24, v0, 0
	s_mul_i32 s20, s25, s36
	s_add_i32 s21, s22, s20
	v_mad_u64_u32 v[7:8], s[22:23], s25, v0, v[7:8]
	s_mul_i32 s20, s24, s36
	s_lshl_b64 s[20:21], s[20:21], 3
	s_add_u32 s20, s26, s20
	v_lshlrev_b64 v[6:7], 3, v[6:7]
	s_addc_u32 s21, s27, s21
	v_mov_b32_e32 v8, s21
	v_add_co_u32_e32 v6, vcc, s20, v6
	v_addc_co_u32_e32 v7, vcc, v8, v7, vcc
	global_load_dwordx2 v[8:9], v[6:7], off
	v_cmp_neq_f64_e32 vcc, 0, v[2:3]
	v_mov_b32_e32 v6, 0
	v_lshlrev_b32_e32 v10, 3, v0
	v_mov_b32_e32 v7, 0
	s_waitcnt vmcnt(0)
	ds_write_b64 v10, v[8:9] offset:12288
	s_and_saveexec_b64 s[20:21], vcc
	s_cbranch_execz .LBB91_19
; %bb.18:
	v_mad_u64_u32 v[6:7], s[22:23], s10, v0, 0
	v_mad_u64_u32 v[7:8], s[22:23], s11, v0, v[7:8]
	v_mov_b32_e32 v8, s34
	v_lshlrev_b64 v[6:7], 3, v[6:7]
	v_add_co_u32_e32 v6, vcc, s33, v6
	v_addc_co_u32_e32 v7, vcc, v8, v7, vcc
	global_load_dwordx2 v[6:7], v[6:7], off
	s_waitcnt vmcnt(0)
	v_mul_f64 v[6:7], v[2:3], v[6:7]
.LBB91_19:
	s_or_b64 exec, exec, s[20:21]
.LBB91_20:
	s_or_b64 exec, exec, s[28:29]
.LBB91_21:
	s_or_b64 exec, exec, s[8:9]
	s_mul_i32 s8, s19, s7
	s_mul_hi_u32 s9, s18, s7
	s_add_i32 s9, s9, s8
	s_mul_i32 s8, s18, s7
	s_lshl_b64 s[8:9], s[8:9], 3
	s_add_u32 s7, s12, s8
	s_addc_u32 s18, s13, s9
	s_lshl_b64 s[14:15], s[14:15], 3
	s_add_u32 s7, s7, s14
	s_addc_u32 s22, s18, s15
	s_add_u32 s20, s16, 1
	s_mul_i32 s18, s20, s37
	s_mul_hi_u32 s19, s20, s36
	s_addc_u32 s21, s17, 0
	s_add_i32 s23, s19, s18
	v_mad_u64_u32 v[8:9], s[18:19], s16, v1, 0
	s_mul_i32 s21, s21, s36
	s_add_i32 s19, s23, s21
	s_mul_i32 s18, s20, s36
	v_mad_u64_u32 v[9:10], s[20:21], s17, v1, v[9:10]
	s_lshl_b64 s[18:19], s[18:19], 3
	s_add_u32 s7, s7, s18
	v_lshlrev_b64 v[10:11], 3, v[8:9]
	s_addc_u32 s20, s22, s19
	v_add_co_u32_e32 v9, vcc, s7, v10
	s_load_dword s7, s[4:5], 0x90
	v_mov_b32_e32 v8, s20
	v_addc_co_u32_e32 v13, vcc, v8, v11, vcc
	v_lshlrev_b32_e32 v12, 3, v0
	v_add_co_u32_e32 v8, vcc, v9, v12
	v_addc_co_u32_e32 v9, vcc, 0, v13, vcc
	s_waitcnt lgkmcnt(0)
	s_add_i32 s7, s7, -1
	v_lshlrev_b32_e32 v13, 8, v1
	v_lshlrev_b32_e32 v14, 5, v1
	s_cmp_eq_u32 s6, s7
	s_mov_b64 s[4:5], -1
	v_add_u32_e32 v13, v12, v13
	s_cbranch_scc1 .LBB91_23
; %bb.22:
	s_lshl_b64 s[4:5], s[16:17], 6
	v_mov_b32_e32 v20, s5
	v_add_co_u32_e32 v15, vcc, s4, v8
	v_addc_co_u32_e32 v16, vcc, v9, v20, vcc
	v_add_co_u32_e32 v17, vcc, s4, v15
	v_addc_co_u32_e32 v18, vcc, v16, v20, vcc
	;; [unrolled: 2-line block ×3, first 2 shown]
	global_load_dwordx2 v[21:22], v[8:9], off
	global_load_dwordx2 v[23:24], v[15:16], off
	;; [unrolled: 1-line block ×4, first 2 shown]
	s_mov_b64 s[4:5], 0
	s_waitcnt vmcnt(2)
	ds_write2st64_b64 v13, v[21:22], v[23:24] offset1:4
	s_waitcnt vmcnt(0)
	ds_write2st64_b64 v13, v[25:26], v[27:28] offset0:8 offset1:12
.LBB91_23:
	s_andn2_b64 vcc, exec, s[4:5]
	v_add_u32_e32 v15, v14, v0
	s_cbranch_vccnz .LBB91_33
; %bb.24:
	s_mov_b32 s4, 0
	s_mov_b32 s5, s4
	v_mov_b32_e32 v17, s5
	v_cmp_gt_i32_e32 vcc, s35, v0
	v_mov_b32_e32 v16, s4
	s_nor_b64 s[4:5], s[2:3], vcc
	ds_write2st64_b64 v13, v[16:17], v[16:17] offset1:4
	ds_write2st64_b64 v13, v[16:17], v[16:17] offset0:8 offset1:12
	s_and_saveexec_b64 s[2:3], s[4:5]
; %bb.25:
	v_mov_b32_e32 v16, 0
	v_mov_b32_e32 v17, v16
	ds_write_b64 v12, v[16:17] offset:12288
; %bb.26:
	s_or_b64 exec, exec, s[2:3]
	s_and_saveexec_b64 s[2:3], vcc
	s_cbranch_execz .LBB91_32
; %bb.27:
	s_cmp_lt_u32 s35, 8
	s_mov_b32 s20, 0
	s_cbranch_scc1 .LBB91_30
; %bb.28:
	s_lshr_b32 s20, s35, 3
	s_add_u32 s4, s18, s8
	s_addc_u32 s5, s19, s9
	s_add_u32 s4, s14, s4
	s_addc_u32 s5, s15, s5
	v_mov_b32_e32 v17, s5
	v_add_co_u32_e32 v10, vcc, s4, v10
	v_addc_co_u32_e32 v11, vcc, v17, v11, vcc
	v_add_co_u32_e32 v10, vcc, v10, v12
	v_addc_co_u32_e32 v11, vcc, 0, v11, vcc
	v_mov_b32_e32 v17, s13
	v_add_co_u32_e32 v10, vcc, s12, v10
	s_lshl_b64 s[4:5], s[16:17], 6
	v_lshl_add_u32 v16, v14, 3, v12
	v_addc_co_u32_e32 v11, vcc, v17, v11, vcc
	v_mov_b32_e32 v17, s5
	s_mov_b32 s5, s20
.LBB91_29:                              ; =>This Inner Loop Header: Depth=1
	global_load_dwordx2 v[18:19], v[10:11], off
	s_add_i32 s5, s5, -1
	v_add_co_u32_e32 v10, vcc, s4, v10
	v_addc_co_u32_e32 v11, vcc, v11, v17, vcc
	s_cmp_lg_u32 s5, 0
	s_waitcnt vmcnt(0)
	ds_write_b64 v16, v[18:19]
	v_add_u32_e32 v16, 0x800, v16
	s_cbranch_scc1 .LBB91_29
.LBB91_30:
	s_and_b32 s4, s35, 7
	v_cmp_gt_u32_e32 vcc, s4, v1
	s_and_b64 exec, exec, vcc
	s_cbranch_execz .LBB91_32
; %bb.31:
	s_lshl_b32 s4, s20, 3
	s_mul_i32 s5, s17, s4
	s_mul_hi_u32 s8, s16, s4
	s_add_i32 s5, s8, s5
	s_mul_i32 s4, s16, s4
	s_lshl_b64 s[4:5], s[4:5], 3
	v_mov_b32_e32 v10, s5
	v_add_co_u32_e32 v8, vcc, s4, v8
	v_addc_co_u32_e32 v9, vcc, v9, v10, vcc
	global_load_dwordx2 v[8:9], v[8:9], off
	v_lshlrev_b32_e32 v10, 3, v15
	v_lshl_add_u32 v10, s20, 11, v10
	s_waitcnt vmcnt(0)
	ds_write_b64 v10, v[8:9]
.LBB91_32:
	s_or_b64 exec, exec, s[2:3]
.LBB91_33:
	v_sub_u32_e32 v8, v0, v1
	v_sub_u32_e32 v9, 0, v8
	s_movk_i32 s2, 0xf8
	v_max_i32_e32 v9, v8, v9
	v_mad_u32_u24 v8, v0, s2, v12
	v_cmp_lt_u32_e32 vcc, 16, v9
	v_lshl_add_u32 v8, v1, 3, v8
	s_waitcnt vmcnt(0) lgkmcnt(0)
	s_barrier
	s_and_saveexec_b64 s[2:3], vcc
	s_cbranch_execnz .LBB91_43
; %bb.34:
	s_or_b64 exec, exec, s[2:3]
	v_cmp_lt_u32_e32 vcc, 24, v9
	s_and_saveexec_b64 s[2:3], vcc
	s_cbranch_execnz .LBB91_44
.LBB91_35:
	s_or_b64 exec, exec, s[2:3]
	v_cmp_ge_u32_e32 vcc, v0, v1
	s_and_saveexec_b64 s[2:3], vcc
	s_cbranch_execz .LBB91_37
.LBB91_36:
	ds_read_b64 v[10:11], v8
	v_lshl_add_u32 v14, v14, 3, v12
	s_waitcnt lgkmcnt(0)
	ds_write_b64 v14, v[10:11]
.LBB91_37:
	s_or_b64 exec, exec, s[2:3]
	v_cmp_lt_u32_e32 vcc, 8, v9
	v_mov_b32_e32 v9, 0x800
	v_lshl_add_u32 v9, v1, 8, v9
	v_add_u32_e32 v9, v12, v9
	s_and_saveexec_b64 s[2:3], vcc
	s_cbranch_execz .LBB91_39
; %bb.38:
	ds_read_b64 v[10:11], v8 offset:64
	s_waitcnt lgkmcnt(0)
	ds_write_b64 v9, v[10:11]
.LBB91_39:
	s_or_b64 exec, exec, s[2:3]
	v_lshlrev_b32_e32 v8, 3, v1
	v_add_u32_e32 v20, 0x3000, v8
	s_waitcnt lgkmcnt(0)
	s_barrier
	ds_read2_b64 v[16:19], v20 offset1:8
	ds_read_b64 v[10:11], v13
	ds_read_b64 v[8:9], v9
	v_lshl_add_u32 v1, v1, 8, v12
	s_waitcnt lgkmcnt(1)
	v_fma_f64 v[10:11], v[10:11], v[16:17], 0
	s_waitcnt lgkmcnt(0)
	v_fma_f64 v[13:14], v[8:9], v[18:19], v[10:11]
	ds_read2st64_b64 v[8:11], v1 offset0:8 offset1:12
	ds_read2_b64 v[16:19], v20 offset0:16 offset1:24
	v_lshlrev_b32_e32 v1, 3, v15
	s_waitcnt lgkmcnt(0)
	v_fma_f64 v[8:9], v[8:9], v[16:17], v[13:14]
	v_fma_f64 v[8:9], v[10:11], v[18:19], v[8:9]
	ds_write_b64 v1, v[8:9] offset:8192
	s_waitcnt lgkmcnt(0)
	s_barrier
	s_and_saveexec_b64 s[2:3], s[0:1]
	s_cbranch_execz .LBB91_42
; %bb.40:
	s_cmp_lt_u32 s6, s7
	v_cmp_gt_i32_e32 vcc, s35, v0
	s_cselect_b64 s[0:1], -1, 0
	s_or_b64 s[0:1], vcc, s[0:1]
	s_and_b64 exec, exec, s[0:1]
	s_cbranch_execz .LBB91_42
; %bb.41:
	v_add_u32_e32 v1, 0x2000, v12
	ds_read2_b64 v[8:11], v1 offset1:32
	v_cmp_neq_f64_e32 vcc, 0, v[2:3]
	s_waitcnt lgkmcnt(0)
	v_add_f64 v[8:9], v[8:9], 0
	v_add_f64 v[12:13], v[8:9], v[10:11]
	ds_read2_b64 v[8:11], v1 offset0:64 offset1:96
	s_waitcnt lgkmcnt(0)
	v_add_f64 v[8:9], v[12:13], v[8:9]
	v_add_f64 v[12:13], v[8:9], v[10:11]
	ds_read2_b64 v[8:11], v1 offset0:128 offset1:160
	;; [unrolled: 4-line block ×3, first 2 shown]
	s_waitcnt lgkmcnt(0)
	v_add_f64 v[8:9], v[12:13], v[8:9]
	v_add_f64 v[8:9], v[8:9], v[10:11]
	v_mad_u64_u32 v[10:11], s[0:1], s10, v0, 0
	v_mov_b32_e32 v1, v11
	v_mad_u64_u32 v[0:1], s[0:1], s11, v0, v[1:2]
	v_mul_f64 v[12:13], v[4:5], v[8:9]
	v_fma_f64 v[4:5], v[4:5], v[8:9], v[6:7]
	v_mov_b32_e32 v11, v0
	v_lshlrev_b64 v[0:1], 3, v[10:11]
	v_mov_b32_e32 v6, s34
	v_cndmask_b32_e32 v3, v13, v5, vcc
	v_cndmask_b32_e32 v2, v12, v4, vcc
	v_add_co_u32_e32 v0, vcc, s33, v0
	v_addc_co_u32_e32 v1, vcc, v6, v1, vcc
	global_store_dwordx2 v[0:1], v[2:3], off
.LBB91_42:
	s_endpgm
.LBB91_43:
	ds_read_b64 v[10:11], v8 offset:128
	s_waitcnt lgkmcnt(0)
	ds_write_b64 v13, v[10:11] offset:4096
	s_or_b64 exec, exec, s[2:3]
	v_cmp_lt_u32_e32 vcc, 24, v9
	s_and_saveexec_b64 s[2:3], vcc
	s_cbranch_execz .LBB91_35
.LBB91_44:
	ds_read_b64 v[10:11], v8 offset:192
	s_waitcnt lgkmcnt(0)
	ds_write_b64 v13, v[10:11] offset:6144
	s_or_b64 exec, exec, s[2:3]
	v_cmp_ge_u32_e32 vcc, v0, v1
	s_and_saveexec_b64 s[2:3], vcc
	s_cbranch_execnz .LBB91_36
	s_branch .LBB91_37
	.section	.rodata,"a",@progbits
	.p2align	6, 0x0
	.amdhsa_kernel _ZL58rocblas_symv_kernel_upper_double_buffered_diagonal_genericILi32ELi8E24rocblas_internal_val_ptrIdEPKdPdEvbiT1_lT2_lllS6_lllS5_lT3_lllii
		.amdhsa_group_segment_fixed_size 12544
		.amdhsa_private_segment_fixed_size 0
		.amdhsa_kernarg_size 400
		.amdhsa_user_sgpr_count 6
		.amdhsa_user_sgpr_private_segment_buffer 1
		.amdhsa_user_sgpr_dispatch_ptr 0
		.amdhsa_user_sgpr_queue_ptr 0
		.amdhsa_user_sgpr_kernarg_segment_ptr 1
		.amdhsa_user_sgpr_dispatch_id 0
		.amdhsa_user_sgpr_flat_scratch_init 0
		.amdhsa_user_sgpr_private_segment_size 0
		.amdhsa_uses_dynamic_stack 0
		.amdhsa_system_sgpr_private_segment_wavefront_offset 0
		.amdhsa_system_sgpr_workgroup_id_x 1
		.amdhsa_system_sgpr_workgroup_id_y 0
		.amdhsa_system_sgpr_workgroup_id_z 1
		.amdhsa_system_sgpr_workgroup_info 0
		.amdhsa_system_vgpr_workitem_id 1
		.amdhsa_next_free_vgpr 41
		.amdhsa_next_free_sgpr 98
		.amdhsa_reserve_vcc 1
		.amdhsa_reserve_flat_scratch 0
		.amdhsa_float_round_mode_32 0
		.amdhsa_float_round_mode_16_64 0
		.amdhsa_float_denorm_mode_32 3
		.amdhsa_float_denorm_mode_16_64 3
		.amdhsa_dx10_clamp 1
		.amdhsa_ieee_mode 1
		.amdhsa_fp16_overflow 0
		.amdhsa_exception_fp_ieee_invalid_op 0
		.amdhsa_exception_fp_denorm_src 0
		.amdhsa_exception_fp_ieee_div_zero 0
		.amdhsa_exception_fp_ieee_overflow 0
		.amdhsa_exception_fp_ieee_underflow 0
		.amdhsa_exception_fp_ieee_inexact 0
		.amdhsa_exception_int_div_zero 0
	.end_amdhsa_kernel
	.section	.text._ZL58rocblas_symv_kernel_upper_double_buffered_diagonal_genericILi32ELi8E24rocblas_internal_val_ptrIdEPKdPdEvbiT1_lT2_lllS6_lllS5_lT3_lllii,"axG",@progbits,_ZL58rocblas_symv_kernel_upper_double_buffered_diagonal_genericILi32ELi8E24rocblas_internal_val_ptrIdEPKdPdEvbiT1_lT2_lllS6_lllS5_lT3_lllii,comdat
.Lfunc_end91:
	.size	_ZL58rocblas_symv_kernel_upper_double_buffered_diagonal_genericILi32ELi8E24rocblas_internal_val_ptrIdEPKdPdEvbiT1_lT2_lllS6_lllS5_lT3_lllii, .Lfunc_end91-_ZL58rocblas_symv_kernel_upper_double_buffered_diagonal_genericILi32ELi8E24rocblas_internal_val_ptrIdEPKdPdEvbiT1_lT2_lllS6_lllS5_lT3_lllii
                                        ; -- End function
	.set _ZL58rocblas_symv_kernel_upper_double_buffered_diagonal_genericILi32ELi8E24rocblas_internal_val_ptrIdEPKdPdEvbiT1_lT2_lllS6_lllS5_lT3_lllii.num_vgpr, 29
	.set _ZL58rocblas_symv_kernel_upper_double_buffered_diagonal_genericILi32ELi8E24rocblas_internal_val_ptrIdEPKdPdEvbiT1_lT2_lllS6_lllS5_lT3_lllii.num_agpr, 0
	.set _ZL58rocblas_symv_kernel_upper_double_buffered_diagonal_genericILi32ELi8E24rocblas_internal_val_ptrIdEPKdPdEvbiT1_lT2_lllS6_lllS5_lT3_lllii.numbered_sgpr, 40
	.set _ZL58rocblas_symv_kernel_upper_double_buffered_diagonal_genericILi32ELi8E24rocblas_internal_val_ptrIdEPKdPdEvbiT1_lT2_lllS6_lllS5_lT3_lllii.num_named_barrier, 0
	.set _ZL58rocblas_symv_kernel_upper_double_buffered_diagonal_genericILi32ELi8E24rocblas_internal_val_ptrIdEPKdPdEvbiT1_lT2_lllS6_lllS5_lT3_lllii.private_seg_size, 0
	.set _ZL58rocblas_symv_kernel_upper_double_buffered_diagonal_genericILi32ELi8E24rocblas_internal_val_ptrIdEPKdPdEvbiT1_lT2_lllS6_lllS5_lT3_lllii.uses_vcc, 1
	.set _ZL58rocblas_symv_kernel_upper_double_buffered_diagonal_genericILi32ELi8E24rocblas_internal_val_ptrIdEPKdPdEvbiT1_lT2_lllS6_lllS5_lT3_lllii.uses_flat_scratch, 0
	.set _ZL58rocblas_symv_kernel_upper_double_buffered_diagonal_genericILi32ELi8E24rocblas_internal_val_ptrIdEPKdPdEvbiT1_lT2_lllS6_lllS5_lT3_lllii.has_dyn_sized_stack, 0
	.set _ZL58rocblas_symv_kernel_upper_double_buffered_diagonal_genericILi32ELi8E24rocblas_internal_val_ptrIdEPKdPdEvbiT1_lT2_lllS6_lllS5_lT3_lllii.has_recursion, 0
	.set _ZL58rocblas_symv_kernel_upper_double_buffered_diagonal_genericILi32ELi8E24rocblas_internal_val_ptrIdEPKdPdEvbiT1_lT2_lllS6_lllS5_lT3_lllii.has_indirect_call, 0
	.section	.AMDGPU.csdata,"",@progbits
; Kernel info:
; codeLenInByte = 2004
; TotalNumSgprs: 44
; NumVgprs: 29
; ScratchSize: 0
; MemoryBound: 0
; FloatMode: 240
; IeeeMode: 1
; LDSByteSize: 12544 bytes/workgroup (compile time only)
; SGPRBlocks: 12
; VGPRBlocks: 10
; NumSGPRsForWavesPerEU: 102
; NumVGPRsForWavesPerEU: 41
; Occupancy: 5
; WaveLimiterHint : 0
; COMPUTE_PGM_RSRC2:SCRATCH_EN: 0
; COMPUTE_PGM_RSRC2:USER_SGPR: 6
; COMPUTE_PGM_RSRC2:TRAP_HANDLER: 0
; COMPUTE_PGM_RSRC2:TGID_X_EN: 1
; COMPUTE_PGM_RSRC2:TGID_Y_EN: 0
; COMPUTE_PGM_RSRC2:TGID_Z_EN: 1
; COMPUTE_PGM_RSRC2:TIDIG_COMP_CNT: 1
	.section	.text._ZL62rocblas_symv_kernel_upper_double_buffered_non_diagonal_genericILi32ELi8ELi2ELi0E24rocblas_internal_val_ptrIdEPKdPdEvbiT3_lT4_lllS6_lllT5_lllii,"axG",@progbits,_ZL62rocblas_symv_kernel_upper_double_buffered_non_diagonal_genericILi32ELi8ELi2ELi0E24rocblas_internal_val_ptrIdEPKdPdEvbiT3_lT4_lllS6_lllT5_lllii,comdat
	.globl	_ZL62rocblas_symv_kernel_upper_double_buffered_non_diagonal_genericILi32ELi8ELi2ELi0E24rocblas_internal_val_ptrIdEPKdPdEvbiT3_lT4_lllS6_lllT5_lllii ; -- Begin function _ZL62rocblas_symv_kernel_upper_double_buffered_non_diagonal_genericILi32ELi8ELi2ELi0E24rocblas_internal_val_ptrIdEPKdPdEvbiT3_lT4_lllS6_lllT5_lllii
	.p2align	8
	.type	_ZL62rocblas_symv_kernel_upper_double_buffered_non_diagonal_genericILi32ELi8ELi2ELi0E24rocblas_internal_val_ptrIdEPKdPdEvbiT3_lT4_lllS6_lllT5_lllii,@function
_ZL62rocblas_symv_kernel_upper_double_buffered_non_diagonal_genericILi32ELi8ELi2ELi0E24rocblas_internal_val_ptrIdEPKdPdEvbiT3_lT4_lllS6_lllT5_lllii: ; @_ZL62rocblas_symv_kernel_upper_double_buffered_non_diagonal_genericILi32ELi8ELi2ELi0E24rocblas_internal_val_ptrIdEPKdPdEvbiT3_lT4_lllS6_lllT5_lllii
; %bb.0:
	s_load_dword s0, s[4:5], 0x0
	s_load_dwordx16 s[12:27], s[4:5], 0x8
	s_waitcnt lgkmcnt(0)
	s_bitcmp1_b32 s0, 0
	s_cselect_b64 s[0:1], -1, 0
	v_mov_b32_e32 v14, s13
	s_and_b64 vcc, exec, s[0:1]
	v_mov_b32_e32 v13, s12
	s_cbranch_vccnz .LBB92_2
; %bb.1:
	s_mul_i32 s0, s15, s8
	s_mul_hi_u32 s1, s14, s8
	s_add_i32 s1, s1, s0
	s_mul_i32 s0, s14, s8
	s_lshl_b64 s[0:1], s[0:1], 3
	s_add_u32 s0, s12, s0
	s_addc_u32 s1, s13, s1
	v_mov_b32_e32 v3, s1
	v_mov_b32_e32 v2, s0
	flat_load_dwordx2 v[13:14], v[2:3]
.LBB92_2:
	s_waitcnt vmcnt(0) lgkmcnt(0)
	v_cmp_neq_f64_e32 vcc, 0, v[13:14]
	s_and_saveexec_b64 s[0:1], vcc
	s_cbranch_execz .LBB92_46
; %bb.3:
	s_load_dword s2, s[4:5], 0x84
	s_add_u32 s0, s4, 0x80
	s_addc_u32 s1, s5, 0
	s_cmp_eq_u32 s6, 0
	s_waitcnt lgkmcnt(0)
	v_cvt_f32_u32_e32 v2, s2
	v_rcp_iflag_f32_e32 v2, v2
	v_mul_f32_e32 v2, 0x4f7ffffe, v2
	v_cvt_u32_f32_e32 v2, v2
	v_readfirstlane_b32 s3, v2
	s_cbranch_scc1 .LBB92_46
; %bb.4:
	s_sub_i32 s9, 0, s2
	s_mul_i32 s9, s9, s3
	s_mul_hi_u32 s9, s3, s9
	s_add_i32 s3, s3, s9
	s_mul_hi_u32 s3, s6, s3
	s_mul_i32 s9, s3, s2
	s_sub_i32 s9, s6, s9
	s_add_i32 s10, s3, 1
	s_sub_i32 s11, s9, s2
	s_cmp_ge_u32 s9, s2
	s_cselect_b32 s3, s10, s3
	s_cselect_b32 s9, s11, s9
	s_add_i32 s10, s3, 1
	s_cmp_ge_u32 s9, s2
	s_cselect_b32 s14, s10, s3
	s_add_i32 s3, s2, -1
	s_cmp_lg_u32 s7, s3
	s_mov_b32 s34, s14
	s_cbranch_scc1 .LBB92_6
; %bb.5:
	s_mul_i32 s2, s14, s2
	s_sub_i32 s2, s6, s2
	s_add_i32 s34, s2, s14
.LBB92_6:
	s_cmp_eq_u32 s34, 0
	s_cbranch_scc1 .LBB92_46
; %bb.7:
	s_load_dwordx4 s[28:31], s[4:5], 0x48
	s_load_dword s33, s[4:5], 0x78
	v_lshl_add_u32 v2, v1, 5, v0
	v_and_b32_e32 v15, 15, v0
	v_lshrrev_b32_e32 v5, 4, v2
	s_waitcnt lgkmcnt(0)
	s_mul_i32 s3, s31, s8
	s_mul_hi_u32 s9, s30, s8
	s_mul_i32 s2, s30, s8
	s_add_i32 s3, s9, s3
	s_lshl_b64 s[2:3], s[2:3], 3
	s_add_u32 s9, s24, s2
	s_addc_u32 s10, s25, s3
	s_lshl_b64 s[2:3], s[26:27], 3
	s_add_u32 s9, s9, s2
	s_addc_u32 s31, s10, s3
	s_lshl_b32 s26, s6, 5
	s_ashr_i32 s27, s26, 31
	s_mul_i32 s2, s28, s27
	s_mul_hi_u32 s3, s28, s26
	s_load_dword s30, s[0:1], 0x0
	s_add_i32 s2, s3, s2
	s_mul_i32 s3, s29, s26
	s_add_i32 s3, s2, s3
	s_mul_i32 s2, s28, s26
	s_lshl_b64 s[0:1], s[2:3], 3
	s_add_u32 s15, s9, s0
	s_addc_u32 s35, s31, s1
	s_waitcnt lgkmcnt(0)
	s_add_i32 s30, s30, -1
	s_cmp_lg_u32 s6, s30
	s_cselect_b64 s[2:3], -1, 0
	v_cmp_eq_u32_e64 s[0:1], 0, v1
	s_mov_b64 s[10:11], -1
	s_and_b64 vcc, exec, s[2:3]
	s_cbranch_vccnz .LBB92_13
; %bb.8:
	s_and_saveexec_b64 s[10:11], s[0:1]
	s_cbranch_execz .LBB92_12
; %bb.9:
	v_mov_b32_e32 v1, 0
	v_mov_b32_e32 v2, 0
	v_cmp_gt_i32_e32 vcc, s33, v0
	s_and_saveexec_b64 s[12:13], vcc
	s_cbranch_execz .LBB92_11
; %bb.10:
	v_mad_u64_u32 v[1:2], s[24:25], s28, v0, 0
	v_mad_u64_u32 v[2:3], s[24:25], s29, v0, v[2:3]
	v_mov_b32_e32 v3, s35
	v_lshlrev_b64 v[1:2], 3, v[1:2]
	v_add_co_u32_e32 v1, vcc, s15, v1
	v_addc_co_u32_e32 v2, vcc, v3, v2, vcc
	global_load_dwordx2 v[1:2], v[1:2], off
.LBB92_11:
	s_or_b64 exec, exec, s[12:13]
	v_lshlrev_b32_e32 v3, 3, v0
	s_waitcnt vmcnt(0)
	ds_write_b64 v3, v[1:2] offset:8192
.LBB92_12:
	s_or_b64 exec, exec, s[10:11]
	v_lshlrev_b32_e32 v1, 3, v15
	s_mov_b32 s10, 0
	v_lshl_or_b32 v3, v5, 8, v1
	s_mov_b32 s11, s10
	v_mov_b32_e32 v1, s10
	v_mov_b32_e32 v2, s11
	ds_write2_b64 v3, v[1:2], v[1:2] offset1:16
	v_add_u32_e32 v3, 0x1000, v3
	s_mov_b64 s[10:11], 0
	ds_write2_b64 v3, v[1:2], v[1:2] offset1:16
.LBB92_13:
	s_load_dwordx2 s[24:25], s[4:5], 0x58
	s_and_b64 vcc, exec, s[10:11]
	s_cbranch_vccz .LBB92_17
; %bb.14:
	s_and_saveexec_b64 s[10:11], s[0:1]
	s_cbranch_execz .LBB92_16
; %bb.15:
	v_mad_u64_u32 v[1:2], s[12:13], s28, v0, 0
	v_mad_u64_u32 v[2:3], s[12:13], s29, v0, v[2:3]
	v_mov_b32_e32 v3, s35
	v_lshlrev_b64 v[1:2], 3, v[1:2]
	v_add_co_u32_e32 v1, vcc, s15, v1
	v_addc_co_u32_e32 v2, vcc, v3, v2, vcc
	global_load_dwordx2 v[1:2], v[1:2], off
	v_lshlrev_b32_e32 v3, 3, v0
	s_waitcnt vmcnt(0)
	ds_write_b64 v3, v[1:2] offset:8192
.LBB92_16:
	s_or_b64 exec, exec, s[10:11]
.LBB92_17:
	s_lshr_b32 s10, s33, 31
	s_add_i32 s10, s33, s10
	s_ashr_i32 s15, s10, 1
	s_mul_i32 s10, s23, s8
	s_mul_hi_u32 s11, s22, s8
	s_add_i32 s11, s11, s10
	s_mul_i32 s10, s22, s8
	s_lshl_b64 s[10:11], s[10:11], 3
	s_add_u32 s12, s16, s10
	s_addc_u32 s13, s17, s11
	s_lshl_b64 s[10:11], s[18:19], 3
	s_add_u32 s12, s12, s10
	s_addc_u32 s13, s13, s11
	s_mul_i32 s10, s20, s27
	s_mul_hi_u32 s11, s20, s26
	s_add_i32 s10, s11, s10
	s_mul_i32 s11, s21, s26
	s_add_i32 s11, s10, s11
	s_mul_i32 s10, s20, s26
	s_lshl_b64 s[10:11], s[10:11], 3
	s_add_u32 s16, s12, s10
	v_lshlrev_b32_e32 v7, 1, v5
	v_mov_b32_e32 v16, 0
	s_addc_u32 s17, s13, s11
	s_mul_i32 s7, s7, s14
	v_mad_u64_u32 v[8:9], s[12:13], s20, v7, v[15:16]
	s_lshl_b32 s10, s7, 5
	s_ashr_i32 s11, s10, 31
	s_lshl_b64 s[12:13], s[10:11], 3
	s_add_u32 s19, s16, s12
	v_mov_b32_e32 v1, v9
	s_addc_u32 s22, s17, s13
	v_mad_u64_u32 v[1:2], s[12:13], s21, v7, v[1:2]
	v_cmp_gt_i32_e32 vcc, s15, v5
	s_or_b64 s[2:3], s[2:3], vcc
	v_mov_b32_e32 v9, v1
	v_lshlrev_b64 v[17:18], 3, v[8:9]
	v_mov_b32_e32 v1, v16
	v_mov_b32_e32 v2, v16
	;; [unrolled: 1-line block ×4, first 2 shown]
	s_waitcnt lgkmcnt(0)
	s_barrier
	s_and_saveexec_b64 s[12:13], s[2:3]
	s_cbranch_execz .LBB92_19
; %bb.18:
	v_mov_b32_e32 v1, s22
	v_add_co_u32_e32 v8, vcc, s19, v17
	v_addc_co_u32_e32 v9, vcc, v1, v18, vcc
	s_lshl_b64 s[14:15], s[20:21], 3
	v_mov_b32_e32 v1, s15
	v_add_co_u32_e32 v10, vcc, s14, v8
	v_addc_co_u32_e32 v11, vcc, v9, v1, vcc
	global_load_dwordx2 v[1:2], v[8:9], off
	global_load_dwordx2 v[3:4], v[10:11], off
.LBB92_19:
	s_or_b64 exec, exec, s[12:13]
	s_load_dwordx2 s[16:17], s[4:5], 0x70
	s_load_dwordx4 s[12:15], s[4:5], 0x60
	v_lshlrev_b32_e32 v45, 8, v5
	s_waitcnt lgkmcnt(0)
	s_mul_i32 s5, s17, s8
	s_mul_hi_u32 s7, s16, s8
	s_mul_i32 s4, s16, s8
	s_add_i32 s5, s7, s5
	s_lshl_b64 s[4:5], s[4:5], 3
	s_add_u32 s7, s24, s4
	s_addc_u32 s8, s25, s5
	s_lshl_b64 s[4:5], s[12:13], 3
	s_add_u32 s7, s7, s4
	s_addc_u32 s18, s8, s5
	s_cmp_gt_i32 s34, 0
	s_cbranch_scc1 .LBB92_21
; %bb.20:
	v_lshlrev_b32_e32 v8, 8, v5
	s_mov_b64 s[4:5], 0
	s_branch .LBB92_22
.LBB92_21:
	s_mov_b64 s[4:5], -1
                                        ; implicit-def: $vgpr8
.LBB92_22:
	v_mov_b32_e32 v5, 0
	v_mov_b32_e32 v11, 0
	;; [unrolled: 1-line block ×3, first 2 shown]
	s_andn2_b64 vcc, exec, s[4:5]
	v_mov_b32_e32 v12, 0
	s_cbranch_vccnz .LBB92_42
; %bb.23:
	v_mad_u64_u32 v[5:6], s[4:5], s28, v15, 0
	s_mul_i32 s8, s28, s11
	v_lshlrev_b32_e32 v12, 3, v15
	v_mad_u64_u32 v[8:9], s[4:5], s29, v15, v[6:7]
	s_mul_hi_u32 s4, s28, s10
	s_mul_i32 s5, s29, s10
	s_add_i32 s4, s4, s8
	s_add_i32 s5, s4, s5
	s_mul_i32 s4, s28, s10
	v_mov_b32_e32 v6, v8
	s_lshl_b64 s[4:5], s[4:5], 3
	s_add_u32 s23, s9, s4
	v_lshlrev_b64 v[31:32], 3, v[5:6]
	s_addc_u32 s24, s31, s5
	v_mov_b32_e32 v6, s24
	v_add_co_u32_e32 v5, vcc, s23, v31
	v_addc_co_u32_e32 v6, vcc, v6, v32, vcc
	global_load_dwordx2 v[35:36], v[5:6], off
	v_or_b32_e32 v8, 16, v15
	v_mad_u64_u32 v[5:6], s[8:9], s28, v8, 0
	s_mul_i32 s4, s14, s11
	s_mul_hi_u32 s5, s14, s10
	v_mad_u64_u32 v[8:9], s[8:9], s29, v8, v[6:7]
	v_mad_u64_u32 v[9:10], s[8:9], s14, v0, 0
	s_add_i32 s4, s5, s4
	s_mul_i32 s5, s15, s10
	s_add_i32 s5, s4, s5
	s_mul_i32 s4, s14, s10
	s_lshl_b64 s[4:5], s[4:5], 3
	s_add_u32 s10, s7, s4
	v_mov_b32_e32 v6, v8
	v_mov_b32_e32 v8, v10
	s_addc_u32 s11, s18, s5
	v_mad_u64_u32 v[10:11], s[4:5], s15, v0, v[8:9]
	v_mov_b32_e32 v8, 0x2000
	v_mov_b32_e32 v21, 0
	v_lshlrev_b64 v[33:34], 3, v[5:6]
	v_lshlrev_b64 v[19:20], 3, v[9:10]
	v_lshl_add_u32 v47, v7, 3, v8
	v_lshlrev_b32_e32 v16, 3, v0
	v_mov_b32_e32 v22, 0
	s_cmp_eq_u32 s34, 1
	v_add_u32_e32 v46, v12, v45
	s_cbranch_scc1 .LBB92_35
; %bb.24:
	v_mov_b32_e32 v27, 0
	v_mov_b32_e32 v24, s11
	;; [unrolled: 1-line block ×5, first 2 shown]
	s_lshl_b64 s[4:5], s[28:29], 8
	s_lshl_b64 s[8:9], s[14:15], 8
	s_add_i32 s25, s34, -2
	v_mov_b32_e32 v28, 0
	s_mov_b32 s28, 0
	v_mov_b32_e32 v23, s10
	s_lshl_b64 s[10:11], s[20:21], 3
	v_mov_b32_e32 v30, 0
	v_mov_b32_e32 v26, 0
	;; [unrolled: 1-line block ×3, first 2 shown]
	v_add_u32_e32 v48, 0x800, v16
.LBB92_25:                              ; =>This Loop Header: Depth=1
                                        ;     Child Loop BB92_31 Depth 2
	v_mov_b32_e32 v6, s24
	v_add_co_u32_e32 v5, vcc, s23, v33
	v_addc_co_u32_e32 v6, vcc, v6, v34, vcc
	global_load_dwordx2 v[39:40], v[5:6], off
	s_and_saveexec_b64 s[12:13], s[2:3]
	s_cbranch_execz .LBB92_27
; %bb.26:                               ;   in Loop: Header=BB92_25 Depth=1
	v_mov_b32_e32 v6, s22
	v_add_co_u32_e32 v5, vcc, s19, v17
	v_addc_co_u32_e32 v6, vcc, v6, v18, vcc
	v_mov_b32_e32 v8, s11
	v_add_co_u32_e32 v7, vcc, s10, v5
	v_addc_co_u32_e32 v8, vcc, v6, v8, vcc
	global_load_dwordx2 v[25:26], v[5:6], off offset:128
	global_load_dwordx2 v[21:22], v[7:8], off offset:128
.LBB92_27:                              ;   in Loop: Header=BB92_25 Depth=1
	s_or_b64 exec, exec, s[12:13]
	ds_read_b128 v[9:12], v47
	s_waitcnt vmcnt(2)
	v_mov_b32_e32 v8, v4
	v_mov_b32_e32 v7, v3
	;; [unrolled: 1-line block ×4, first 2 shown]
	s_and_saveexec_b64 s[12:13], s[2:3]
	s_cbranch_execz .LBB92_29
; %bb.28:                               ;   in Loop: Header=BB92_25 Depth=1
	v_mov_b32_e32 v5, s22
	v_add_co_u32_e32 v37, vcc, s19, v17
	v_addc_co_u32_e32 v38, vcc, v5, v18, vcc
	v_mov_b32_e32 v5, s11
	v_add_co_u32_e32 v41, vcc, s10, v37
	v_addc_co_u32_e32 v42, vcc, v38, v5, vcc
	global_load_dwordx2 v[5:6], v[37:38], off offset:256
	global_load_dwordx2 v[7:8], v[41:42], off offset:256
.LBB92_29:                              ;   in Loop: Header=BB92_25 Depth=1
	s_or_b64 exec, exec, s[12:13]
	s_add_u32 s23, s23, s4
	s_addc_u32 s24, s24, s5
	v_mov_b32_e32 v38, s24
	v_add_co_u32_e32 v37, vcc, s23, v31
	v_addc_co_u32_e32 v38, vcc, v38, v32, vcc
	global_load_dwordx2 v[37:38], v[37:38], off
	s_waitcnt lgkmcnt(0)
	v_fma_f64 v[41:42], v[1:2], v[9:10], 0
	s_waitcnt vmcnt(2)
	v_fma_f64 v[9:10], v[25:26], v[9:10], 0
	s_waitcnt vmcnt(0)
	s_barrier
	v_fma_f64 v[41:42], v[3:4], v[11:12], v[41:42]
	v_fma_f64 v[9:10], v[21:22], v[11:12], v[9:10]
	ds_write2_b64 v46, v[41:42], v[9:10] offset1:16
	s_waitcnt lgkmcnt(0)
	s_barrier
	s_and_saveexec_b64 s[12:13], s[0:1]
	s_cbranch_execz .LBB92_33
; %bb.30:                               ;   in Loop: Header=BB92_25 Depth=1
	ds_read2_b64 v[9:12], v16 offset1:32
	ds_read2_b64 v[49:52], v48 offset1:32
	s_mov_b64 s[16:17], 0
	s_waitcnt lgkmcnt(1)
	v_add_f64 v[9:10], v[9:10], 0
	v_add_f64 v[41:42], v[9:10], v[11:12]
	ds_read2_b64 v[9:12], v16 offset0:64 offset1:96
	s_waitcnt lgkmcnt(0)
	v_add_f64 v[9:10], v[41:42], v[9:10]
	v_add_f64 v[41:42], v[9:10], v[11:12]
	ds_read2_b64 v[9:12], v16 offset0:128 offset1:160
	;; [unrolled: 4-line block ×3, first 2 shown]
	s_waitcnt lgkmcnt(0)
	v_add_f64 v[9:10], v[41:42], v[9:10]
	v_add_co_u32_e32 v41, vcc, v23, v19
	v_addc_co_u32_e32 v42, vcc, v24, v20, vcc
	v_add_f64 v[9:10], v[9:10], v[11:12]
	global_load_dwordx2 v[11:12], v[41:42], off
	v_add_f64 v[9:10], v[9:10], v[49:50]
	v_add_f64 v[9:10], v[9:10], v[51:52]
	ds_read2_b64 v[49:52], v48 offset0:64 offset1:96
	s_waitcnt lgkmcnt(0)
	v_add_f64 v[9:10], v[9:10], v[49:50]
	v_add_f64 v[9:10], v[9:10], v[51:52]
	ds_read2_b64 v[49:52], v48 offset0:128 offset1:160
	s_waitcnt lgkmcnt(0)
	;; [unrolled: 4-line block ×3, first 2 shown]
	v_add_f64 v[9:10], v[9:10], v[49:50]
	v_add_f64 v[9:10], v[9:10], v[51:52]
	v_mul_f64 v[43:44], v[13:14], v[9:10]
.LBB92_31:                              ;   Parent Loop BB92_25 Depth=1
                                        ; =>  This Inner Loop Header: Depth=2
	s_waitcnt vmcnt(0)
	v_add_f64 v[9:10], v[11:12], v[43:44]
	global_atomic_cmpswap_x2 v[9:10], v[41:42], v[9:12], off glc
	s_waitcnt vmcnt(0)
	v_cmp_eq_u64_e32 vcc, v[9:10], v[11:12]
	v_mov_b32_e32 v12, v10
	s_or_b64 s[16:17], vcc, s[16:17]
	v_mov_b32_e32 v11, v9
	s_andn2_b64 exec, exec, s[16:17]
	s_cbranch_execnz .LBB92_31
; %bb.32:                               ;   in Loop: Header=BB92_25 Depth=1
	s_or_b64 exec, exec, s[16:17]
	v_mov_b32_e32 v9, s9
	v_add_co_u32_e32 v23, vcc, s8, v23
	v_addc_co_u32_e32 v24, vcc, v24, v9, vcc
.LBB92_33:                              ;   in Loop: Header=BB92_25 Depth=1
	s_or_b64 exec, exec, s[12:13]
	v_fma_f64 v[1:2], v[35:36], v[1:2], v[27:28]
	v_fma_f64 v[3:4], v[35:36], v[3:4], v[29:30]
	s_add_u32 s19, s19, 0x100
	s_addc_u32 s22, s22, 0
	s_add_i32 s12, s28, 1
	s_cmp_eq_u32 s28, s25
	v_fma_f64 v[27:28], v[39:40], v[25:26], v[1:2]
	v_fma_f64 v[29:30], v[39:40], v[21:22], v[3:4]
	s_cbranch_scc1 .LBB92_36
; %bb.34:                               ;   in Loop: Header=BB92_25 Depth=1
	v_mov_b32_e32 v35, v37
	v_mov_b32_e32 v1, v5
	s_mov_b32 s28, s12
	v_mov_b32_e32 v36, v38
	v_mov_b32_e32 v2, v6
	;; [unrolled: 1-line block ×4, first 2 shown]
	s_branch .LBB92_25
.LBB92_35:
	v_mov_b32_e32 v24, s11
	v_mov_b32_e32 v25, 0
	;; [unrolled: 1-line block ×4, first 2 shown]
	s_waitcnt vmcnt(1)
	v_mov_b32_e32 v8, v4
	s_waitcnt vmcnt(0)
	v_mov_b32_e32 v38, v36
	v_mov_b32_e32 v23, s10
	;; [unrolled: 1-line block ×9, first 2 shown]
.LBB92_36:
	v_mov_b32_e32 v2, s24
	v_add_co_u32_e32 v1, vcc, s23, v33
	v_addc_co_u32_e32 v2, vcc, v2, v34, vcc
	global_load_dwordx2 v[9:10], v[1:2], off
	s_and_saveexec_b64 s[4:5], s[2:3]
	s_cbranch_execz .LBB92_38
; %bb.37:
	v_mov_b32_e32 v2, s22
	v_add_co_u32_e32 v1, vcc, s19, v17
	v_addc_co_u32_e32 v2, vcc, v2, v18, vcc
	s_lshl_b64 s[2:3], s[20:21], 3
	v_mov_b32_e32 v4, s3
	v_add_co_u32_e32 v3, vcc, s2, v1
	v_addc_co_u32_e32 v4, vcc, v2, v4, vcc
	global_load_dwordx2 v[25:26], v[1:2], off offset:128
	global_load_dwordx2 v[21:22], v[3:4], off offset:128
.LBB92_38:
	s_or_b64 exec, exec, s[4:5]
	ds_read_b128 v[1:4], v47
	s_mov_b64 s[2:3], 0
	s_waitcnt vmcnt(0) lgkmcnt(0)
	s_barrier
	v_fma_f64 v[11:12], v[5:6], v[1:2], 0
	v_fma_f64 v[1:2], v[25:26], v[1:2], 0
	;; [unrolled: 1-line block ×6, first 2 shown]
	ds_write2_b64 v46, v[11:12], v[1:2] offset1:16
	s_waitcnt lgkmcnt(0)
	s_barrier
	s_and_saveexec_b64 s[4:5], s[0:1]
	s_cbranch_execz .LBB92_41
; %bb.39:
	ds_read2_b64 v[1:4], v16 offset1:32
	s_waitcnt lgkmcnt(0)
	v_add_f64 v[1:2], v[1:2], 0
	v_add_f64 v[11:12], v[1:2], v[3:4]
	ds_read2_b64 v[1:4], v16 offset0:64 offset1:96
	s_waitcnt lgkmcnt(0)
	v_add_f64 v[1:2], v[11:12], v[1:2]
	v_add_f64 v[11:12], v[1:2], v[3:4]
	ds_read2_b64 v[1:4], v16 offset0:128 offset1:160
	;; [unrolled: 4-line block ×3, first 2 shown]
	s_waitcnt lgkmcnt(0)
	v_add_f64 v[1:2], v[11:12], v[1:2]
	v_add_co_u32_e32 v11, vcc, v23, v19
	v_addc_co_u32_e32 v12, vcc, v24, v20, vcc
	v_add_u32_e32 v20, 0x800, v16
	ds_read2_b64 v[16:19], v20 offset1:32
	v_add_f64 v[1:2], v[1:2], v[3:4]
	global_load_dwordx2 v[3:4], v[11:12], off
	s_waitcnt lgkmcnt(0)
	v_add_f64 v[1:2], v[1:2], v[16:17]
	v_add_f64 v[1:2], v[1:2], v[18:19]
	ds_read2_b64 v[16:19], v20 offset0:64 offset1:96
	s_waitcnt lgkmcnt(0)
	v_add_f64 v[1:2], v[1:2], v[16:17]
	v_add_f64 v[1:2], v[1:2], v[18:19]
	ds_read2_b64 v[16:19], v20 offset0:128 offset1:160
	;; [unrolled: 4-line block ×3, first 2 shown]
	s_waitcnt lgkmcnt(0)
	v_add_f64 v[1:2], v[1:2], v[16:17]
	v_add_f64 v[1:2], v[1:2], v[18:19]
	v_mul_f64 v[16:17], v[13:14], v[1:2]
.LBB92_40:                              ; =>This Inner Loop Header: Depth=1
	s_waitcnt vmcnt(0)
	v_add_f64 v[1:2], v[3:4], v[16:17]
	global_atomic_cmpswap_x2 v[1:2], v[11:12], v[1:4], off glc
	s_waitcnt vmcnt(0)
	v_cmp_eq_u64_e32 vcc, v[1:2], v[3:4]
	v_mov_b32_e32 v4, v2
	s_or_b64 s[2:3], vcc, s[2:3]
	v_mov_b32_e32 v3, v1
	s_andn2_b64 exec, exec, s[2:3]
	s_cbranch_execnz .LBB92_40
.LBB92_41:
	s_or_b64 exec, exec, s[4:5]
	v_fma_f64 v[11:12], v[9:10], v[25:26], v[5:6]
	v_fma_f64 v[5:6], v[9:10], v[21:22], v[7:8]
	v_mov_b32_e32 v8, v45
.LBB92_42:
	s_waitcnt vmcnt(1)
	v_lshl_add_u32 v1, v15, 3, v8
	v_add_u32_e32 v1, 0x1000, v1
	ds_write2_b64 v1, v[11:12], v[5:6] offset1:16
	s_waitcnt vmcnt(0) lgkmcnt(0)
	s_barrier
	s_and_b64 exec, exec, s[0:1]
	s_cbranch_execz .LBB92_46
; %bb.43:
	s_cmp_lt_u32 s6, s30
	v_cmp_gt_i32_e32 vcc, s33, v0
	s_cselect_b64 s[0:1], -1, 0
	s_or_b64 s[0:1], vcc, s[0:1]
	s_and_b64 exec, exec, s[0:1]
	s_cbranch_execz .LBB92_46
; %bb.44:
	v_mov_b32_e32 v1, 0x1000
	v_lshl_add_u32 v12, v0, 7, v1
	v_lshl_or_b32 v1, v15, 3, v12
	ds_read_b64 v[1:2], v1
	v_add_u32_e32 v4, 2, v0
	v_and_b32_e32 v4, 15, v4
	v_add_u32_e32 v3, 1, v0
	v_lshl_or_b32 v5, v4, 3, v12
	s_waitcnt lgkmcnt(0)
	v_add_f64 v[1:2], v[1:2], 0
	v_add_u32_e32 v4, 3, v0
	v_and_b32_e32 v3, 15, v3
	v_and_b32_e32 v4, 15, v4
	v_lshl_or_b32 v3, v3, 3, v12
	v_lshl_or_b32 v7, v4, 3, v12
	ds_read_b64 v[3:4], v3
	ds_read_b64 v[5:6], v5
	;; [unrolled: 1-line block ×3, first 2 shown]
	v_xor_b32_e32 v11, 8, v15
	v_add_u32_e32 v15, 9, v0
	s_waitcnt lgkmcnt(2)
	v_add_f64 v[1:2], v[1:2], v[3:4]
	v_add_u32_e32 v3, 4, v0
	v_add_u32_e32 v4, 5, v0
	v_and_b32_e32 v3, 15, v3
	v_and_b32_e32 v4, 15, v4
	v_lshl_or_b32 v3, v3, 3, v12
	v_add_u32_e32 v16, 10, v0
	v_and_b32_e32 v15, 15, v15
	s_waitcnt lgkmcnt(1)
	v_add_f64 v[1:2], v[1:2], v[5:6]
	v_add_u32_e32 v5, 6, v0
	v_add_u32_e32 v6, 7, v0
	v_and_b32_e32 v5, 15, v5
	v_and_b32_e32 v6, 15, v6
	v_lshl_or_b32 v9, v6, 3, v12
	s_mul_i32 s1, s14, s27
	s_mul_hi_u32 s4, s14, s26
	s_waitcnt lgkmcnt(0)
	v_add_f64 v[1:2], v[1:2], v[7:8]
	v_lshl_or_b32 v7, v4, 3, v12
	ds_read_b64 v[3:4], v3
	v_lshl_or_b32 v8, v5, 3, v12
	ds_read_b64 v[5:6], v7
	ds_read_b64 v[7:8], v8
	;; [unrolled: 1-line block ×3, first 2 shown]
	s_mul_i32 s5, s15, s26
	s_add_i32 s1, s4, s1
	s_mul_i32 s0, s14, s26
	s_waitcnt lgkmcnt(3)
	v_add_f64 v[1:2], v[1:2], v[3:4]
	v_mad_u64_u32 v[3:4], s[2:3], s14, v0, 0
	s_add_i32 s1, s1, s5
	s_lshl_b64 s[0:1], s[0:1], 3
	s_add_u32 s0, s7, s0
	s_addc_u32 s1, s18, s1
	s_waitcnt lgkmcnt(2)
	v_add_f64 v[1:2], v[1:2], v[5:6]
	v_and_b32_e32 v5, 15, v16
	v_lshl_or_b32 v6, v11, 3, v12
	v_lshl_or_b32 v11, v15, 3, v12
	;; [unrolled: 1-line block ×3, first 2 shown]
	v_mad_u64_u32 v[4:5], s[2:3], s15, v0, v[4:5]
	s_waitcnt lgkmcnt(1)
	v_add_f64 v[1:2], v[1:2], v[7:8]
	v_lshlrev_b64 v[4:5], 3, v[3:4]
	ds_read_b64 v[6:7], v6
	v_add_co_u32_e32 v4, vcc, s0, v4
	s_waitcnt lgkmcnt(1)
	v_add_f64 v[8:9], v[1:2], v[9:10]
	v_mov_b32_e32 v1, s1
	v_addc_co_u32_e32 v5, vcc, v1, v5, vcc
	global_load_dwordx2 v[2:3], v[4:5], off
	v_add_u32_e32 v1, 11, v0
	v_and_b32_e32 v1, 15, v1
	v_lshl_or_b32 v1, v1, 3, v12
	s_waitcnt lgkmcnt(0)
	v_add_f64 v[6:7], v[8:9], v[6:7]
	ds_read_b64 v[10:11], v11
	ds_read_b64 v[15:16], v15
	;; [unrolled: 1-line block ×3, first 2 shown]
	v_add_u32_e32 v1, 12, v0
	v_add_u32_e32 v8, 13, v0
	v_and_b32_e32 v1, 15, v1
	v_and_b32_e32 v8, 15, v8
	v_lshl_or_b32 v1, v1, 3, v12
	s_mov_b64 s[0:1], 0
	s_waitcnt lgkmcnt(2)
	v_add_f64 v[6:7], v[6:7], v[10:11]
	v_lshl_or_b32 v11, v8, 3, v12
	ds_read_b64 v[8:9], v1
	v_add_u32_e32 v10, 14, v0
	v_and_b32_e32 v1, 15, v10
	v_add_u32_e32 v0, -1, v0
	v_lshl_or_b32 v10, v1, 3, v12
	v_and_b32_e32 v0, 15, v0
	s_waitcnt lgkmcnt(2)
	v_add_f64 v[6:7], v[6:7], v[15:16]
	v_lshl_or_b32 v12, v0, 3, v12
	ds_read_b64 v[0:1], v11
	ds_read_b64 v[10:11], v10
	;; [unrolled: 1-line block ×3, first 2 shown]
	s_waitcnt lgkmcnt(4)
	v_add_f64 v[6:7], v[6:7], v[17:18]
	s_waitcnt lgkmcnt(3)
	v_add_f64 v[6:7], v[6:7], v[8:9]
	;; [unrolled: 2-line block ×5, first 2 shown]
	v_mul_f64 v[6:7], v[13:14], v[0:1]
.LBB92_45:                              ; =>This Inner Loop Header: Depth=1
	s_waitcnt vmcnt(0)
	v_add_f64 v[0:1], v[2:3], v[6:7]
	global_atomic_cmpswap_x2 v[0:1], v[4:5], v[0:3], off glc
	s_waitcnt vmcnt(0)
	v_cmp_eq_u64_e32 vcc, v[0:1], v[2:3]
	v_mov_b32_e32 v3, v1
	s_or_b64 s[0:1], vcc, s[0:1]
	v_mov_b32_e32 v2, v0
	s_andn2_b64 exec, exec, s[0:1]
	s_cbranch_execnz .LBB92_45
.LBB92_46:
	s_endpgm
	.section	.rodata,"a",@progbits
	.p2align	6, 0x0
	.amdhsa_kernel _ZL62rocblas_symv_kernel_upper_double_buffered_non_diagonal_genericILi32ELi8ELi2ELi0E24rocblas_internal_val_ptrIdEPKdPdEvbiT3_lT4_lllS6_lllT5_lllii
		.amdhsa_group_segment_fixed_size 8448
		.amdhsa_private_segment_fixed_size 0
		.amdhsa_kernarg_size 384
		.amdhsa_user_sgpr_count 6
		.amdhsa_user_sgpr_private_segment_buffer 1
		.amdhsa_user_sgpr_dispatch_ptr 0
		.amdhsa_user_sgpr_queue_ptr 0
		.amdhsa_user_sgpr_kernarg_segment_ptr 1
		.amdhsa_user_sgpr_dispatch_id 0
		.amdhsa_user_sgpr_flat_scratch_init 0
		.amdhsa_user_sgpr_private_segment_size 0
		.amdhsa_uses_dynamic_stack 0
		.amdhsa_system_sgpr_private_segment_wavefront_offset 0
		.amdhsa_system_sgpr_workgroup_id_x 1
		.amdhsa_system_sgpr_workgroup_id_y 1
		.amdhsa_system_sgpr_workgroup_id_z 1
		.amdhsa_system_sgpr_workgroup_info 0
		.amdhsa_system_vgpr_workitem_id 1
		.amdhsa_next_free_vgpr 53
		.amdhsa_next_free_sgpr 77
		.amdhsa_reserve_vcc 1
		.amdhsa_reserve_flat_scratch 0
		.amdhsa_float_round_mode_32 0
		.amdhsa_float_round_mode_16_64 0
		.amdhsa_float_denorm_mode_32 3
		.amdhsa_float_denorm_mode_16_64 3
		.amdhsa_dx10_clamp 1
		.amdhsa_ieee_mode 1
		.amdhsa_fp16_overflow 0
		.amdhsa_exception_fp_ieee_invalid_op 0
		.amdhsa_exception_fp_denorm_src 0
		.amdhsa_exception_fp_ieee_div_zero 0
		.amdhsa_exception_fp_ieee_overflow 0
		.amdhsa_exception_fp_ieee_underflow 0
		.amdhsa_exception_fp_ieee_inexact 0
		.amdhsa_exception_int_div_zero 0
	.end_amdhsa_kernel
	.section	.text._ZL62rocblas_symv_kernel_upper_double_buffered_non_diagonal_genericILi32ELi8ELi2ELi0E24rocblas_internal_val_ptrIdEPKdPdEvbiT3_lT4_lllS6_lllT5_lllii,"axG",@progbits,_ZL62rocblas_symv_kernel_upper_double_buffered_non_diagonal_genericILi32ELi8ELi2ELi0E24rocblas_internal_val_ptrIdEPKdPdEvbiT3_lT4_lllS6_lllT5_lllii,comdat
.Lfunc_end92:
	.size	_ZL62rocblas_symv_kernel_upper_double_buffered_non_diagonal_genericILi32ELi8ELi2ELi0E24rocblas_internal_val_ptrIdEPKdPdEvbiT3_lT4_lllS6_lllT5_lllii, .Lfunc_end92-_ZL62rocblas_symv_kernel_upper_double_buffered_non_diagonal_genericILi32ELi8ELi2ELi0E24rocblas_internal_val_ptrIdEPKdPdEvbiT3_lT4_lllS6_lllT5_lllii
                                        ; -- End function
	.set _ZL62rocblas_symv_kernel_upper_double_buffered_non_diagonal_genericILi32ELi8ELi2ELi0E24rocblas_internal_val_ptrIdEPKdPdEvbiT3_lT4_lllS6_lllT5_lllii.num_vgpr, 53
	.set _ZL62rocblas_symv_kernel_upper_double_buffered_non_diagonal_genericILi32ELi8ELi2ELi0E24rocblas_internal_val_ptrIdEPKdPdEvbiT3_lT4_lllS6_lllT5_lllii.num_agpr, 0
	.set _ZL62rocblas_symv_kernel_upper_double_buffered_non_diagonal_genericILi32ELi8ELi2ELi0E24rocblas_internal_val_ptrIdEPKdPdEvbiT3_lT4_lllS6_lllT5_lllii.numbered_sgpr, 36
	.set _ZL62rocblas_symv_kernel_upper_double_buffered_non_diagonal_genericILi32ELi8ELi2ELi0E24rocblas_internal_val_ptrIdEPKdPdEvbiT3_lT4_lllS6_lllT5_lllii.num_named_barrier, 0
	.set _ZL62rocblas_symv_kernel_upper_double_buffered_non_diagonal_genericILi32ELi8ELi2ELi0E24rocblas_internal_val_ptrIdEPKdPdEvbiT3_lT4_lllS6_lllT5_lllii.private_seg_size, 0
	.set _ZL62rocblas_symv_kernel_upper_double_buffered_non_diagonal_genericILi32ELi8ELi2ELi0E24rocblas_internal_val_ptrIdEPKdPdEvbiT3_lT4_lllS6_lllT5_lllii.uses_vcc, 1
	.set _ZL62rocblas_symv_kernel_upper_double_buffered_non_diagonal_genericILi32ELi8ELi2ELi0E24rocblas_internal_val_ptrIdEPKdPdEvbiT3_lT4_lllS6_lllT5_lllii.uses_flat_scratch, 0
	.set _ZL62rocblas_symv_kernel_upper_double_buffered_non_diagonal_genericILi32ELi8ELi2ELi0E24rocblas_internal_val_ptrIdEPKdPdEvbiT3_lT4_lllS6_lllT5_lllii.has_dyn_sized_stack, 0
	.set _ZL62rocblas_symv_kernel_upper_double_buffered_non_diagonal_genericILi32ELi8ELi2ELi0E24rocblas_internal_val_ptrIdEPKdPdEvbiT3_lT4_lllS6_lllT5_lllii.has_recursion, 0
	.set _ZL62rocblas_symv_kernel_upper_double_buffered_non_diagonal_genericILi32ELi8ELi2ELi0E24rocblas_internal_val_ptrIdEPKdPdEvbiT3_lT4_lllS6_lllT5_lllii.has_indirect_call, 0
	.section	.AMDGPU.csdata,"",@progbits
; Kernel info:
; codeLenInByte = 3312
; TotalNumSgprs: 40
; NumVgprs: 53
; ScratchSize: 0
; MemoryBound: 1
; FloatMode: 240
; IeeeMode: 1
; LDSByteSize: 8448 bytes/workgroup (compile time only)
; SGPRBlocks: 10
; VGPRBlocks: 13
; NumSGPRsForWavesPerEU: 81
; NumVGPRsForWavesPerEU: 53
; Occupancy: 4
; WaveLimiterHint : 0
; COMPUTE_PGM_RSRC2:SCRATCH_EN: 0
; COMPUTE_PGM_RSRC2:USER_SGPR: 6
; COMPUTE_PGM_RSRC2:TRAP_HANDLER: 0
; COMPUTE_PGM_RSRC2:TGID_X_EN: 1
; COMPUTE_PGM_RSRC2:TGID_Y_EN: 1
; COMPUTE_PGM_RSRC2:TGID_Z_EN: 1
; COMPUTE_PGM_RSRC2:TIDIG_COMP_CNT: 1
	.section	.text._ZL62rocblas_symv_kernel_upper_double_buffered_non_diagonal_genericILi32ELi8ELi2ELi1E24rocblas_internal_val_ptrIdEPKdPdEvbiT3_lT4_lllS6_lllT5_lllii,"axG",@progbits,_ZL62rocblas_symv_kernel_upper_double_buffered_non_diagonal_genericILi32ELi8ELi2ELi1E24rocblas_internal_val_ptrIdEPKdPdEvbiT3_lT4_lllS6_lllT5_lllii,comdat
	.globl	_ZL62rocblas_symv_kernel_upper_double_buffered_non_diagonal_genericILi32ELi8ELi2ELi1E24rocblas_internal_val_ptrIdEPKdPdEvbiT3_lT4_lllS6_lllT5_lllii ; -- Begin function _ZL62rocblas_symv_kernel_upper_double_buffered_non_diagonal_genericILi32ELi8ELi2ELi1E24rocblas_internal_val_ptrIdEPKdPdEvbiT3_lT4_lllS6_lllT5_lllii
	.p2align	8
	.type	_ZL62rocblas_symv_kernel_upper_double_buffered_non_diagonal_genericILi32ELi8ELi2ELi1E24rocblas_internal_val_ptrIdEPKdPdEvbiT3_lT4_lllS6_lllT5_lllii,@function
_ZL62rocblas_symv_kernel_upper_double_buffered_non_diagonal_genericILi32ELi8ELi2ELi1E24rocblas_internal_val_ptrIdEPKdPdEvbiT3_lT4_lllS6_lllT5_lllii: ; @_ZL62rocblas_symv_kernel_upper_double_buffered_non_diagonal_genericILi32ELi8ELi2ELi1E24rocblas_internal_val_ptrIdEPKdPdEvbiT3_lT4_lllS6_lllT5_lllii
; %bb.0:
	s_load_dword s0, s[4:5], 0x0
	s_load_dwordx16 s[12:27], s[4:5], 0x8
	s_waitcnt lgkmcnt(0)
	s_bitcmp1_b32 s0, 0
	s_cselect_b64 s[0:1], -1, 0
	v_mov_b32_e32 v14, s13
	s_and_b64 vcc, exec, s[0:1]
	v_mov_b32_e32 v13, s12
	s_cbranch_vccnz .LBB93_2
; %bb.1:
	s_mul_i32 s0, s15, s8
	s_mul_hi_u32 s1, s14, s8
	s_add_i32 s1, s1, s0
	s_mul_i32 s0, s14, s8
	s_lshl_b64 s[0:1], s[0:1], 3
	s_add_u32 s0, s12, s0
	s_addc_u32 s1, s13, s1
	v_mov_b32_e32 v3, s1
	v_mov_b32_e32 v2, s0
	flat_load_dwordx2 v[13:14], v[2:3]
.LBB93_2:
	s_waitcnt vmcnt(0) lgkmcnt(0)
	v_cmp_neq_f64_e32 vcc, 0, v[13:14]
	s_and_saveexec_b64 s[0:1], vcc
	s_cbranch_execz .LBB93_78
; %bb.3:
	s_load_dword s2, s[4:5], 0x84
	s_add_u32 s0, s4, 0x80
	s_addc_u32 s1, s5, 0
	s_cmp_eq_u32 s6, 0
	s_waitcnt lgkmcnt(0)
	v_cvt_f32_u32_e32 v2, s2
	v_rcp_iflag_f32_e32 v2, v2
	v_mul_f32_e32 v2, 0x4f7ffffe, v2
	v_cvt_u32_f32_e32 v2, v2
	v_readfirstlane_b32 s3, v2
	s_cbranch_scc1 .LBB93_78
; %bb.4:
	s_sub_i32 s9, 0, s2
	s_mul_i32 s9, s9, s3
	s_mul_hi_u32 s9, s3, s9
	s_add_i32 s3, s3, s9
	s_mul_hi_u32 s3, s6, s3
	s_mul_i32 s9, s3, s2
	s_sub_i32 s9, s6, s9
	s_add_i32 s10, s3, 1
	s_sub_i32 s11, s9, s2
	s_cmp_ge_u32 s9, s2
	s_cselect_b32 s3, s10, s3
	s_cselect_b32 s9, s11, s9
	s_add_i32 s10, s3, 1
	s_cmp_ge_u32 s9, s2
	s_cselect_b32 s14, s10, s3
	s_add_i32 s3, s2, -1
	s_cmp_lg_u32 s7, s3
	s_mov_b32 s36, s14
	s_cbranch_scc1 .LBB93_6
; %bb.5:
	s_mul_i32 s2, s14, s2
	s_sub_i32 s2, s6, s2
	s_add_i32 s36, s2, s14
.LBB93_6:
	s_cmp_eq_u32 s36, 0
	s_cbranch_scc1 .LBB93_78
; %bb.7:
	s_load_dwordx4 s[28:31], s[4:5], 0x48
	v_lshl_add_u32 v2, v1, 5, v0
	s_waitcnt lgkmcnt(0)
	s_mul_i32 s3, s31, s8
	s_mul_hi_u32 s9, s30, s8
	s_mul_i32 s2, s30, s8
	s_add_i32 s3, s9, s3
	s_lshl_b64 s[2:3], s[2:3], 3
	s_add_u32 s9, s24, s2
	s_addc_u32 s10, s25, s3
	s_lshl_b64 s[2:3], s[26:27], 3
	s_add_u32 s9, s9, s2
	s_addc_u32 s35, s10, s3
	s_lshl_b32 s26, s6, 5
	s_ashr_i32 s27, s26, 31
	s_mul_i32 s2, s28, s27
	s_mul_hi_u32 s3, s28, s26
	s_load_dword s30, s[0:1], 0x0
	s_add_i32 s2, s3, s2
	s_mul_i32 s3, s29, s26
	s_add_i32 s3, s2, s3
	s_mul_i32 s2, s28, s26
	s_lshl_b64 s[0:1], s[2:3], 3
	s_add_u32 s15, s9, s0
	s_addc_u32 s24, s35, s1
	s_waitcnt lgkmcnt(0)
	s_add_i32 s30, s30, -1
	s_cmp_lg_u32 s6, s30
	s_cselect_b64 s[10:11], -1, 0
	v_cmp_eq_u32_e64 s[0:1], 0, v1
	s_mov_b64 s[2:3], -1
	s_and_b64 vcc, exec, s[10:11]
	s_cbranch_vccz .LBB93_11
; %bb.8:
	s_and_saveexec_b64 s[2:3], s[0:1]
	s_cbranch_execz .LBB93_10
; %bb.9:
	v_mad_u64_u32 v[3:4], s[12:13], s28, v0, 0
	v_mov_b32_e32 v1, v4
	v_mad_u64_u32 v[4:5], s[12:13], s29, v0, v[1:2]
	v_mov_b32_e32 v1, s24
	v_lshlrev_b64 v[3:4], 3, v[3:4]
	v_add_co_u32_e32 v3, vcc, s15, v3
	v_addc_co_u32_e32 v4, vcc, v1, v4, vcc
	global_load_dwordx2 v[3:4], v[3:4], off
	v_lshlrev_b32_e32 v1, 3, v0
	s_waitcnt vmcnt(0)
	ds_write_b64 v1, v[3:4] offset:8192
.LBB93_10:
	s_or_b64 exec, exec, s[2:3]
	s_mov_b64 s[2:3], 0
.LBB93_11:
	s_load_dword s31, s[4:5], 0x78
	v_and_b32_e32 v15, 15, v0
	s_andn2_b64 vcc, exec, s[2:3]
	v_lshrrev_b32_e32 v7, 4, v2
	s_cbranch_vccnz .LBB93_17
; %bb.12:
	s_and_saveexec_b64 s[2:3], s[0:1]
	s_cbranch_execz .LBB93_16
; %bb.13:
	v_mov_b32_e32 v1, 0
	v_mov_b32_e32 v2, 0
	s_waitcnt lgkmcnt(0)
	v_cmp_gt_i32_e32 vcc, s31, v0
	s_and_saveexec_b64 s[12:13], vcc
	s_cbranch_execz .LBB93_15
; %bb.14:
	v_mad_u64_u32 v[1:2], s[38:39], s28, v0, 0
	v_mad_u64_u32 v[2:3], s[38:39], s29, v0, v[2:3]
	v_mov_b32_e32 v3, s24
	v_lshlrev_b64 v[1:2], 3, v[1:2]
	v_add_co_u32_e32 v1, vcc, s15, v1
	v_addc_co_u32_e32 v2, vcc, v3, v2, vcc
	global_load_dwordx2 v[1:2], v[1:2], off
.LBB93_15:
	s_or_b64 exec, exec, s[12:13]
	v_lshlrev_b32_e32 v3, 3, v0
	s_waitcnt vmcnt(0)
	ds_write_b64 v3, v[1:2] offset:8192
.LBB93_16:
	s_or_b64 exec, exec, s[2:3]
	v_lshlrev_b32_e32 v1, 3, v15
	s_mov_b32 s2, 0
	v_lshl_or_b32 v3, v7, 8, v1
	s_mov_b32 s3, s2
	v_mov_b32_e32 v1, s2
	v_mov_b32_e32 v2, s3
	ds_write2_b64 v3, v[1:2], v[1:2] offset1:16
	v_add_u32_e32 v3, 0x1000, v3
	ds_write2_b64 v3, v[1:2], v[1:2] offset1:16
.LBB93_17:
	s_waitcnt lgkmcnt(0)
	s_lshr_b32 s2, s31, 31
	s_add_i32 s2, s31, s2
	s_ashr_i32 s37, s2, 1
	s_mul_i32 s2, s23, s8
	s_mul_hi_u32 s3, s22, s8
	s_add_i32 s3, s3, s2
	s_mul_i32 s2, s22, s8
	s_lshl_b64 s[2:3], s[2:3], 3
	s_add_u32 s12, s16, s2
	s_addc_u32 s13, s17, s3
	s_lshl_b64 s[2:3], s[18:19], 3
	s_add_u32 s12, s12, s2
	s_addc_u32 s13, s13, s3
	s_mul_i32 s2, s20, s27
	s_mul_hi_u32 s3, s20, s26
	s_add_i32 s2, s3, s2
	s_mul_i32 s3, s21, s26
	s_add_i32 s3, s2, s3
	s_mul_i32 s2, s20, s26
	s_lshl_b64 s[2:3], s[2:3], 3
	s_add_u32 s12, s12, s2
	s_mul_i32 s7, s7, s14
	s_addc_u32 s13, s13, s3
	s_lshl_b32 s16, s7, 5
	s_ashr_i32 s17, s16, 31
	s_lshl_b64 s[2:3], s[16:17], 3
	s_add_u32 s33, s12, s2
	v_lshlrev_b32_e32 v8, 1, v7
	v_mov_b32_e32 v16, 0
	s_addc_u32 s34, s13, s3
	v_mad_u64_u32 v[16:17], s[2:3], s20, v8, v[15:16]
	s_load_dwordx2 s[24:25], s[4:5], 0x58
	s_andn2_b64 vcc, exec, s[10:11]
	v_mov_b32_e32 v1, v17
	v_mad_u64_u32 v[1:2], s[2:3], s21, v8, v[1:2]
	v_cndmask_b32_e64 v2, 0, 1, s[10:11]
	v_cmp_ne_u32_e64 s[2:3], 1, v2
	v_mov_b32_e32 v17, v1
	s_waitcnt lgkmcnt(0)
	s_barrier
	s_cbranch_vccnz .LBB93_19
; %bb.18:
	v_lshlrev_b64 v[1:2], 3, v[16:17]
	v_mov_b32_e32 v3, s34
	v_add_co_u32_e32 v5, vcc, s33, v1
	v_addc_co_u32_e32 v6, vcc, v3, v2, vcc
	s_lshl_b64 s[10:11], s[20:21], 3
	v_mov_b32_e32 v1, s11
	v_add_co_u32_e32 v9, vcc, s10, v5
	v_addc_co_u32_e32 v10, vcc, v6, v1, vcc
	global_load_dwordx2 v[1:2], v[5:6], off
	global_load_dwordx2 v[3:4], v[9:10], off
	v_cmp_le_i32_e64 s[10:11], s37, v7
	s_cbranch_execz .LBB93_20
	s_branch .LBB93_27
.LBB93_19:
                                        ; implicit-def: $vgpr1_vgpr2_vgpr3_vgpr4
	v_cmp_le_i32_e64 s[10:11], s37, v7
.LBB93_20:
                                        ; implicit-def: $vgpr1_vgpr2_vgpr3_vgpr4
	s_and_saveexec_b64 s[12:13], s[10:11]
	s_xor_b64 s[10:11], exec, s[12:13]
	s_cbranch_execz .LBB93_24
; %bb.21:
	s_waitcnt vmcnt(1)
	v_mov_b32_e32 v1, 0
	v_cmp_eq_u32_e32 vcc, s37, v7
	v_mov_b32_e32 v2, v1
	s_waitcnt vmcnt(0)
	v_mov_b32_e32 v3, v1
	v_mov_b32_e32 v4, v1
	s_and_saveexec_b64 s[12:13], vcc
	s_cbranch_execz .LBB93_23
; %bb.22:
	v_lshlrev_b64 v[2:3], 3, v[16:17]
	v_mov_b32_e32 v4, s34
	v_add_co_u32_e32 v2, vcc, s33, v2
	v_addc_co_u32_e32 v3, vcc, v4, v3, vcc
	global_load_dwordx2 v[2:3], v[2:3], off
	v_mov_b32_e32 v4, v1
	v_mov_b32_e32 v5, v1
	s_waitcnt vmcnt(0)
	v_mov_b32_e32 v1, v2
	v_mov_b32_e32 v2, v3
	;; [unrolled: 1-line block ×4, first 2 shown]
.LBB93_23:
	s_or_b64 exec, exec, s[12:13]
.LBB93_24:
	s_andn2_saveexec_b64 s[10:11], s[10:11]
	s_cbranch_execz .LBB93_26
; %bb.25:
	s_waitcnt vmcnt(1)
	v_lshlrev_b64 v[1:2], 3, v[16:17]
	s_waitcnt vmcnt(0)
	v_mov_b32_e32 v3, s34
	v_add_co_u32_e32 v5, vcc, s33, v1
	v_addc_co_u32_e32 v6, vcc, v3, v2, vcc
	s_lshl_b64 s[12:13], s[20:21], 3
	v_mov_b32_e32 v1, s13
	v_add_co_u32_e32 v9, vcc, s12, v5
	v_addc_co_u32_e32 v10, vcc, v6, v1, vcc
	global_load_dwordx2 v[1:2], v[5:6], off
	global_load_dwordx2 v[3:4], v[9:10], off
.LBB93_26:
	s_or_b64 exec, exec, s[10:11]
.LBB93_27:
	s_load_dwordx2 s[10:11], s[4:5], 0x70
	s_load_dwordx4 s[12:15], s[4:5], 0x60
	v_lshlrev_b32_e32 v46, 8, v7
	s_waitcnt lgkmcnt(0)
	s_mul_i32 s5, s11, s8
	s_mul_hi_u32 s7, s10, s8
	s_mul_i32 s4, s10, s8
	s_add_i32 s5, s7, s5
	s_lshl_b64 s[4:5], s[4:5], 3
	s_add_u32 s7, s24, s4
	s_addc_u32 s8, s25, s5
	s_lshl_b64 s[4:5], s[12:13], 3
	s_add_u32 s7, s7, s4
	s_addc_u32 s24, s8, s5
	s_cmp_gt_i32 s36, 0
	s_cbranch_scc1 .LBB93_29
; %bb.28:
	v_lshlrev_b32_e32 v9, 8, v7
	s_mov_b64 s[4:5], 0
	s_branch .LBB93_30
.LBB93_29:
	s_mov_b64 s[4:5], -1
                                        ; implicit-def: $vgpr9
.LBB93_30:
	v_mov_b32_e32 v5, 0
	v_mov_b32_e32 v11, 0
	v_mov_b32_e32 v6, 0
	s_andn2_b64 vcc, exec, s[4:5]
	v_mov_b32_e32 v12, 0
	s_cbranch_vccnz .LBB93_74
; %bb.31:
	v_mad_u64_u32 v[5:6], s[4:5], s28, v15, 0
	s_mul_i32 s8, s28, s17
	v_lshlrev_b32_e32 v22, 3, v15
	v_mad_u64_u32 v[9:10], s[4:5], s29, v15, v[6:7]
	s_mul_hi_u32 s4, s28, s16
	s_mul_i32 s5, s29, s16
	s_add_i32 s4, s4, s8
	s_add_i32 s5, s4, s5
	s_mul_i32 s4, s28, s16
	v_mov_b32_e32 v6, v9
	s_lshl_b64 s[4:5], s[4:5], 3
	s_add_u32 s25, s9, s4
	v_lshlrev_b64 v[26:27], 3, v[5:6]
	s_addc_u32 s35, s35, s5
	v_mov_b32_e32 v6, s35
	v_add_co_u32_e32 v5, vcc, s25, v26
	v_addc_co_u32_e32 v6, vcc, v6, v27, vcc
	global_load_dwordx2 v[30:31], v[5:6], off
	s_mul_i32 s4, s14, s17
	s_mul_hi_u32 s5, s14, s16
	v_or_b32_e32 v9, 16, v15
	s_add_i32 s4, s5, s4
	s_mul_i32 s5, s15, s16
	v_mad_u64_u32 v[5:6], s[8:9], s28, v9, 0
	s_add_i32 s5, s4, s5
	s_mul_i32 s4, s14, s16
	s_lshl_b64 s[4:5], s[4:5], 3
	s_add_u32 s16, s7, s4
	s_addc_u32 s17, s24, s5
	v_mad_u64_u32 v[9:10], s[4:5], s29, v9, v[6:7]
	v_mad_u64_u32 v[10:11], s[4:5], s14, v0, 0
	v_cmp_le_i32_e64 s[8:9], s37, v7
	v_cmp_eq_u32_e64 s[4:5], s37, v7
	v_mov_b32_e32 v7, v11
	v_mad_u64_u32 v[11:12], s[10:11], s15, v0, v[7:8]
	v_mov_b32_e32 v6, v9
	v_mov_b32_e32 v7, 0x2000
	;; [unrolled: 1-line block ×3, first 2 shown]
	v_lshlrev_b64 v[28:29], 3, v[5:6]
	v_lshlrev_b64 v[18:19], 3, v[10:11]
	v_lshl_add_u32 v49, v8, 3, v7
	v_lshlrev_b32_e32 v47, 3, v0
	v_mov_b32_e32 v33, 0
	s_cmp_eq_u32 s36, 1
	v_add_u32_e32 v48, v22, v46
	s_cbranch_scc1 .LBB93_59
; %bb.32:
	v_mov_b32_e32 v22, 0
	v_mov_b32_e32 v21, s17
	v_lshlrev_b64 v[36:37], 3, v[16:17]
	v_mov_b32_e32 v24, 0
	v_mov_b32_e32 v7, 0
	;; [unrolled: 1-line block ×3, first 2 shown]
	s_lshl_b64 s[10:11], s[28:29], 8
	s_lshl_b64 s[12:13], s[14:15], 8
	s_add_i32 s28, s36, -2
	v_mov_b32_e32 v23, 0
	s_mov_b32 s29, 0
	v_mov_b32_e32 v20, s16
	s_lshl_b64 s[16:17], s[20:21], 3
	v_mov_b32_e32 v25, 0
	v_mov_b32_e32 v8, 0
	;; [unrolled: 1-line block ×3, first 2 shown]
	v_add_u32_e32 v50, 0x800, v47
.LBB93_33:                              ; =>This Loop Header: Depth=1
                                        ;     Child Loop BB93_55 Depth 2
	v_mov_b32_e32 v10, s35
	v_add_co_u32_e32 v9, vcc, s25, v28
	v_addc_co_u32_e32 v10, vcc, v10, v29, vcc
	global_load_dwordx2 v[38:39], v[9:10], off
	s_and_b64 vcc, exec, s[2:3]
	s_mov_b64 s[18:19], -1
                                        ; implicit-def: $vgpr32_vgpr33
                                        ; implicit-def: $vgpr34_vgpr35
	s_cbranch_vccnz .LBB93_37
; %bb.34:                               ;   in Loop: Header=BB93_33 Depth=1
	v_mov_b32_e32 v10, s34
	v_add_co_u32_e32 v9, vcc, s33, v36
	v_addc_co_u32_e32 v10, vcc, v10, v37, vcc
	v_mov_b32_e32 v12, s17
	v_add_co_u32_e32 v11, vcc, s16, v9
	v_addc_co_u32_e32 v12, vcc, v10, v12, vcc
	global_load_dwordx2 v[34:35], v[9:10], off offset:128
	global_load_dwordx2 v[32:33], v[11:12], off offset:128
	s_cbranch_execz .LBB93_38
.LBB93_35:                              ;   in Loop: Header=BB93_33 Depth=1
	ds_read_b128 v[9:12], v49
	s_and_b64 vcc, exec, s[2:3]
	s_mov_b64 s[18:19], -1
                                        ; implicit-def: $vgpr5_vgpr6_vgpr7_vgpr8
	s_cbranch_vccnz .LBB93_45
.LBB93_36:                              ;   in Loop: Header=BB93_33 Depth=1
	v_mov_b32_e32 v5, s34
	v_add_co_u32_e32 v40, vcc, s33, v36
	v_addc_co_u32_e32 v41, vcc, v5, v37, vcc
	v_mov_b32_e32 v5, s17
	v_add_co_u32_e32 v42, vcc, s16, v40
	v_addc_co_u32_e32 v43, vcc, v41, v5, vcc
	global_load_dwordx2 v[5:6], v[40:41], off offset:256
	global_load_dwordx2 v[7:8], v[42:43], off offset:256
	s_cbranch_execnz .LBB93_53
	s_branch .LBB93_46
.LBB93_37:                              ;   in Loop: Header=BB93_33 Depth=1
	s_andn2_b64 vcc, exec, s[18:19]
	s_cbranch_vccnz .LBB93_35
.LBB93_38:                              ;   in Loop: Header=BB93_33 Depth=1
	s_and_saveexec_b64 s[18:19], s[8:9]
	s_xor_b64 s[18:19], exec, s[18:19]
	s_cbranch_execz .LBB93_42
; %bb.39:                               ;   in Loop: Header=BB93_33 Depth=1
	s_and_saveexec_b64 s[22:23], s[4:5]
	s_cbranch_execz .LBB93_41
; %bb.40:                               ;   in Loop: Header=BB93_33 Depth=1
	v_mov_b32_e32 v8, s34
	v_add_co_u32_e32 v7, vcc, s33, v36
	v_addc_co_u32_e32 v8, vcc, v8, v37, vcc
	global_load_dwordx2 v[7:8], v[7:8], off offset:128
.LBB93_41:                              ;   in Loop: Header=BB93_33 Depth=1
	s_or_b64 exec, exec, s[22:23]
.LBB93_42:                              ;   in Loop: Header=BB93_33 Depth=1
	s_andn2_saveexec_b64 s[18:19], s[18:19]
	s_cbranch_execz .LBB93_44
; %bb.43:                               ;   in Loop: Header=BB93_33 Depth=1
	v_mov_b32_e32 v5, s34
	v_add_co_u32_e32 v9, vcc, s33, v36
	v_addc_co_u32_e32 v10, vcc, v5, v37, vcc
	v_mov_b32_e32 v5, s17
	v_add_co_u32_e32 v11, vcc, s16, v9
	v_addc_co_u32_e32 v12, vcc, v10, v5, vcc
	global_load_dwordx2 v[7:8], v[9:10], off offset:128
	global_load_dwordx2 v[5:6], v[11:12], off offset:128
.LBB93_44:                              ;   in Loop: Header=BB93_33 Depth=1
	s_or_b64 exec, exec, s[18:19]
	s_waitcnt vmcnt(0)
	v_mov_b32_e32 v35, v8
	v_mov_b32_e32 v33, v6
	;; [unrolled: 1-line block ×4, first 2 shown]
	ds_read_b128 v[9:12], v49
	s_and_b64 vcc, exec, s[2:3]
	s_mov_b64 s[18:19], -1
                                        ; implicit-def: $vgpr5_vgpr6_vgpr7_vgpr8
	s_cbranch_vccz .LBB93_36
.LBB93_45:                              ;   in Loop: Header=BB93_33 Depth=1
	s_andn2_b64 vcc, exec, s[18:19]
	s_cbranch_vccnz .LBB93_53
.LBB93_46:                              ;   in Loop: Header=BB93_33 Depth=1
                                        ; implicit-def: $vgpr5_vgpr6_vgpr7_vgpr8
	s_and_saveexec_b64 s[18:19], s[8:9]
	s_xor_b64 s[18:19], exec, s[18:19]
	s_cbranch_execz .LBB93_50
; %bb.47:                               ;   in Loop: Header=BB93_33 Depth=1
	s_waitcnt vmcnt(0)
	v_mov_b32_e32 v8, v4
	v_mov_b32_e32 v7, v3
	;; [unrolled: 1-line block ×4, first 2 shown]
	s_and_saveexec_b64 s[22:23], s[4:5]
	s_cbranch_execz .LBB93_49
; %bb.48:                               ;   in Loop: Header=BB93_33 Depth=1
	v_mov_b32_e32 v6, s34
	v_add_co_u32_e32 v5, vcc, s33, v36
	v_addc_co_u32_e32 v6, vcc, v6, v37, vcc
	global_load_dwordx2 v[40:41], v[5:6], off offset:256
	v_mov_b32_e32 v8, v4
	v_mov_b32_e32 v6, v2
	v_mov_b32_e32 v5, v1
	v_mov_b32_e32 v7, v3
	s_waitcnt vmcnt(0)
	v_mov_b32_e32 v5, v40
	v_mov_b32_e32 v6, v41
.LBB93_49:                              ;   in Loop: Header=BB93_33 Depth=1
	s_or_b64 exec, exec, s[22:23]
.LBB93_50:                              ;   in Loop: Header=BB93_33 Depth=1
	s_andn2_saveexec_b64 s[18:19], s[18:19]
	s_cbranch_execz .LBB93_52
; %bb.51:                               ;   in Loop: Header=BB93_33 Depth=1
	s_waitcnt vmcnt(1)
	v_mov_b32_e32 v5, s34
	v_add_co_u32_e32 v40, vcc, s33, v36
	v_addc_co_u32_e32 v41, vcc, v5, v37, vcc
	v_mov_b32_e32 v5, s17
	v_add_co_u32_e32 v42, vcc, s16, v40
	v_addc_co_u32_e32 v43, vcc, v41, v5, vcc
	global_load_dwordx2 v[5:6], v[40:41], off offset:256
	global_load_dwordx2 v[7:8], v[42:43], off offset:256
.LBB93_52:                              ;   in Loop: Header=BB93_33 Depth=1
	s_or_b64 exec, exec, s[18:19]
.LBB93_53:                              ;   in Loop: Header=BB93_33 Depth=1
	s_add_u32 s25, s25, s10
	s_addc_u32 s35, s35, s11
	v_mov_b32_e32 v41, s35
	v_add_co_u32_e32 v40, vcc, s25, v26
	v_addc_co_u32_e32 v41, vcc, v41, v27, vcc
	global_load_dwordx2 v[40:41], v[40:41], off
	s_waitcnt vmcnt(4) lgkmcnt(0)
	v_fma_f64 v[42:43], v[1:2], v[9:10], 0
	s_waitcnt vmcnt(2)
	v_fma_f64 v[9:10], v[34:35], v[9:10], 0
	s_waitcnt vmcnt(0)
	s_barrier
	v_fma_f64 v[42:43], v[3:4], v[11:12], v[42:43]
	v_fma_f64 v[9:10], v[32:33], v[11:12], v[9:10]
	ds_write2_b64 v48, v[42:43], v[9:10] offset1:16
	s_waitcnt lgkmcnt(0)
	s_barrier
	s_and_saveexec_b64 s[18:19], s[0:1]
	s_cbranch_execz .LBB93_57
; %bb.54:                               ;   in Loop: Header=BB93_33 Depth=1
	ds_read2_b64 v[9:12], v47 offset1:32
	ds_read2_b64 v[51:54], v50 offset1:32
	s_mov_b64 s[22:23], 0
	s_waitcnt lgkmcnt(1)
	v_add_f64 v[9:10], v[9:10], 0
	v_add_f64 v[42:43], v[9:10], v[11:12]
	ds_read2_b64 v[9:12], v47 offset0:64 offset1:96
	s_waitcnt lgkmcnt(0)
	v_add_f64 v[9:10], v[42:43], v[9:10]
	v_add_f64 v[42:43], v[9:10], v[11:12]
	ds_read2_b64 v[9:12], v47 offset0:128 offset1:160
	;; [unrolled: 4-line block ×3, first 2 shown]
	s_waitcnt lgkmcnt(0)
	v_add_f64 v[9:10], v[42:43], v[9:10]
	v_add_co_u32_e32 v42, vcc, v20, v18
	v_addc_co_u32_e32 v43, vcc, v21, v19, vcc
	v_add_f64 v[9:10], v[9:10], v[11:12]
	global_load_dwordx2 v[11:12], v[42:43], off
	v_add_f64 v[9:10], v[9:10], v[51:52]
	v_add_f64 v[9:10], v[9:10], v[53:54]
	ds_read2_b64 v[51:54], v50 offset0:64 offset1:96
	s_waitcnt lgkmcnt(0)
	v_add_f64 v[9:10], v[9:10], v[51:52]
	v_add_f64 v[9:10], v[9:10], v[53:54]
	ds_read2_b64 v[51:54], v50 offset0:128 offset1:160
	s_waitcnt lgkmcnt(0)
	;; [unrolled: 4-line block ×3, first 2 shown]
	v_add_f64 v[9:10], v[9:10], v[51:52]
	v_add_f64 v[9:10], v[9:10], v[53:54]
	v_mul_f64 v[44:45], v[13:14], v[9:10]
.LBB93_55:                              ;   Parent Loop BB93_33 Depth=1
                                        ; =>  This Inner Loop Header: Depth=2
	s_waitcnt vmcnt(0)
	v_add_f64 v[9:10], v[11:12], v[44:45]
	global_atomic_cmpswap_x2 v[9:10], v[42:43], v[9:12], off glc
	s_waitcnt vmcnt(0)
	v_cmp_eq_u64_e32 vcc, v[9:10], v[11:12]
	v_mov_b32_e32 v12, v10
	s_or_b64 s[22:23], vcc, s[22:23]
	v_mov_b32_e32 v11, v9
	s_andn2_b64 exec, exec, s[22:23]
	s_cbranch_execnz .LBB93_55
; %bb.56:                               ;   in Loop: Header=BB93_33 Depth=1
	s_or_b64 exec, exec, s[22:23]
	v_mov_b32_e32 v9, s13
	v_add_co_u32_e32 v20, vcc, s12, v20
	v_addc_co_u32_e32 v21, vcc, v21, v9, vcc
.LBB93_57:                              ;   in Loop: Header=BB93_33 Depth=1
	s_or_b64 exec, exec, s[18:19]
	v_fma_f64 v[1:2], v[30:31], v[1:2], v[22:23]
	v_fma_f64 v[3:4], v[30:31], v[3:4], v[24:25]
	s_add_u32 s33, s33, 0x100
	s_addc_u32 s34, s34, 0
	s_add_i32 s18, s29, 1
	s_cmp_eq_u32 s29, s28
	v_fma_f64 v[22:23], v[38:39], v[34:35], v[1:2]
	v_fma_f64 v[24:25], v[38:39], v[32:33], v[3:4]
	s_cbranch_scc1 .LBB93_60
; %bb.58:                               ;   in Loop: Header=BB93_33 Depth=1
	v_mov_b32_e32 v1, v5
	v_mov_b32_e32 v30, v40
	v_mov_b32_e32 v2, v6
	v_mov_b32_e32 v3, v7
	v_mov_b32_e32 v4, v8
	v_mov_b32_e32 v7, v34
	v_mov_b32_e32 v5, v32
	s_mov_b32 s29, s18
	v_mov_b32_e32 v31, v41
	v_mov_b32_e32 v8, v35
	;; [unrolled: 1-line block ×3, first 2 shown]
	s_branch .LBB93_33
.LBB93_59:
	v_mov_b32_e32 v21, s17
	v_mov_b32_e32 v34, 0
	;; [unrolled: 1-line block ×4, first 2 shown]
	s_waitcnt vmcnt(1)
	v_mov_b32_e32 v8, v4
	s_waitcnt vmcnt(0)
	v_mov_b32_e32 v41, v31
	v_mov_b32_e32 v20, s16
	;; [unrolled: 1-line block ×9, first 2 shown]
.LBB93_60:
	v_mov_b32_e32 v2, s35
	v_add_co_u32_e32 v1, vcc, s25, v28
	v_addc_co_u32_e32 v2, vcc, v2, v29, vcc
	global_load_dwordx2 v[9:10], v[1:2], off
	s_and_b64 vcc, exec, s[2:3]
	s_cbranch_vccnz .LBB93_62
; %bb.61:
	v_lshlrev_b64 v[1:2], 3, v[16:17]
	v_mov_b32_e32 v3, s34
	v_add_co_u32_e32 v1, vcc, s33, v1
	v_addc_co_u32_e32 v2, vcc, v3, v2, vcc
	s_lshl_b64 s[2:3], s[20:21], 3
	v_mov_b32_e32 v4, s3
	v_add_co_u32_e32 v3, vcc, s2, v1
	v_addc_co_u32_e32 v4, vcc, v2, v4, vcc
	global_load_dwordx2 v[11:12], v[1:2], off offset:128
	global_load_dwordx2 v[26:27], v[3:4], off offset:128
	s_cbranch_execz .LBB93_63
	s_branch .LBB93_70
.LBB93_62:
                                        ; implicit-def: $vgpr26_vgpr27
                                        ; implicit-def: $vgpr11_vgpr12
.LBB93_63:
	s_and_saveexec_b64 s[2:3], s[8:9]
	s_xor_b64 s[2:3], exec, s[2:3]
	s_cbranch_execz .LBB93_67
; %bb.64:
	s_and_saveexec_b64 s[8:9], s[4:5]
	s_cbranch_execz .LBB93_66
; %bb.65:
	v_lshlrev_b64 v[1:2], 3, v[16:17]
	v_mov_b32_e32 v3, s34
	v_add_co_u32_e32 v1, vcc, s33, v1
	v_addc_co_u32_e32 v2, vcc, v3, v2, vcc
	global_load_dwordx2 v[34:35], v[1:2], off offset:128
.LBB93_66:
	s_or_b64 exec, exec, s[8:9]
                                        ; implicit-def: $vgpr16_vgpr17
.LBB93_67:
	s_andn2_saveexec_b64 s[2:3], s[2:3]
	s_cbranch_execz .LBB93_69
; %bb.68:
	v_lshlrev_b64 v[1:2], 3, v[16:17]
	v_mov_b32_e32 v3, s34
	v_add_co_u32_e32 v1, vcc, s33, v1
	v_addc_co_u32_e32 v2, vcc, v3, v2, vcc
	s_lshl_b64 s[4:5], s[20:21], 3
	v_mov_b32_e32 v4, s5
	v_add_co_u32_e32 v3, vcc, s4, v1
	v_addc_co_u32_e32 v4, vcc, v2, v4, vcc
	global_load_dwordx2 v[34:35], v[1:2], off offset:128
	global_load_dwordx2 v[32:33], v[3:4], off offset:128
.LBB93_69:
	s_or_b64 exec, exec, s[2:3]
	s_waitcnt vmcnt(0)
	v_mov_b32_e32 v11, v34
	v_mov_b32_e32 v26, v32
	;; [unrolled: 1-line block ×4, first 2 shown]
.LBB93_70:
	ds_read_b128 v[1:4], v49
	s_mov_b64 s[2:3], 0
	s_waitcnt vmcnt(0) lgkmcnt(0)
	s_barrier
	v_fma_f64 v[16:17], v[5:6], v[1:2], 0
	v_fma_f64 v[1:2], v[11:12], v[1:2], 0
	;; [unrolled: 1-line block ×6, first 2 shown]
	ds_write2_b64 v48, v[16:17], v[1:2] offset1:16
	s_waitcnt lgkmcnt(0)
	s_barrier
	s_and_saveexec_b64 s[4:5], s[0:1]
	s_cbranch_execz .LBB93_73
; %bb.71:
	ds_read2_b64 v[1:4], v47 offset1:32
	v_add_u32_e32 v22, 0x800, v47
	s_waitcnt lgkmcnt(0)
	v_add_f64 v[1:2], v[1:2], 0
	v_add_f64 v[16:17], v[1:2], v[3:4]
	ds_read2_b64 v[1:4], v47 offset0:64 offset1:96
	s_waitcnt lgkmcnt(0)
	v_add_f64 v[1:2], v[16:17], v[1:2]
	v_add_f64 v[16:17], v[1:2], v[3:4]
	ds_read2_b64 v[1:4], v47 offset0:128 offset1:160
	;; [unrolled: 4-line block ×3, first 2 shown]
	s_waitcnt lgkmcnt(0)
	v_add_f64 v[1:2], v[16:17], v[1:2]
	v_add_co_u32_e32 v16, vcc, v20, v18
	v_addc_co_u32_e32 v17, vcc, v21, v19, vcc
	ds_read2_b64 v[18:21], v22 offset1:32
	v_add_f64 v[1:2], v[1:2], v[3:4]
	global_load_dwordx2 v[3:4], v[16:17], off
	s_waitcnt lgkmcnt(0)
	v_add_f64 v[1:2], v[1:2], v[18:19]
	v_add_f64 v[1:2], v[1:2], v[20:21]
	ds_read2_b64 v[18:21], v22 offset0:64 offset1:96
	s_waitcnt lgkmcnt(0)
	v_add_f64 v[1:2], v[1:2], v[18:19]
	v_add_f64 v[1:2], v[1:2], v[20:21]
	ds_read2_b64 v[18:21], v22 offset0:128 offset1:160
	;; [unrolled: 4-line block ×3, first 2 shown]
	s_waitcnt lgkmcnt(0)
	v_add_f64 v[1:2], v[1:2], v[18:19]
	v_add_f64 v[1:2], v[1:2], v[20:21]
	v_mul_f64 v[18:19], v[13:14], v[1:2]
.LBB93_72:                              ; =>This Inner Loop Header: Depth=1
	s_waitcnt vmcnt(0)
	v_add_f64 v[1:2], v[3:4], v[18:19]
	global_atomic_cmpswap_x2 v[1:2], v[16:17], v[1:4], off glc
	s_waitcnt vmcnt(0)
	v_cmp_eq_u64_e32 vcc, v[1:2], v[3:4]
	v_mov_b32_e32 v4, v2
	s_or_b64 s[2:3], vcc, s[2:3]
	v_mov_b32_e32 v3, v1
	s_andn2_b64 exec, exec, s[2:3]
	s_cbranch_execnz .LBB93_72
.LBB93_73:
	s_or_b64 exec, exec, s[4:5]
	v_fma_f64 v[11:12], v[9:10], v[11:12], v[5:6]
	v_fma_f64 v[5:6], v[9:10], v[26:27], v[7:8]
	v_mov_b32_e32 v9, v46
.LBB93_74:
	s_waitcnt vmcnt(1)
	v_lshl_add_u32 v1, v15, 3, v9
	v_add_u32_e32 v1, 0x1000, v1
	ds_write2_b64 v1, v[11:12], v[5:6] offset1:16
	s_waitcnt vmcnt(0) lgkmcnt(0)
	s_barrier
	s_and_b64 exec, exec, s[0:1]
	s_cbranch_execz .LBB93_78
; %bb.75:
	s_cmp_lt_u32 s6, s30
	v_cmp_gt_i32_e32 vcc, s31, v0
	s_cselect_b64 s[0:1], -1, 0
	s_or_b64 s[0:1], vcc, s[0:1]
	s_and_b64 exec, exec, s[0:1]
	s_cbranch_execz .LBB93_78
; %bb.76:
	v_mov_b32_e32 v1, 0x1000
	v_lshl_add_u32 v12, v0, 7, v1
	v_lshl_or_b32 v1, v15, 3, v12
	ds_read_b64 v[1:2], v1
	v_add_u32_e32 v4, 2, v0
	v_and_b32_e32 v4, 15, v4
	v_add_u32_e32 v3, 1, v0
	v_lshl_or_b32 v5, v4, 3, v12
	s_waitcnt lgkmcnt(0)
	v_add_f64 v[1:2], v[1:2], 0
	v_add_u32_e32 v4, 3, v0
	v_and_b32_e32 v3, 15, v3
	v_and_b32_e32 v4, 15, v4
	v_lshl_or_b32 v3, v3, 3, v12
	v_lshl_or_b32 v7, v4, 3, v12
	ds_read_b64 v[3:4], v3
	ds_read_b64 v[5:6], v5
	;; [unrolled: 1-line block ×3, first 2 shown]
	v_xor_b32_e32 v11, 8, v15
	v_add_u32_e32 v15, 9, v0
	s_waitcnt lgkmcnt(2)
	v_add_f64 v[1:2], v[1:2], v[3:4]
	v_add_u32_e32 v3, 4, v0
	v_add_u32_e32 v4, 5, v0
	v_and_b32_e32 v3, 15, v3
	v_and_b32_e32 v4, 15, v4
	v_lshl_or_b32 v3, v3, 3, v12
	v_add_u32_e32 v16, 10, v0
	v_and_b32_e32 v15, 15, v15
	s_waitcnt lgkmcnt(1)
	v_add_f64 v[1:2], v[1:2], v[5:6]
	v_add_u32_e32 v5, 6, v0
	v_add_u32_e32 v6, 7, v0
	v_and_b32_e32 v5, 15, v5
	v_and_b32_e32 v6, 15, v6
	v_lshl_or_b32 v9, v6, 3, v12
	s_mul_i32 s1, s14, s27
	s_mul_hi_u32 s4, s14, s26
	s_waitcnt lgkmcnt(0)
	v_add_f64 v[1:2], v[1:2], v[7:8]
	v_lshl_or_b32 v7, v4, 3, v12
	ds_read_b64 v[3:4], v3
	v_lshl_or_b32 v8, v5, 3, v12
	ds_read_b64 v[5:6], v7
	ds_read_b64 v[7:8], v8
	;; [unrolled: 1-line block ×3, first 2 shown]
	s_mul_i32 s5, s15, s26
	s_add_i32 s1, s4, s1
	s_mul_i32 s0, s14, s26
	s_waitcnt lgkmcnt(3)
	v_add_f64 v[1:2], v[1:2], v[3:4]
	v_mad_u64_u32 v[3:4], s[2:3], s14, v0, 0
	s_add_i32 s1, s1, s5
	s_lshl_b64 s[0:1], s[0:1], 3
	s_add_u32 s0, s7, s0
	s_addc_u32 s1, s24, s1
	s_waitcnt lgkmcnt(2)
	v_add_f64 v[1:2], v[1:2], v[5:6]
	v_and_b32_e32 v5, 15, v16
	v_lshl_or_b32 v6, v11, 3, v12
	v_lshl_or_b32 v11, v15, 3, v12
	;; [unrolled: 1-line block ×3, first 2 shown]
	v_mad_u64_u32 v[4:5], s[2:3], s15, v0, v[4:5]
	s_waitcnt lgkmcnt(1)
	v_add_f64 v[1:2], v[1:2], v[7:8]
	v_lshlrev_b64 v[4:5], 3, v[3:4]
	ds_read_b64 v[6:7], v6
	v_add_co_u32_e32 v4, vcc, s0, v4
	s_waitcnt lgkmcnt(1)
	v_add_f64 v[8:9], v[1:2], v[9:10]
	v_mov_b32_e32 v1, s1
	v_addc_co_u32_e32 v5, vcc, v1, v5, vcc
	global_load_dwordx2 v[2:3], v[4:5], off
	v_add_u32_e32 v1, 11, v0
	v_and_b32_e32 v1, 15, v1
	v_lshl_or_b32 v1, v1, 3, v12
	s_waitcnt lgkmcnt(0)
	v_add_f64 v[6:7], v[8:9], v[6:7]
	ds_read_b64 v[10:11], v11
	ds_read_b64 v[15:16], v15
	;; [unrolled: 1-line block ×3, first 2 shown]
	v_add_u32_e32 v1, 12, v0
	v_add_u32_e32 v8, 13, v0
	v_and_b32_e32 v1, 15, v1
	v_and_b32_e32 v8, 15, v8
	v_lshl_or_b32 v1, v1, 3, v12
	s_mov_b64 s[0:1], 0
	s_waitcnt lgkmcnt(2)
	v_add_f64 v[6:7], v[6:7], v[10:11]
	v_lshl_or_b32 v11, v8, 3, v12
	ds_read_b64 v[8:9], v1
	v_add_u32_e32 v10, 14, v0
	v_and_b32_e32 v1, 15, v10
	v_add_u32_e32 v0, -1, v0
	v_lshl_or_b32 v10, v1, 3, v12
	v_and_b32_e32 v0, 15, v0
	s_waitcnt lgkmcnt(2)
	v_add_f64 v[6:7], v[6:7], v[15:16]
	v_lshl_or_b32 v12, v0, 3, v12
	ds_read_b64 v[0:1], v11
	ds_read_b64 v[10:11], v10
	;; [unrolled: 1-line block ×3, first 2 shown]
	s_waitcnt lgkmcnt(4)
	v_add_f64 v[6:7], v[6:7], v[17:18]
	s_waitcnt lgkmcnt(3)
	v_add_f64 v[6:7], v[6:7], v[8:9]
	;; [unrolled: 2-line block ×5, first 2 shown]
	v_mul_f64 v[6:7], v[13:14], v[0:1]
.LBB93_77:                              ; =>This Inner Loop Header: Depth=1
	s_waitcnt vmcnt(0)
	v_add_f64 v[0:1], v[2:3], v[6:7]
	global_atomic_cmpswap_x2 v[0:1], v[4:5], v[0:3], off glc
	s_waitcnt vmcnt(0)
	v_cmp_eq_u64_e32 vcc, v[0:1], v[2:3]
	v_mov_b32_e32 v3, v1
	s_or_b64 s[0:1], vcc, s[0:1]
	v_mov_b32_e32 v2, v0
	s_andn2_b64 exec, exec, s[0:1]
	s_cbranch_execnz .LBB93_77
.LBB93_78:
	s_endpgm
	.section	.rodata,"a",@progbits
	.p2align	6, 0x0
	.amdhsa_kernel _ZL62rocblas_symv_kernel_upper_double_buffered_non_diagonal_genericILi32ELi8ELi2ELi1E24rocblas_internal_val_ptrIdEPKdPdEvbiT3_lT4_lllS6_lllT5_lllii
		.amdhsa_group_segment_fixed_size 8448
		.amdhsa_private_segment_fixed_size 0
		.amdhsa_kernarg_size 384
		.amdhsa_user_sgpr_count 6
		.amdhsa_user_sgpr_private_segment_buffer 1
		.amdhsa_user_sgpr_dispatch_ptr 0
		.amdhsa_user_sgpr_queue_ptr 0
		.amdhsa_user_sgpr_kernarg_segment_ptr 1
		.amdhsa_user_sgpr_dispatch_id 0
		.amdhsa_user_sgpr_flat_scratch_init 0
		.amdhsa_user_sgpr_private_segment_size 0
		.amdhsa_uses_dynamic_stack 0
		.amdhsa_system_sgpr_private_segment_wavefront_offset 0
		.amdhsa_system_sgpr_workgroup_id_x 1
		.amdhsa_system_sgpr_workgroup_id_y 1
		.amdhsa_system_sgpr_workgroup_id_z 1
		.amdhsa_system_sgpr_workgroup_info 0
		.amdhsa_system_vgpr_workitem_id 1
		.amdhsa_next_free_vgpr 55
		.amdhsa_next_free_sgpr 77
		.amdhsa_reserve_vcc 1
		.amdhsa_reserve_flat_scratch 0
		.amdhsa_float_round_mode_32 0
		.amdhsa_float_round_mode_16_64 0
		.amdhsa_float_denorm_mode_32 3
		.amdhsa_float_denorm_mode_16_64 3
		.amdhsa_dx10_clamp 1
		.amdhsa_ieee_mode 1
		.amdhsa_fp16_overflow 0
		.amdhsa_exception_fp_ieee_invalid_op 0
		.amdhsa_exception_fp_denorm_src 0
		.amdhsa_exception_fp_ieee_div_zero 0
		.amdhsa_exception_fp_ieee_overflow 0
		.amdhsa_exception_fp_ieee_underflow 0
		.amdhsa_exception_fp_ieee_inexact 0
		.amdhsa_exception_int_div_zero 0
	.end_amdhsa_kernel
	.section	.text._ZL62rocblas_symv_kernel_upper_double_buffered_non_diagonal_genericILi32ELi8ELi2ELi1E24rocblas_internal_val_ptrIdEPKdPdEvbiT3_lT4_lllS6_lllT5_lllii,"axG",@progbits,_ZL62rocblas_symv_kernel_upper_double_buffered_non_diagonal_genericILi32ELi8ELi2ELi1E24rocblas_internal_val_ptrIdEPKdPdEvbiT3_lT4_lllS6_lllT5_lllii,comdat
.Lfunc_end93:
	.size	_ZL62rocblas_symv_kernel_upper_double_buffered_non_diagonal_genericILi32ELi8ELi2ELi1E24rocblas_internal_val_ptrIdEPKdPdEvbiT3_lT4_lllS6_lllT5_lllii, .Lfunc_end93-_ZL62rocblas_symv_kernel_upper_double_buffered_non_diagonal_genericILi32ELi8ELi2ELi1E24rocblas_internal_val_ptrIdEPKdPdEvbiT3_lT4_lllS6_lllT5_lllii
                                        ; -- End function
	.set _ZL62rocblas_symv_kernel_upper_double_buffered_non_diagonal_genericILi32ELi8ELi2ELi1E24rocblas_internal_val_ptrIdEPKdPdEvbiT3_lT4_lllS6_lllT5_lllii.num_vgpr, 55
	.set _ZL62rocblas_symv_kernel_upper_double_buffered_non_diagonal_genericILi32ELi8ELi2ELi1E24rocblas_internal_val_ptrIdEPKdPdEvbiT3_lT4_lllS6_lllT5_lllii.num_agpr, 0
	.set _ZL62rocblas_symv_kernel_upper_double_buffered_non_diagonal_genericILi32ELi8ELi2ELi1E24rocblas_internal_val_ptrIdEPKdPdEvbiT3_lT4_lllS6_lllT5_lllii.numbered_sgpr, 40
	.set _ZL62rocblas_symv_kernel_upper_double_buffered_non_diagonal_genericILi32ELi8ELi2ELi1E24rocblas_internal_val_ptrIdEPKdPdEvbiT3_lT4_lllS6_lllT5_lllii.num_named_barrier, 0
	.set _ZL62rocblas_symv_kernel_upper_double_buffered_non_diagonal_genericILi32ELi8ELi2ELi1E24rocblas_internal_val_ptrIdEPKdPdEvbiT3_lT4_lllS6_lllT5_lllii.private_seg_size, 0
	.set _ZL62rocblas_symv_kernel_upper_double_buffered_non_diagonal_genericILi32ELi8ELi2ELi1E24rocblas_internal_val_ptrIdEPKdPdEvbiT3_lT4_lllS6_lllT5_lllii.uses_vcc, 1
	.set _ZL62rocblas_symv_kernel_upper_double_buffered_non_diagonal_genericILi32ELi8ELi2ELi1E24rocblas_internal_val_ptrIdEPKdPdEvbiT3_lT4_lllS6_lllT5_lllii.uses_flat_scratch, 0
	.set _ZL62rocblas_symv_kernel_upper_double_buffered_non_diagonal_genericILi32ELi8ELi2ELi1E24rocblas_internal_val_ptrIdEPKdPdEvbiT3_lT4_lllS6_lllT5_lllii.has_dyn_sized_stack, 0
	.set _ZL62rocblas_symv_kernel_upper_double_buffered_non_diagonal_genericILi32ELi8ELi2ELi1E24rocblas_internal_val_ptrIdEPKdPdEvbiT3_lT4_lllS6_lllT5_lllii.has_recursion, 0
	.set _ZL62rocblas_symv_kernel_upper_double_buffered_non_diagonal_genericILi32ELi8ELi2ELi1E24rocblas_internal_val_ptrIdEPKdPdEvbiT3_lT4_lllS6_lllT5_lllii.has_indirect_call, 0
	.section	.AMDGPU.csdata,"",@progbits
; Kernel info:
; codeLenInByte = 3996
; TotalNumSgprs: 44
; NumVgprs: 55
; ScratchSize: 0
; MemoryBound: 1
; FloatMode: 240
; IeeeMode: 1
; LDSByteSize: 8448 bytes/workgroup (compile time only)
; SGPRBlocks: 10
; VGPRBlocks: 13
; NumSGPRsForWavesPerEU: 81
; NumVGPRsForWavesPerEU: 55
; Occupancy: 4
; WaveLimiterHint : 0
; COMPUTE_PGM_RSRC2:SCRATCH_EN: 0
; COMPUTE_PGM_RSRC2:USER_SGPR: 6
; COMPUTE_PGM_RSRC2:TRAP_HANDLER: 0
; COMPUTE_PGM_RSRC2:TGID_X_EN: 1
; COMPUTE_PGM_RSRC2:TGID_Y_EN: 1
; COMPUTE_PGM_RSRC2:TGID_Z_EN: 1
; COMPUTE_PGM_RSRC2:TIDIG_COMP_CNT: 1
	.section	.text._ZL26rocblas_hemvn_kernel_upperILb0ELi64ELi4ELi33ELi32ELi16ElPKdS1_PdEviT6_lT7_lT5_lS4_lS5_lS3_lT8_i,"axG",@progbits,_ZL26rocblas_hemvn_kernel_upperILb0ELi64ELi4ELi33ELi32ELi16ElPKdS1_PdEviT6_lT7_lT5_lS4_lS5_lS3_lT8_i,comdat
	.globl	_ZL26rocblas_hemvn_kernel_upperILb0ELi64ELi4ELi33ELi32ELi16ElPKdS1_PdEviT6_lT7_lT5_lS4_lS5_lS3_lT8_i ; -- Begin function _ZL26rocblas_hemvn_kernel_upperILb0ELi64ELi4ELi33ELi32ELi16ElPKdS1_PdEviT6_lT7_lT5_lS4_lS5_lS3_lT8_i
	.p2align	8
	.type	_ZL26rocblas_hemvn_kernel_upperILb0ELi64ELi4ELi33ELi32ELi16ElPKdS1_PdEviT6_lT7_lT5_lS4_lS5_lS3_lT8_i,@function
_ZL26rocblas_hemvn_kernel_upperILb0ELi64ELi4ELi33ELi32ELi16ElPKdS1_PdEviT6_lT7_lT5_lS4_lS5_lS3_lT8_i: ; @_ZL26rocblas_hemvn_kernel_upperILb0ELi64ELi4ELi33ELi32ELi16ElPKdS1_PdEviT6_lT7_lT5_lS4_lS5_lS3_lT8_i
; %bb.0:
	s_load_dwordx2 s[2:3], s[4:5], 0x84
	s_add_u32 s0, s4, 0x78
	s_addc_u32 s1, s5, 0
	s_waitcnt lgkmcnt(0)
	s_lshr_b32 s8, s2, 16
	s_and_b32 s2, s2, 0xffff
	s_and_b32 s3, s3, 0xffff
	s_mul_i32 s2, s8, s2
	s_mul_i32 s2, s2, s3
	s_cmpk_lg_i32 s2, 0x100
	s_cbranch_scc1 .LBB94_128
; %bb.1:
	s_load_dwordx16 s[8:23], s[4:5], 0x8
	s_load_dwordx8 s[24:31], s[4:5], 0x48
	s_waitcnt lgkmcnt(0)
	s_mul_i32 s3, s11, s7
	s_mul_hi_u32 s11, s10, s7
	s_mul_i32 s2, s10, s7
	s_add_i32 s3, s11, s3
	s_lshl_b64 s[2:3], s[2:3], 3
	s_mul_i32 s10, s31, s7
	s_add_u32 s2, s8, s2
	s_mul_hi_u32 s8, s30, s7
	s_addc_u32 s3, s9, s3
	s_add_i32 s9, s8, s10
	s_mul_i32 s8, s30, s7
	s_lshl_b64 s[8:9], s[8:9], 3
	s_add_u32 s8, s28, s8
	s_addc_u32 s9, s29, s9
	s_load_dwordx2 s[2:3], s[2:3], 0x0
	s_waitcnt lgkmcnt(0)
	v_cmp_eq_f64_e64 s[2:3], s[2:3], 0
	s_load_dwordx2 s[8:9], s[8:9], 0x0
	s_waitcnt lgkmcnt(0)
	v_cmp_eq_f64_e64 s[8:9], s[8:9], 1.0
	s_and_b64 s[8:9], s[2:3], s[8:9]
	s_and_b64 vcc, exec, s[8:9]
	s_cbranch_vccnz .LBB94_128
; %bb.2:
	s_and_b64 vcc, exec, s[2:3]
	s_cbranch_vccnz .LBB94_128
; %bb.3:
	s_load_dword s33, s[0:1], 0x0
	s_load_dwordx2 s[28:29], s[4:5], 0x68
	s_load_dword s37, s[4:5], 0x0
	s_mul_i32 s0, s27, s7
	s_mul_hi_u32 s1, s26, s7
	s_add_i32 s1, s1, s0
	s_mul_i32 s0, s26, s7
	s_lshl_b64 s[0:1], s[0:1], 3
	s_add_u32 s2, s20, s0
	s_addc_u32 s3, s21, s1
	s_lshl_b64 s[0:1], s[22:23], 3
	s_add_u32 s2, s2, s0
	s_addc_u32 s3, s3, s1
	s_lshl_b32 s22, s6, 6
	s_waitcnt lgkmcnt(0)
	s_ashr_i32 s38, s37, 31
	s_lshr_b32 s0, s38, 26
	v_add_u32_e32 v58, s22, v0
	s_add_i32 s0, s37, s0
	v_ashrrev_i32_e32 v59, 31, v58
	s_and_b32 s5, s0, 0xffffffc0
	v_mul_lo_u32 v4, s24, v59
	v_mul_lo_u32 v5, s25, v58
	v_mad_u64_u32 v[2:3], s[0:1], s24, v58, 0
	s_add_i32 s4, s33, -1
	s_sub_i32 s36, s37, s5
	v_add3_u32 v3, v3, v4, v5
	v_lshlrev_b64 v[2:3], 3, v[2:3]
	s_cmp_eq_u32 s6, s4
	v_mov_b32_e32 v4, s3
	v_add_co_u32_e32 v14, vcc, s2, v2
	s_cselect_b32 s20, s36, 0
	v_addc_co_u32_e32 v15, vcc, v4, v3, vcc
	v_cmp_eq_u32_e64 s[0:1], 0, v1
	s_and_saveexec_b64 s[2:3], s[0:1]
	s_cbranch_execz .LBB94_7
; %bb.4:
	s_cmp_eq_u32 s20, 0
	s_cselect_b64 s[4:5], -1, 0
	v_cmp_gt_i32_e32 vcc, s20, v0
	v_mov_b32_e32 v2, 0
	v_mov_b32_e32 v3, 0
	s_or_b64 s[8:9], s[4:5], vcc
	s_and_saveexec_b64 s[4:5], s[8:9]
	s_cbranch_execz .LBB94_6
; %bb.5:
	global_load_dwordx2 v[2:3], v[14:15], off
.LBB94_6:
	s_or_b64 exec, exec, s[4:5]
	v_lshlrev_b32_e32 v4, 3, v0
	s_waitcnt vmcnt(0)
	ds_write_b64 v4, v[2:3] offset:9088
.LBB94_7:
	s_or_b64 exec, exec, s[2:3]
	v_lshl_add_u32 v24, v1, 6, v0
	s_mul_i32 s2, s19, s7
	s_mul_hi_u32 s3, s18, s7
	v_and_b32_e32 v2, 31, v0
	v_lshrrev_b32_e32 v13, 5, v24
	s_add_i32 s3, s3, s2
	s_mul_i32 s2, s18, s7
	v_mov_b32_e32 v3, 0
	s_lshl_b64 s[2:3], s[2:3], 3
	v_mad_u64_u32 v[3:4], s[4:5], s16, v13, v[2:3]
	s_add_u32 s8, s12, s2
	s_addc_u32 s9, s13, s3
	s_lshl_b64 s[2:3], s[14:15], 3
	s_add_u32 s4, s8, s2
	s_addc_u32 s5, s9, s3
	v_mad_u64_u32 v[4:5], s[2:3], s17, v13, v[4:5]
	s_ashr_i32 s23, s22, 31
	s_lshl_b64 s[2:3], s[22:23], 3
	s_add_u32 s2, s4, s2
	v_lshlrev_b64 v[16:17], 3, v[3:4]
	s_addc_u32 s3, s5, s3
	v_mov_b32_e32 v3, s3
	v_add_co_u32_e32 v4, vcc, s2, v16
	s_mul_hi_u32 s2, s16, s22
	s_mul_i32 s3, s16, s23
	s_add_i32 s2, s2, s3
	s_mul_i32 s3, s17, s22
	s_add_i32 s3, s2, s3
	s_mul_i32 s2, s16, s22
	s_lshl_b64 s[2:3], s[2:3], 3
	v_addc_co_u32_e32 v3, vcc, v3, v17, vcc
	s_cmp_eq_u32 s20, 0
	v_mov_b32_e32 v6, s3
	v_add_co_u32_e32 v5, vcc, s2, v4
	s_cselect_b64 s[18:19], -1, 0
	s_cmp_lg_u32 s20, 0
	v_addc_co_u32_e32 v6, vcc, v3, v6, vcc
	s_cselect_b64 s[26:27], -1, 0
	s_and_b64 vcc, exec, s[26:27]
	v_cmp_gt_i32_e64 s[2:3], s20, v2
	v_lshlrev_b32_e32 v18, 3, v2
	s_cbranch_vccz .LBB94_17
; %bb.8:
	v_sub_co_u32_e32 v3, vcc, v5, v18
	s_ashr_i32 s21, s20, 31
	v_subbrev_co_u32_e32 v4, vcc, 0, v6, vcc
	s_lshl_b64 s[4:5], s[20:21], 3
	v_mov_b32_e32 v7, s5
	v_add_co_u32_e32 v3, vcc, s4, v3
	v_addc_co_u32_e32 v4, vcc, v4, v7, vcc
	v_add_co_u32_e32 v3, vcc, -8, v3
	v_addc_co_u32_e32 v4, vcc, -1, v4, vcc
	v_mov_b32_e32 v7, 0
	v_mov_b32_e32 v9, 0
	v_cndmask_b32_e64 v4, v4, v6, s[2:3]
	v_cndmask_b32_e64 v3, v3, v5, s[2:3]
	v_mov_b32_e32 v8, 0
	v_mov_b32_e32 v10, 0
	v_cmp_gt_i32_e32 vcc, s20, v13
	s_and_saveexec_b64 s[8:9], vcc
	s_cbranch_execz .LBB94_10
; %bb.9:
	global_load_dwordx2 v[9:10], v[3:4], off
.LBB94_10:
	s_or_b64 exec, exec, s[8:9]
	v_lshlrev_b32_e32 v11, 3, v2
	s_movk_i32 s8, 0x108
	v_mad_u32_u24 v19, v13, s8, v11
	s_waitcnt vmcnt(0)
	ds_write_b64 v19, v[9:10]
	v_add_u32_e32 v9, 8, v13
	v_mul_u32_u24_e32 v12, 0x108, v13
	v_cmp_gt_i32_e32 vcc, s20, v9
	s_and_saveexec_b64 s[8:9], vcc
	s_cbranch_execz .LBB94_12
; %bb.11:
	s_lshl_b64 s[10:11], s[16:17], 6
	v_mov_b32_e32 v8, s11
	v_add_co_u32_e32 v7, vcc, s10, v3
	v_addc_co_u32_e32 v8, vcc, v4, v8, vcc
	global_load_dwordx2 v[7:8], v[7:8], off
.LBB94_12:
	s_or_b64 exec, exec, s[8:9]
	v_add_u32_e32 v11, v12, v11
	s_waitcnt vmcnt(0)
	ds_write_b64 v11, v[7:8] offset:2112
	v_add_u32_e32 v12, 16, v13
	v_mov_b32_e32 v7, 0
	v_mov_b32_e32 v9, 0
	;; [unrolled: 1-line block ×4, first 2 shown]
	v_cmp_gt_i32_e32 vcc, s20, v12
	s_and_saveexec_b64 s[8:9], vcc
	s_cbranch_execz .LBB94_14
; %bb.13:
	s_lshl_b64 s[10:11], s[16:17], 7
	v_mov_b32_e32 v10, s11
	v_add_co_u32_e32 v9, vcc, s10, v3
	v_addc_co_u32_e32 v10, vcc, v4, v10, vcc
	global_load_dwordx2 v[9:10], v[9:10], off
.LBB94_14:
	s_or_b64 exec, exec, s[8:9]
	s_waitcnt vmcnt(0)
	ds_write_b64 v11, v[9:10] offset:4224
	v_add_u32_e32 v9, 24, v13
	v_cmp_gt_i32_e32 vcc, s20, v9
	s_and_saveexec_b64 s[8:9], vcc
	s_cbranch_execz .LBB94_16
; %bb.15:
	v_mov_b32_e32 v7, 0xc0
	v_mad_u64_u32 v[7:8], s[10:11], s16, v7, v[3:4]
	s_mul_i32 s10, s17, 0xc0
	v_add_u32_e32 v8, s10, v8
	global_load_dwordx2 v[7:8], v[7:8], off
.LBB94_16:
	s_or_b64 exec, exec, s[8:9]
	v_add_co_u32_e32 v3, vcc, v3, v18
	v_addc_co_u32_e32 v4, vcc, 0, v4, vcc
	s_waitcnt vmcnt(0)
	ds_write_b64 v11, v[7:8] offset:6336
	v_mov_b32_e32 v7, s5
	v_subrev_co_u32_e32 v3, vcc, s4, v3
	v_subb_co_u32_e32 v4, vcc, v4, v7, vcc
	v_add_co_u32_e32 v3, vcc, 8, v3
	v_addc_co_u32_e32 v4, vcc, 0, v4, vcc
	v_cndmask_b32_e64 v4, v4, v6, s[2:3]
	v_cndmask_b32_e64 v3, v3, v5, s[2:3]
	s_branch .LBB94_19
.LBB94_17:
                                        ; implicit-def: $vgpr3_vgpr4
	s_cbranch_execz .LBB94_19
; %bb.18:
	s_lshl_b64 s[2:3], s[16:17], 6
	v_mov_b32_e32 v10, s3
	v_add_co_u32_e32 v3, vcc, s2, v5
	v_addc_co_u32_e32 v4, vcc, v6, v10, vcc
	v_add_co_u32_e32 v7, vcc, s2, v3
	v_addc_co_u32_e32 v8, vcc, v4, v10, vcc
	;; [unrolled: 2-line block ×3, first 2 shown]
	global_load_dwordx2 v[11:12], v[5:6], off
	global_load_dwordx2 v[19:20], v[3:4], off
	;; [unrolled: 1-line block ×4, first 2 shown]
	v_mul_u32_u24_e32 v3, 0x108, v13
	v_lshl_add_u32 v3, v2, 3, v3
	s_waitcnt vmcnt(3)
	ds_write_b64 v3, v[11:12]
	s_waitcnt vmcnt(2)
	ds_write_b64 v3, v[19:20] offset:2112
	s_waitcnt vmcnt(1)
	ds_write_b64 v3, v[21:22] offset:4224
	;; [unrolled: 2-line block ×3, first 2 shown]
	v_mov_b32_e32 v3, v5
	v_mov_b32_e32 v4, v6
.LBB94_19:
	v_lshlrev_b32_e32 v20, 3, v2
	v_lshlrev_b32_e32 v19, 2, v13
	v_lshl_or_b32 v5, v2, 8, v20
	v_cmp_gt_u32_e64 s[4:5], v19, v2
	v_lshl_add_u32 v5, v19, 3, v5
	s_waitcnt lgkmcnt(0)
	s_barrier
	s_and_saveexec_b64 s[2:3], s[4:5]
	s_cbranch_execz .LBB94_21
; %bb.20:
	s_movk_i32 s8, 0x420
	v_mad_u32_u24 v6, v13, s8, v20
	ds_read_b64 v[6:7], v6
	s_waitcnt lgkmcnt(0)
	ds_write_b64 v5, v[6:7]
.LBB94_21:
	s_or_b64 exec, exec, s[2:3]
	v_or_b32_e32 v22, 1, v19
	v_cmp_ge_u32_e64 s[14:15], v19, v2
	s_and_saveexec_b64 s[2:3], s[14:15]
	s_cbranch_execz .LBB94_23
; %bb.22:
	s_movk_i32 s8, 0x108
	v_mad_u32_u24 v6, v22, s8, v20
	ds_read_b64 v[6:7], v6
	s_waitcnt lgkmcnt(0)
	ds_write_b64 v5, v[6:7] offset:8
.LBB94_23:
	s_or_b64 exec, exec, s[2:3]
	v_or_b32_e32 v6, 2, v19
	v_cmp_gt_u32_e64 s[8:9], v6, v2
	s_and_saveexec_b64 s[2:3], s[8:9]
	s_cbranch_execz .LBB94_25
; %bb.24:
	s_movk_i32 s10, 0x108
	v_mad_u32_u24 v6, v6, s10, v20
	ds_read_b64 v[6:7], v6
	s_waitcnt lgkmcnt(0)
	ds_write_b64 v5, v[6:7] offset:16
.LBB94_25:
	s_or_b64 exec, exec, s[2:3]
	v_or_b32_e32 v7, 3, v19
	v_cmp_gt_u32_e64 s[10:11], v7, v2
	v_cmp_le_u32_e32 vcc, v7, v2
                                        ; implicit-def: $vgpr6
	s_and_saveexec_b64 s[2:3], vcc
	s_xor_b64 s[2:3], exec, s[2:3]
; %bb.26:
	v_mul_u32_u24_e32 v6, 0x108, v7
                                        ; implicit-def: $vgpr7
                                        ; implicit-def: $vgpr5
; %bb.27:
	s_andn2_saveexec_b64 s[2:3], s[2:3]
	s_cbranch_execz .LBB94_29
; %bb.28:
	s_movk_i32 s12, 0x108
	v_mad_u32_u24 v6, v7, s12, v20
	ds_read_b64 v[8:9], v6
	v_mul_u32_u24_e32 v6, 0x108, v7
	s_waitcnt lgkmcnt(0)
	ds_write_b64 v5, v[8:9] offset:24
.LBB94_29:
	s_or_b64 exec, exec, s[2:3]
	s_movk_i32 s2, 0x420
	v_mad_u32_u24 v5, v13, s2, v20
	s_waitcnt lgkmcnt(0)
	s_barrier
	v_lshlrev_b32_e32 v23, 3, v19
	ds_read_b64 v[11:12], v5
	ds_read_b128 v[7:10], v23 offset:9088
	s_movk_i32 s2, 0x108
	v_mad_u32_u24 v5, v22, s2, v20
	ds_read2_b64 v[25:28], v5 offset1:33
	v_add_u32_e32 v21, v20, v6
	s_waitcnt lgkmcnt(1)
	v_fma_f64 v[7:8], v[11:12], v[7:8], 0
	v_mov_b32_e32 v60, 0
	v_mov_b32_e32 v61, 0
	v_cmp_gt_u32_e64 s[2:3], 32, v24
	ds_read_b64 v[5:6], v21
	s_waitcnt lgkmcnt(1)
	v_fma_f64 v[11:12], v[25:26], v[9:10], v[7:8]
	ds_read_b128 v[7:10], v23 offset:9104
	s_waitcnt lgkmcnt(0)
	s_barrier
	v_fma_f64 v[7:8], v[27:28], v[7:8], v[11:12]
	v_fma_f64 v[5:6], v[5:6], v[9:10], v[7:8]
	v_mul_u32_u24_e32 v7, 33, v2
	v_lshlrev_b32_e32 v25, 3, v7
	v_lshl_add_u32 v26, v13, 3, v25
	ds_write_b64 v26, v[5:6]
	s_waitcnt lgkmcnt(0)
	s_barrier
	s_and_saveexec_b64 s[12:13], s[2:3]
	s_cbranch_execz .LBB94_31
; %bb.30:
	ds_read2_b64 v[5:8], v25 offset1:1
	ds_read2_b64 v[9:12], v25 offset0:2 offset1:3
	s_waitcnt lgkmcnt(1)
	v_add_f64 v[5:6], v[5:6], v[7:8]
	s_waitcnt lgkmcnt(0)
	v_add_f64 v[5:6], v[5:6], v[9:10]
	v_add_f64 v[27:28], v[5:6], v[11:12]
	ds_read2_b64 v[5:8], v25 offset0:4 offset1:5
	ds_read2_b64 v[9:12], v25 offset0:6 offset1:7
	s_waitcnt lgkmcnt(1)
	v_add_f64 v[5:6], v[27:28], v[5:6]
	v_add_f64 v[5:6], v[5:6], v[7:8]
	s_waitcnt lgkmcnt(0)
	v_add_f64 v[5:6], v[5:6], v[9:10]
	v_add_f64 v[60:61], v[5:6], v[11:12]
.LBB94_31:
	s_or_b64 exec, exec, s[12:13]
	s_lshl_b64 s[12:13], s[16:17], 8
	v_mov_b32_e32 v5, s13
	v_add_co_u32_e32 v7, vcc, s12, v3
	v_addc_co_u32_e32 v8, vcc, v4, v5, vcc
	v_add_co_u32_e32 v5, vcc, 0x100, v7
	v_addc_co_u32_e32 v6, vcc, 0, v8, vcc
	s_and_b64 vcc, exec, s[26:27]
	s_barrier
	s_cbranch_vccz .LBB94_41
; %bb.32:
	v_sub_co_u32_e32 v4, vcc, v7, v18
	s_ashr_i32 s21, s20, 31
	v_subbrev_co_u32_e32 v9, vcc, 0, v8, vcc
	s_lshl_b64 s[30:31], s[20:21], 3
	v_mov_b32_e32 v10, s31
	v_add_co_u32_e32 v4, vcc, s30, v4
	v_or_b32_e32 v3, 32, v2
	v_addc_co_u32_e32 v9, vcc, v9, v10, vcc
	v_add_co_u32_e32 v10, vcc, -8, v4
	v_cmp_gt_i32_e64 s[12:13], s20, v3
	v_addc_co_u32_e32 v4, vcc, -1, v9, vcc
	v_cndmask_b32_e64 v3, v10, v5, s[12:13]
	s_sub_i32 s21, s20, 32
	v_mov_b32_e32 v9, 0
	v_mov_b32_e32 v11, 0
	v_cndmask_b32_e64 v4, v4, v6, s[12:13]
	v_mov_b32_e32 v10, 0
	v_mov_b32_e32 v12, 0
	v_cmp_gt_i32_e32 vcc, s21, v13
	s_and_saveexec_b64 s[34:35], vcc
	s_cbranch_execz .LBB94_34
; %bb.33:
	global_load_dwordx2 v[11:12], v[3:4], off
.LBB94_34:
	s_or_b64 exec, exec, s[34:35]
	s_movk_i32 s34, 0x108
	v_mad_u32_u24 v28, v13, s34, v20
	s_waitcnt vmcnt(0)
	ds_write_b64 v28, v[11:12]
	v_add_u32_e32 v11, 8, v13
	v_mul_u32_u24_e32 v27, 0x108, v13
	v_cmp_gt_i32_e32 vcc, s21, v11
	s_and_saveexec_b64 s[34:35], vcc
	s_cbranch_execz .LBB94_36
; %bb.35:
	s_lshl_b64 s[40:41], s[16:17], 6
	v_mov_b32_e32 v10, s41
	v_add_co_u32_e32 v9, vcc, s40, v3
	v_addc_co_u32_e32 v10, vcc, v4, v10, vcc
	global_load_dwordx2 v[9:10], v[9:10], off
.LBB94_36:
	s_or_b64 exec, exec, s[34:35]
	v_add_u32_e32 v27, v27, v20
	s_waitcnt vmcnt(0)
	ds_write_b64 v27, v[9:10] offset:2112
	v_add_u32_e32 v28, 16, v13
	v_mov_b32_e32 v9, 0
	v_mov_b32_e32 v11, 0
	;; [unrolled: 1-line block ×4, first 2 shown]
	v_cmp_gt_i32_e32 vcc, s21, v28
	s_and_saveexec_b64 s[34:35], vcc
	s_cbranch_execz .LBB94_38
; %bb.37:
	s_lshl_b64 s[40:41], s[16:17], 7
	v_mov_b32_e32 v12, s41
	v_add_co_u32_e32 v11, vcc, s40, v3
	v_addc_co_u32_e32 v12, vcc, v4, v12, vcc
	global_load_dwordx2 v[11:12], v[11:12], off
.LBB94_38:
	s_or_b64 exec, exec, s[34:35]
	s_waitcnt vmcnt(0)
	ds_write_b64 v27, v[11:12] offset:4224
	v_add_u32_e32 v11, 24, v13
	v_cmp_gt_i32_e32 vcc, s21, v11
	s_and_saveexec_b64 s[34:35], vcc
	s_cbranch_execz .LBB94_40
; %bb.39:
	v_mov_b32_e32 v9, 0xc0
	v_mad_u64_u32 v[9:10], s[40:41], s16, v9, v[3:4]
	s_mul_i32 s21, s17, 0xc0
	v_add_u32_e32 v10, s21, v10
	global_load_dwordx2 v[9:10], v[9:10], off
.LBB94_40:
	s_or_b64 exec, exec, s[34:35]
	v_add_co_u32_e32 v3, vcc, v3, v18
	v_addc_co_u32_e32 v4, vcc, 0, v4, vcc
	s_waitcnt vmcnt(0)
	ds_write_b64 v27, v[9:10] offset:6336
	v_mov_b32_e32 v9, s31
	v_subrev_co_u32_e32 v3, vcc, s30, v3
	v_subb_co_u32_e32 v4, vcc, v4, v9, vcc
	v_add_co_u32_e32 v3, vcc, 0x108, v3
	v_addc_co_u32_e32 v4, vcc, 0, v4, vcc
	v_cndmask_b32_e64 v4, v4, v6, s[12:13]
	v_cndmask_b32_e64 v3, v3, v5, s[12:13]
	v_mul_u32_u24_e32 v9, 0x420, v13
	s_branch .LBB94_43
.LBB94_41:
                                        ; implicit-def: $vgpr3_vgpr4
	v_mul_u32_u24_e32 v9, 0x420, v13
	s_cbranch_execz .LBB94_43
; %bb.42:
	s_lshl_b64 s[12:13], s[16:17], 6
	v_mov_b32_e32 v12, s13
	v_add_co_u32_e32 v3, vcc, s12, v7
	v_addc_co_u32_e32 v4, vcc, v8, v12, vcc
	v_add_co_u32_e32 v10, vcc, s12, v3
	v_addc_co_u32_e32 v11, vcc, v4, v12, vcc
	;; [unrolled: 2-line block ×3, first 2 shown]
	global_load_dwordx2 v[29:30], v[7:8], off offset:256
	global_load_dwordx2 v[31:32], v[3:4], off offset:256
	global_load_dwordx2 v[33:34], v[10:11], off offset:256
	global_load_dwordx2 v[35:36], v[27:28], off offset:256
	s_movk_i32 s12, 0x108
	v_mad_u32_u24 v3, v13, s12, v20
	s_waitcnt vmcnt(3)
	ds_write_b64 v3, v[29:30]
	s_waitcnt vmcnt(2)
	ds_write_b64 v3, v[31:32] offset:2112
	s_waitcnt vmcnt(1)
	ds_write_b64 v3, v[33:34] offset:4224
	;; [unrolled: 2-line block ×3, first 2 shown]
	v_mov_b32_e32 v3, v5
	v_mov_b32_e32 v4, v6
.LBB94_43:
	v_mul_u32_u24_e32 v6, 0x108, v22
	v_add_u32_e32 v22, v20, v9
	v_lshl_add_u32 v5, v19, 3, v25
	s_waitcnt lgkmcnt(0)
	s_barrier
	s_and_saveexec_b64 s[12:13], s[4:5]
	s_cbranch_execnz .LBB94_60
; %bb.44:
	s_or_b64 exec, exec, s[12:13]
	v_add_u32_e32 v27, v20, v6
	s_and_saveexec_b64 s[4:5], s[14:15]
	s_cbranch_execnz .LBB94_61
.LBB94_45:
	s_or_b64 exec, exec, s[4:5]
	s_and_saveexec_b64 s[4:5], s[8:9]
	s_cbranch_execnz .LBB94_62
.LBB94_46:
	s_or_b64 exec, exec, s[4:5]
	v_add_u32_e32 v28, 0x2380, v23
	s_and_saveexec_b64 s[4:5], s[10:11]
	s_cbranch_execz .LBB94_48
.LBB94_47:
	ds_read_b64 v[6:7], v21
	s_waitcnt lgkmcnt(0)
	ds_write_b64 v5, v[6:7] offset:24
.LBB94_48:
	s_or_b64 exec, exec, s[4:5]
	s_waitcnt lgkmcnt(0)
	s_barrier
	ds_read_b64 v[29:30], v22
	ds_read_b128 v[5:8], v28 offset:256
	ds_read_b128 v[9:12], v28 offset:272
	ds_read_b64 v[33:34], v21
	v_cmp_eq_u32_e64 s[4:5], 1, v13
	s_waitcnt lgkmcnt(2)
	v_fma_f64 v[5:6], v[29:30], v[5:6], 0
	ds_read2_b64 v[29:32], v27 offset1:33
	s_waitcnt lgkmcnt(0)
	s_barrier
	v_fma_f64 v[5:6], v[29:30], v[7:8], v[5:6]
	v_fma_f64 v[5:6], v[31:32], v[9:10], v[5:6]
	;; [unrolled: 1-line block ×3, first 2 shown]
	ds_write_b64 v26, v[5:6]
	s_waitcnt lgkmcnt(0)
	s_barrier
	s_and_saveexec_b64 s[8:9], s[4:5]
	s_cbranch_execz .LBB94_50
; %bb.49:
	ds_read2_b64 v[5:8], v25 offset1:1
	ds_read2_b64 v[9:12], v25 offset0:2 offset1:3
	s_waitcnt lgkmcnt(1)
	v_add_f64 v[5:6], v[5:6], v[7:8]
	s_waitcnt lgkmcnt(0)
	v_add_f64 v[5:6], v[5:6], v[9:10]
	v_add_f64 v[29:30], v[5:6], v[11:12]
	ds_read2_b64 v[5:8], v25 offset0:4 offset1:5
	ds_read2_b64 v[9:12], v25 offset0:6 offset1:7
	s_waitcnt lgkmcnt(1)
	v_add_f64 v[5:6], v[29:30], v[5:6]
	v_add_f64 v[5:6], v[5:6], v[7:8]
	s_waitcnt lgkmcnt(0)
	v_add_f64 v[5:6], v[5:6], v[9:10]
	v_add_f64 v[60:61], v[5:6], v[11:12]
.LBB94_50:
	s_or_b64 exec, exec, s[8:9]
	v_add_co_u32_e32 v5, vcc, 0xffffff00, v3
	v_addc_co_u32_e32 v6, vcc, -1, v4, vcc
	s_and_b64 vcc, exec, s[26:27]
	s_barrier
	s_cbranch_vccz .LBB94_63
; %bb.51:
	v_sub_co_u32_e32 v7, vcc, v3, v18
	s_ashr_i32 s21, s20, 31
	v_subbrev_co_u32_e32 v8, vcc, 0, v4, vcc
	s_lshl_b64 s[10:11], s[20:21], 3
	v_mov_b32_e32 v9, s11
	v_add_co_u32_e32 v7, vcc, s10, v7
	v_addc_co_u32_e32 v8, vcc, v8, v9, vcc
	v_add_co_u32_e32 v7, vcc, 0xfffffef8, v7
	v_addc_co_u32_e32 v8, vcc, -1, v8, vcc
	v_cmp_gt_i32_e32 vcc, s20, v2
	s_sub_i32 s14, s20, 32
	v_mov_b32_e32 v9, 0
	v_mov_b32_e32 v11, 0
	v_cndmask_b32_e32 v8, v8, v6, vcc
	v_cndmask_b32_e32 v7, v7, v5, vcc
	v_mov_b32_e32 v10, 0
	v_mov_b32_e32 v12, 0
	v_cmp_gt_i32_e64 s[8:9], s14, v13
	s_and_saveexec_b64 s[12:13], s[8:9]
	s_cbranch_execz .LBB94_53
; %bb.52:
	global_load_dwordx2 v[11:12], v[7:8], off
.LBB94_53:
	s_or_b64 exec, exec, s[12:13]
	s_movk_i32 s8, 0x108
	v_mad_u32_u24 v2, v13, s8, v20
	s_waitcnt vmcnt(0)
	ds_write_b64 v2, v[11:12]
	v_add_u32_e32 v2, 8, v13
	v_mul_u32_u24_e32 v19, 0x108, v13
	v_cmp_gt_i32_e64 s[8:9], s14, v2
	s_and_saveexec_b64 s[12:13], s[8:9]
	s_cbranch_execz .LBB94_55
; %bb.54:
	s_lshl_b64 s[8:9], s[16:17], 6
	v_mov_b32_e32 v10, s9
	v_add_co_u32_e64 v9, s[8:9], s8, v7
	v_addc_co_u32_e64 v10, s[8:9], v8, v10, s[8:9]
	global_load_dwordx2 v[9:10], v[9:10], off
.LBB94_55:
	s_or_b64 exec, exec, s[12:13]
	v_add_u32_e32 v19, v19, v20
	s_waitcnt vmcnt(0)
	ds_write_b64 v19, v[9:10] offset:2112
	v_add_u32_e32 v23, 16, v13
	v_mov_b32_e32 v9, 0
	v_mov_b32_e32 v11, 0
	;; [unrolled: 1-line block ×4, first 2 shown]
	v_cmp_gt_i32_e64 s[8:9], s14, v23
	s_and_saveexec_b64 s[12:13], s[8:9]
	s_cbranch_execz .LBB94_57
; %bb.56:
	s_lshl_b64 s[8:9], s[16:17], 7
	v_mov_b32_e32 v12, s9
	v_add_co_u32_e64 v11, s[8:9], s8, v7
	v_addc_co_u32_e64 v12, s[8:9], v8, v12, s[8:9]
	global_load_dwordx2 v[11:12], v[11:12], off
.LBB94_57:
	s_or_b64 exec, exec, s[12:13]
	s_waitcnt vmcnt(0)
	ds_write_b64 v19, v[11:12] offset:4224
	v_add_u32_e32 v11, 24, v13
	v_cmp_gt_i32_e64 s[8:9], s14, v11
	s_and_saveexec_b64 s[12:13], s[8:9]
	s_cbranch_execz .LBB94_59
; %bb.58:
	v_mov_b32_e32 v9, 0xc0
	v_mad_u64_u32 v[9:10], s[8:9], s16, v9, v[7:8]
	s_mul_i32 s8, s17, 0xc0
	v_add_u32_e32 v10, s8, v10
	global_load_dwordx2 v[9:10], v[9:10], off
.LBB94_59:
	s_or_b64 exec, exec, s[12:13]
	v_add_co_u32_e64 v7, s[8:9], v7, v18
	v_addc_co_u32_e64 v8, s[8:9], 0, v8, s[8:9]
	s_waitcnt vmcnt(0)
	ds_write_b64 v19, v[9:10] offset:6336
	v_mov_b32_e32 v9, s11
	v_subrev_co_u32_e64 v7, s[8:9], s10, v7
	v_subb_co_u32_e64 v8, s[8:9], v8, v9, s[8:9]
	v_add_co_u32_e64 v7, s[8:9], 8, v7
	v_addc_co_u32_e64 v8, s[8:9], 0, v8, s[8:9]
	v_cndmask_b32_e32 v19, v8, v6, vcc
	v_cndmask_b32_e32 v18, v7, v5, vcc
	s_branch .LBB94_65
.LBB94_60:
	ds_read_b64 v[7:8], v22
	s_waitcnt lgkmcnt(0)
	ds_write_b64 v5, v[7:8]
	s_or_b64 exec, exec, s[12:13]
	v_add_u32_e32 v27, v20, v6
	s_and_saveexec_b64 s[4:5], s[14:15]
	s_cbranch_execz .LBB94_45
.LBB94_61:
	ds_read_b64 v[6:7], v27
	s_waitcnt lgkmcnt(0)
	ds_write_b64 v5, v[6:7] offset:8
	s_or_b64 exec, exec, s[4:5]
	s_and_saveexec_b64 s[4:5], s[8:9]
	s_cbranch_execz .LBB94_46
.LBB94_62:
	ds_read_b64 v[6:7], v27 offset:264
	s_waitcnt lgkmcnt(0)
	ds_write_b64 v5, v[6:7] offset:16
	s_or_b64 exec, exec, s[4:5]
	v_add_u32_e32 v28, 0x2380, v23
	s_and_saveexec_b64 s[4:5], s[10:11]
	s_cbranch_execnz .LBB94_47
	s_branch .LBB94_48
.LBB94_63:
                                        ; implicit-def: $vgpr18_vgpr19
                                        ; implicit-def: $vgpr2
                                        ; implicit-def: $vgpr23
                                        ; implicit-def: $vgpr11
	s_cbranch_execz .LBB94_65
; %bb.64:
	s_lshl_b64 s[8:9], s[16:17], 6
	v_mov_b32_e32 v2, s9
	v_add_co_u32_e32 v7, vcc, s8, v3
	v_addc_co_u32_e32 v8, vcc, v4, v2, vcc
	v_add_co_u32_e32 v9, vcc, s8, v7
	v_addc_co_u32_e32 v10, vcc, v8, v2, vcc
	;; [unrolled: 2-line block ×3, first 2 shown]
	global_load_dwordx2 v[18:19], v[3:4], off offset:-256
	global_load_dwordx2 v[29:30], v[7:8], off offset:-256
	;; [unrolled: 1-line block ×4, first 2 shown]
	s_movk_i32 s8, 0x108
	v_mad_u32_u24 v3, v13, s8, v20
	v_add_u32_e32 v2, 8, v13
	v_add_u32_e32 v23, 16, v13
	;; [unrolled: 1-line block ×3, first 2 shown]
	s_waitcnt vmcnt(3)
	ds_write_b64 v3, v[18:19]
	s_waitcnt vmcnt(2)
	ds_write_b64 v3, v[29:30] offset:2112
	s_waitcnt vmcnt(1)
	ds_write_b64 v3, v[31:32] offset:4224
	;; [unrolled: 2-line block ×3, first 2 shown]
	v_mov_b32_e32 v19, v6
	v_mov_b32_e32 v18, v5
.LBB94_65:
	v_lshlrev_b32_e32 v6, 3, v13
	v_add_u32_e32 v3, v25, v6
	s_waitcnt lgkmcnt(0)
	s_barrier
	v_lshlrev_b32_e32 v8, 3, v2
	ds_read_b64 v[2:3], v3
	ds_read_b64 v[4:5], v8 offset:9088
	ds_read_b64 v[6:7], v6 offset:9088
	ds_read_b64 v[20:21], v21
	v_lshlrev_b32_e32 v12, 3, v23
	v_lshlrev_b32_e32 v13, 3, v11
	s_waitcnt lgkmcnt(1)
	v_fma_f64 v[2:3], v[2:3], v[6:7], 0
	v_add_u32_e32 v6, v25, v8
	ds_read_b64 v[6:7], v6
	ds_read_b64 v[8:9], v13 offset:9088
	ds_read_b64 v[10:11], v12 offset:9088
	s_waitcnt lgkmcnt(2)
	v_fma_f64 v[2:3], v[6:7], v[4:5], v[2:3]
	v_add_u32_e32 v4, v25, v12
	ds_read_b64 v[4:5], v4
	s_waitcnt lgkmcnt(0)
	v_fma_f64 v[2:3], v[4:5], v[10:11], v[2:3]
	v_add_u32_e32 v4, v25, v13
	ds_read_b64 v[4:5], v4
	ds_read_b64 v[22:23], v22
	s_waitcnt lgkmcnt(1)
	v_fma_f64 v[29:30], v[4:5], v[8:9], v[2:3]
	ds_read_b128 v[10:13], v28 offset:256
	ds_read_b128 v[2:5], v28 offset:272
	ds_read2_b64 v[6:9], v27 offset1:33
	s_waitcnt lgkmcnt(0)
	s_barrier
	ds_write_b64 v26, v[29:30]
	s_waitcnt lgkmcnt(0)
	s_barrier
	s_and_saveexec_b64 s[8:9], s[4:5]
	s_cbranch_execz .LBB94_67
; %bb.66:
	ds_read2_b64 v[27:30], v25 offset1:1
	s_waitcnt lgkmcnt(0)
	v_add_f64 v[27:28], v[60:61], v[27:28]
	v_add_f64 v[31:32], v[27:28], v[29:30]
	ds_read2_b64 v[27:30], v25 offset0:2 offset1:3
	s_waitcnt lgkmcnt(0)
	v_add_f64 v[27:28], v[31:32], v[27:28]
	v_add_f64 v[31:32], v[27:28], v[29:30]
	ds_read2_b64 v[27:30], v25 offset0:4 offset1:5
	;; [unrolled: 4-line block ×3, first 2 shown]
	s_waitcnt lgkmcnt(0)
	v_add_f64 v[27:28], v[31:32], v[27:28]
	v_add_f64 v[60:61], v[27:28], v[29:30]
.LBB94_67:
	s_or_b64 exec, exec, s[8:9]
	v_fma_f64 v[10:11], v[22:23], v[10:11], 0
	s_barrier
	v_fma_f64 v[6:7], v[6:7], v[12:13], v[10:11]
	v_fma_f64 v[2:3], v[8:9], v[2:3], v[6:7]
	;; [unrolled: 1-line block ×3, first 2 shown]
	ds_write_b64 v26, v[2:3]
	s_waitcnt lgkmcnt(0)
	s_barrier
	s_and_saveexec_b64 s[4:5], s[2:3]
	s_cbranch_execz .LBB94_69
; %bb.68:
	ds_read2_b64 v[2:5], v25 offset1:1
	ds_read2_b64 v[6:9], v25 offset0:2 offset1:3
	s_waitcnt lgkmcnt(1)
	v_add_f64 v[2:3], v[60:61], v[2:3]
	v_add_f64 v[2:3], v[2:3], v[4:5]
	s_waitcnt lgkmcnt(0)
	v_add_f64 v[2:3], v[2:3], v[6:7]
	v_add_f64 v[10:11], v[2:3], v[8:9]
	ds_read2_b64 v[2:5], v25 offset0:4 offset1:5
	ds_read2_b64 v[6:9], v25 offset0:6 offset1:7
	s_waitcnt lgkmcnt(1)
	v_add_f64 v[2:3], v[10:11], v[2:3]
	v_add_f64 v[2:3], v[2:3], v[4:5]
	s_waitcnt lgkmcnt(0)
	v_add_f64 v[2:3], v[2:3], v[6:7]
	v_add_f64 v[60:61], v[2:3], v[8:9]
.LBB94_69:
	s_or_b64 exec, exec, s[4:5]
	s_mul_hi_u32 s2, s37, s7
	s_mul_i32 s38, s38, s7
	s_add_i32 s2, s2, s38
	s_mul_i32 s4, s37, s7
	s_mul_i32 s2, s2, s33
	s_mul_hi_u32 s3, s4, s33
	s_add_i32 s3, s3, s2
	s_mul_i32 s2, s4, s33
	s_lshl_b64 s[2:3], s[2:3], 3
	s_add_u32 s4, s28, s2
	s_addc_u32 s5, s29, s3
	s_mul_hi_i32 s3, s37, s6
	s_mul_i32 s2, s37, s6
	s_lshl_b64 s[2:3], s[2:3], 3
	s_add_u32 s7, s4, s2
	s_addc_u32 s14, s5, s3
	s_add_i32 s2, s6, 1
	s_cmp_ge_u32 s2, s33
	v_lshlrev_b32_e32 v94, 3, v0
	s_barrier
	s_cbranch_scc1 .LBB94_126
; %bb.70:
	v_lshlrev_b32_e32 v7, 5, v1
	v_add_u32_e32 v4, 0x100, v7
	v_mad_u64_u32 v[2:3], s[2:3], s16, v4, 0
	v_add_u32_e32 v6, 0x110, v7
	v_add_u32_e32 v20, 0x180, v7
	v_mad_u64_u32 v[3:4], s[2:3], s17, v4, v[3:4]
	v_mad_u64_u32 v[4:5], s[2:3], s16, v6, 0
	v_sub_co_u32_e32 v8, vcc, v2, v16
	v_mov_b32_e32 v2, v5
	v_subb_co_u32_e32 v9, vcc, v3, v17, vcc
	v_mad_u64_u32 v[2:3], s[2:3], s17, v6, v[2:3]
	v_add_u32_e32 v3, 0x118, v7
	v_mad_u64_u32 v[5:6], s[2:3], s16, v3, 0
	v_sub_co_u32_e32 v10, vcc, v4, v16
	v_subb_co_u32_e32 v11, vcc, v2, v17, vcc
	v_mov_b32_e32 v2, v6
	v_mad_u64_u32 v[2:3], s[2:3], s17, v3, v[2:3]
	v_add_u32_e32 v6, 0x108, v7
	v_mad_u64_u32 v[3:4], s[2:3], s16, v6, 0
	v_sub_co_u32_e32 v12, vcc, v5, v16
	v_subb_co_u32_e32 v13, vcc, v2, v17, vcc
	v_mov_b32_e32 v2, v4
	v_mad_u64_u32 v[4:5], s[2:3], s17, v6, v[2:3]
	v_mad_u64_u32 v[5:6], s[2:3], s16, v20, 0
	v_sub_co_u32_e32 v21, vcc, v3, v16
	v_mov_b32_e32 v2, v6
	v_mad_u64_u32 v[2:3], s[2:3], s17, v20, v[2:3]
	v_add_u32_e32 v6, 0x188, v7
	v_subb_co_u32_e32 v22, vcc, v4, v17, vcc
	v_mad_u64_u32 v[3:4], s[2:3], s16, v6, 0
	v_sub_co_u32_e32 v20, vcc, v5, v16
	v_subb_co_u32_e32 v23, vcc, v2, v17, vcc
	v_mov_b32_e32 v2, v4
	v_mad_u64_u32 v[4:5], s[2:3], s17, v6, v[2:3]
	v_add_u32_e32 v25, 0x190, v7
	v_mad_u64_u32 v[5:6], s[2:3], s16, v25, 0
	v_sub_co_u32_e32 v26, vcc, v3, v16
	v_mov_b32_e32 v2, v6
	v_mad_u64_u32 v[2:3], s[2:3], s17, v25, v[2:3]
	v_add_u32_e32 v6, 0x198, v7
	v_subb_co_u32_e32 v27, vcc, v4, v17, vcc
	v_mad_u64_u32 v[3:4], s[2:3], s16, v6, 0
	v_sub_co_u32_e32 v25, vcc, v5, v16
	v_subb_co_u32_e32 v28, vcc, v2, v17, vcc
	v_mov_b32_e32 v2, v4
	v_mad_u64_u32 v[4:5], s[2:3], s17, v6, v[2:3]
	v_add_u32_e32 v29, 0x200, v7
	;; [unrolled: 12-line block ×5, first 2 shown]
	v_mad_u64_u32 v[5:6], s[2:3], s16, v41, 0
	v_sub_co_u32_e32 v42, vcc, v3, v16
	v_mov_b32_e32 v2, v6
	v_mad_u64_u32 v[2:3], s[2:3], s17, v41, v[2:3]
	v_add_u32_e32 v6, 0x298, v7
	v_subb_co_u32_e32 v43, vcc, v4, v17, vcc
	v_mad_u64_u32 v[3:4], s[2:3], s16, v6, 0
	v_sub_co_u32_e32 v41, vcc, v5, v16
	v_subb_co_u32_e32 v44, vcc, v2, v17, vcc
	v_mov_b32_e32 v2, v4
	v_mad_u64_u32 v[4:5], s[2:3], s17, v6, v[2:3]
	s_mul_i32 s2, s24, s23
	s_mul_hi_u32 s3, s24, s22
	s_add_i32 s2, s3, s2
	s_mul_i32 s3, s25, s22
	v_sub_co_u32_e32 v2, vcc, v3, v16
	s_add_i32 s3, s2, s3
	s_mul_i32 s2, s24, s22
	v_subb_co_u32_e32 v3, vcc, v4, v17, vcc
	s_lshl_b64 s[2:3], s[2:3], 3
	v_mov_b32_e32 v4, s3
	v_subrev_co_u32_e32 v95, vcc, s2, v14
	v_subb_co_u32_e32 v96, vcc, v15, v4, vcc
	v_add_co_u32_e32 v97, vcc, v18, v8
	v_addc_co_u32_e32 v98, vcc, v19, v9, vcc
	v_add_co_u32_e32 v99, vcc, v18, v10
	v_addc_co_u32_e32 v100, vcc, v19, v11, vcc
	;; [unrolled: 2-line block ×15, first 2 shown]
	v_add_co_u32_e32 v127, vcc, v18, v2
	v_lshrrev_b32_e32 v2, 4, v24
	v_addc_co_u32_e32 v128, vcc, v19, v3, vcc
	s_movk_i32 s4, 0x218
	v_and_b32_e32 v3, 15, v0
	v_lshlrev_b32_e32 v4, 5, v2
	v_mad_u32_u24 v129, v3, s4, v4
	v_and_b32_e32 v4, 48, v0
	v_lshlrev_b32_e32 v4, 3, v4
	v_mad_u32_u24 v130, v3, s4, v4
	v_or_b32_e32 v4, 0x78, v94
	v_mad_u32_u24 v131, v3, s4, v4
	s_movk_i32 s4, 0x860
	v_mul_i32_i24_e32 v2, 0xffffffe8, v2
	v_lshlrev_b32_e32 v134, 2, v1
	v_cmp_gt_u32_e64 s[2:3], 64, v24
	s_add_i32 s15, s33, -2
	v_add_u32_e32 v132, 0x2180, v7
	s_add_i32 s21, s22, 64
	s_lshl_b64 s[8:9], s[16:17], 9
	v_add_u32_e32 v133, v129, v2
	v_add_u32_e32 v135, 0x2180, v94
	;; [unrolled: 1-line block ×3, first 2 shown]
	v_mad_u32_u24 v137, v1, s4, v94
	v_or_b32_e32 v138, 1, v134
	v_or_b32_e32 v139, 2, v134
	;; [unrolled: 1-line block ×3, first 2 shown]
	v_add_u32_e32 v141, 16, v134
	v_add_u32_e32 v142, 17, v134
	;; [unrolled: 1-line block ×12, first 2 shown]
	s_cmp_eq_u32 s15, s6
	s_cselect_b32 s16, s36, 0
	s_and_saveexec_b64 s[4:5], s[0:1]
	s_cbranch_execz .LBB94_74
.LBB94_71:
	s_cmp_eq_u32 s16, 0
	s_cselect_b64 s[10:11], -1, 0
	v_cmp_gt_i32_e32 vcc, s16, v0
	v_mov_b32_e32 v2, 0
	v_mov_b32_e32 v3, 0
	s_or_b64 s[12:13], s[10:11], vcc
	s_and_saveexec_b64 s[10:11], s[12:13]
	s_cbranch_execz .LBB94_73
; %bb.72:
	s_ashr_i32 s12, s21, 31
	s_mul_hi_u32 s13, s24, s21
	s_mul_i32 s12, s24, s12
	s_add_i32 s12, s13, s12
	s_mul_i32 s13, s25, s21
	s_add_i32 s13, s12, s13
	s_mul_i32 s12, s24, s21
	s_lshl_b64 s[12:13], s[12:13], 3
	v_mov_b32_e32 v3, s13
	v_add_co_u32_e32 v2, vcc, s12, v95
	v_addc_co_u32_e32 v3, vcc, v96, v3, vcc
	global_load_dwordx2 v[2:3], v[2:3], off
.LBB94_73:
	s_or_b64 exec, exec, s[10:11]
	s_waitcnt vmcnt(0)
	ds_write_b64 v135, v[2:3]
.LBB94_74:                              ; =>This Inner Loop Header: Depth=1
	s_or_b64 exec, exec, s[4:5]
	s_cmp_eq_u32 s16, 0
	v_add_co_u32_e32 v2, vcc, v97, v94
	s_cselect_b64 s[10:11], -1, 0
	s_cmp_lg_u32 s16, 0
	v_addc_co_u32_e32 v3, vcc, 0, v98, vcc
	s_cselect_b64 s[12:13], -1, 0
	s_mov_b64 s[4:5], -1
	s_and_b64 vcc, exec, s[12:13]
	s_waitcnt lgkmcnt(0)
	s_barrier
                                        ; implicit-def: $vgpr68_vgpr69
                                        ; implicit-def: $vgpr66_vgpr67
                                        ; implicit-def: $vgpr64_vgpr65
                                        ; implicit-def: $vgpr62_vgpr63
	s_cbranch_vccz .LBB94_84
; %bb.75:                               ;   in Loop: Header=BB94_74 Depth=1
	v_mov_b32_e32 v64, 0
	v_mov_b32_e32 v62, 0
	;; [unrolled: 1-line block ×4, first 2 shown]
	v_cmp_gt_i32_e32 vcc, s16, v134
	s_and_saveexec_b64 s[4:5], vcc
	s_cbranch_execz .LBB94_77
; %bb.76:                               ;   in Loop: Header=BB94_74 Depth=1
	global_load_dwordx2 v[62:63], v[2:3], off
.LBB94_77:                              ;   in Loop: Header=BB94_74 Depth=1
	s_or_b64 exec, exec, s[4:5]
	v_cmp_gt_i32_e32 vcc, s16, v138
	s_and_saveexec_b64 s[4:5], vcc
	s_cbranch_execz .LBB94_79
; %bb.78:                               ;   in Loop: Header=BB94_74 Depth=1
	v_add_co_u32_e32 v4, vcc, v103, v94
	v_addc_co_u32_e32 v5, vcc, 0, v104, vcc
	global_load_dwordx2 v[64:65], v[4:5], off
.LBB94_79:                              ;   in Loop: Header=BB94_74 Depth=1
	s_or_b64 exec, exec, s[4:5]
	v_mov_b32_e32 v68, 0
	v_mov_b32_e32 v66, 0
	;; [unrolled: 1-line block ×4, first 2 shown]
	v_cmp_gt_i32_e32 vcc, s16, v139
	s_and_saveexec_b64 s[4:5], vcc
	s_cbranch_execz .LBB94_81
; %bb.80:                               ;   in Loop: Header=BB94_74 Depth=1
	v_add_co_u32_e32 v4, vcc, v99, v94
	v_addc_co_u32_e32 v5, vcc, 0, v100, vcc
	global_load_dwordx2 v[66:67], v[4:5], off
.LBB94_81:                              ;   in Loop: Header=BB94_74 Depth=1
	s_or_b64 exec, exec, s[4:5]
	v_cmp_gt_i32_e32 vcc, s16, v140
	s_and_saveexec_b64 s[4:5], vcc
	s_cbranch_execz .LBB94_83
; %bb.82:                               ;   in Loop: Header=BB94_74 Depth=1
	v_add_co_u32_e32 v4, vcc, v101, v94
	v_addc_co_u32_e32 v5, vcc, 0, v102, vcc
	global_load_dwordx2 v[68:69], v[4:5], off
.LBB94_83:                              ;   in Loop: Header=BB94_74 Depth=1
	s_or_b64 exec, exec, s[4:5]
	s_mov_b64 s[4:5], 0
.LBB94_84:                              ;   in Loop: Header=BB94_74 Depth=1
	s_and_b64 vcc, exec, s[4:5]
	s_cbranch_vccz .LBB94_86
; %bb.85:                               ;   in Loop: Header=BB94_74 Depth=1
	global_load_dwordx2 v[62:63], v[2:3], off
	v_add_co_u32_e32 v2, vcc, v103, v94
	v_addc_co_u32_e32 v3, vcc, 0, v104, vcc
	global_load_dwordx2 v[64:65], v[2:3], off
	v_add_co_u32_e32 v2, vcc, v99, v94
	v_addc_co_u32_e32 v3, vcc, 0, v100, vcc
	;; [unrolled: 3-line block ×3, first 2 shown]
	global_load_dwordx2 v[68:69], v[2:3], off
.LBB94_86:                              ;   in Loop: Header=BB94_74 Depth=1
	ds_read_b64 v[2:3], v136
	v_add_co_u32_e32 v18, vcc, v105, v94
	v_addc_co_u32_e32 v19, vcc, 0, v106, vcc
	s_waitcnt vmcnt(0) lgkmcnt(0)
	v_mul_f64 v[10:11], v[62:63], v[2:3]
	v_mul_f64 v[12:13], v[64:65], v[2:3]
	;; [unrolled: 1-line block ×4, first 2 shown]
	ds_read_b128 v[6:9], v132
	ds_read_b128 v[2:5], v132 offset:16
	v_cndmask_b32_e64 v20, 0, 1, s[12:13]
	v_cmp_ne_u32_e64 s[4:5], 1, v20
	s_andn2_b64 vcc, exec, s[12:13]
	ds_write2_b64 v137, v[10:11], v[12:13] offset1:67
	ds_write2_b64 v137, v[14:15], v[16:17] offset0:134 offset1:201
	s_waitcnt lgkmcnt(0)
	s_barrier
	ds_read2_b64 v[14:17], v129 offset1:1
	ds_read2_b64 v[10:13], v129 offset0:2 offset1:3
	s_mov_b64 s[12:13], -1
	s_waitcnt lgkmcnt(0)
	s_barrier
                                        ; implicit-def: $vgpr76_vgpr77
                                        ; implicit-def: $vgpr74_vgpr75
                                        ; implicit-def: $vgpr72_vgpr73
                                        ; implicit-def: $vgpr70_vgpr71
	s_cbranch_vccnz .LBB94_96
; %bb.87:                               ;   in Loop: Header=BB94_74 Depth=1
	v_mov_b32_e32 v72, 0
	v_mov_b32_e32 v70, 0
	;; [unrolled: 1-line block ×4, first 2 shown]
	v_cmp_gt_i32_e32 vcc, s16, v141
	s_and_saveexec_b64 s[12:13], vcc
	s_cbranch_execz .LBB94_89
; %bb.88:                               ;   in Loop: Header=BB94_74 Depth=1
	global_load_dwordx2 v[70:71], v[18:19], off
.LBB94_89:                              ;   in Loop: Header=BB94_74 Depth=1
	s_or_b64 exec, exec, s[12:13]
	v_cmp_gt_i32_e32 vcc, s16, v142
	s_and_saveexec_b64 s[12:13], vcc
	s_cbranch_execz .LBB94_91
; %bb.90:                               ;   in Loop: Header=BB94_74 Depth=1
	v_add_co_u32_e32 v20, vcc, v107, v94
	v_addc_co_u32_e32 v21, vcc, 0, v108, vcc
	global_load_dwordx2 v[72:73], v[20:21], off
.LBB94_91:                              ;   in Loop: Header=BB94_74 Depth=1
	s_or_b64 exec, exec, s[12:13]
	v_mov_b32_e32 v76, 0
	v_mov_b32_e32 v74, 0
	;; [unrolled: 1-line block ×4, first 2 shown]
	v_cmp_gt_i32_e32 vcc, s16, v143
	s_and_saveexec_b64 s[12:13], vcc
	s_cbranch_execz .LBB94_93
; %bb.92:                               ;   in Loop: Header=BB94_74 Depth=1
	v_add_co_u32_e32 v20, vcc, v109, v94
	v_addc_co_u32_e32 v21, vcc, 0, v110, vcc
	global_load_dwordx2 v[74:75], v[20:21], off
.LBB94_93:                              ;   in Loop: Header=BB94_74 Depth=1
	s_or_b64 exec, exec, s[12:13]
	v_cmp_gt_i32_e32 vcc, s16, v144
	s_and_saveexec_b64 s[12:13], vcc
	s_cbranch_execz .LBB94_95
; %bb.94:                               ;   in Loop: Header=BB94_74 Depth=1
	v_add_co_u32_e32 v20, vcc, v111, v94
	v_addc_co_u32_e32 v21, vcc, 0, v112, vcc
	global_load_dwordx2 v[76:77], v[20:21], off
.LBB94_95:                              ;   in Loop: Header=BB94_74 Depth=1
	s_or_b64 exec, exec, s[12:13]
	s_mov_b64 s[12:13], 0
.LBB94_96:                              ;   in Loop: Header=BB94_74 Depth=1
	s_and_b64 vcc, exec, s[12:13]
	s_cbranch_vccz .LBB94_98
; %bb.97:                               ;   in Loop: Header=BB94_74 Depth=1
	global_load_dwordx2 v[70:71], v[18:19], off
	v_add_co_u32_e32 v18, vcc, v107, v94
	v_addc_co_u32_e32 v19, vcc, 0, v108, vcc
	global_load_dwordx2 v[72:73], v[18:19], off
	v_add_co_u32_e32 v18, vcc, v109, v94
	v_addc_co_u32_e32 v19, vcc, 0, v110, vcc
	;; [unrolled: 3-line block ×3, first 2 shown]
	global_load_dwordx2 v[76:77], v[18:19], off
.LBB94_98:                              ;   in Loop: Header=BB94_74 Depth=1
	ds_read_b64 v[18:19], v136
	s_mov_b64 s[12:13], -1
                                        ; implicit-def: $vgpr82_vgpr83
                                        ; implicit-def: $vgpr84_vgpr85
                                        ; implicit-def: $vgpr80_vgpr81
                                        ; implicit-def: $vgpr78_vgpr79
	s_waitcnt vmcnt(0) lgkmcnt(0)
	v_mul_f64 v[26:27], v[70:71], v[18:19]
	v_mul_f64 v[28:29], v[72:73], v[18:19]
	;; [unrolled: 1-line block ×4, first 2 shown]
	ds_read_b128 v[22:25], v132 offset:128
	ds_read_b128 v[18:21], v132 offset:144
	ds_write2_b64 v137, v[26:27], v[28:29] offset1:67
	ds_write2_b64 v137, v[30:31], v[32:33] offset0:134 offset1:201
	s_waitcnt lgkmcnt(0)
	s_barrier
	ds_read2_b64 v[38:41], v129 offset1:1
	ds_read2_b64 v[34:37], v129 offset0:2 offset1:3
	v_add_co_u32_e32 v26, vcc, v113, v94
	v_addc_co_u32_e32 v27, vcc, 0, v114, vcc
	s_and_b64 vcc, exec, s[4:5]
	s_waitcnt lgkmcnt(0)
	s_barrier
	s_cbranch_vccnz .LBB94_108
; %bb.99:                               ;   in Loop: Header=BB94_74 Depth=1
	v_mov_b32_e32 v80, 0
	v_mov_b32_e32 v78, 0
	;; [unrolled: 1-line block ×4, first 2 shown]
	v_cmp_gt_i32_e32 vcc, s16, v145
	s_and_saveexec_b64 s[12:13], vcc
	s_cbranch_execz .LBB94_101
; %bb.100:                              ;   in Loop: Header=BB94_74 Depth=1
	global_load_dwordx2 v[78:79], v[26:27], off
.LBB94_101:                             ;   in Loop: Header=BB94_74 Depth=1
	s_or_b64 exec, exec, s[12:13]
	v_cmp_gt_i32_e32 vcc, s16, v146
	s_and_saveexec_b64 s[12:13], vcc
	s_cbranch_execz .LBB94_103
; %bb.102:                              ;   in Loop: Header=BB94_74 Depth=1
	v_add_co_u32_e32 v28, vcc, v115, v94
	v_addc_co_u32_e32 v29, vcc, 0, v116, vcc
	global_load_dwordx2 v[80:81], v[28:29], off
.LBB94_103:                             ;   in Loop: Header=BB94_74 Depth=1
	s_or_b64 exec, exec, s[12:13]
	v_mov_b32_e32 v82, 0
	v_mov_b32_e32 v84, 0
	;; [unrolled: 1-line block ×4, first 2 shown]
	v_cmp_gt_i32_e32 vcc, s16, v147
	s_and_saveexec_b64 s[12:13], vcc
	s_cbranch_execz .LBB94_105
; %bb.104:                              ;   in Loop: Header=BB94_74 Depth=1
	v_add_co_u32_e32 v28, vcc, v117, v94
	v_addc_co_u32_e32 v29, vcc, 0, v118, vcc
	global_load_dwordx2 v[84:85], v[28:29], off
.LBB94_105:                             ;   in Loop: Header=BB94_74 Depth=1
	s_or_b64 exec, exec, s[12:13]
	v_cmp_gt_i32_e32 vcc, s16, v148
	s_and_saveexec_b64 s[12:13], vcc
	s_cbranch_execz .LBB94_107
; %bb.106:                              ;   in Loop: Header=BB94_74 Depth=1
	v_add_co_u32_e32 v28, vcc, v119, v94
	v_addc_co_u32_e32 v29, vcc, 0, v120, vcc
	global_load_dwordx2 v[82:83], v[28:29], off
.LBB94_107:                             ;   in Loop: Header=BB94_74 Depth=1
	s_or_b64 exec, exec, s[12:13]
	s_mov_b64 s[12:13], 0
.LBB94_108:                             ;   in Loop: Header=BB94_74 Depth=1
	s_and_b64 vcc, exec, s[12:13]
	s_cbranch_vccz .LBB94_110
; %bb.109:                              ;   in Loop: Header=BB94_74 Depth=1
	global_load_dwordx2 v[78:79], v[26:27], off
	v_add_co_u32_e32 v26, vcc, v115, v94
	v_addc_co_u32_e32 v27, vcc, 0, v116, vcc
	global_load_dwordx2 v[80:81], v[26:27], off
	v_add_co_u32_e32 v26, vcc, v117, v94
	v_addc_co_u32_e32 v27, vcc, 0, v118, vcc
	;; [unrolled: 3-line block ×3, first 2 shown]
	global_load_dwordx2 v[82:83], v[26:27], off
.LBB94_110:                             ;   in Loop: Header=BB94_74 Depth=1
	ds_read_b64 v[26:27], v136
                                        ; implicit-def: $vgpr90_vgpr91
                                        ; implicit-def: $vgpr92_vgpr93
                                        ; implicit-def: $vgpr86_vgpr87
                                        ; implicit-def: $vgpr88_vgpr89
	s_waitcnt vmcnt(0) lgkmcnt(0)
	v_mul_f64 v[42:43], v[78:79], v[26:27]
	v_mul_f64 v[44:45], v[80:81], v[26:27]
	;; [unrolled: 1-line block ×4, first 2 shown]
	ds_read_b128 v[30:33], v132 offset:256
	ds_read_b128 v[26:29], v132 offset:272
	ds_write2_b64 v137, v[42:43], v[44:45] offset1:67
	ds_write2_b64 v137, v[46:47], v[48:49] offset0:134 offset1:201
	s_waitcnt lgkmcnt(0)
	s_barrier
	ds_read2_b64 v[54:57], v129 offset1:1
	ds_read2_b64 v[50:53], v129 offset0:2 offset1:3
	v_add_co_u32_e32 v42, vcc, v121, v94
	v_addc_co_u32_e32 v43, vcc, 0, v122, vcc
	s_and_b64 vcc, exec, s[4:5]
	s_mov_b64 s[4:5], -1
	s_waitcnt lgkmcnt(0)
	s_barrier
	s_cbranch_vccnz .LBB94_120
; %bb.111:                              ;   in Loop: Header=BB94_74 Depth=1
	v_mov_b32_e32 v86, 0
	v_mov_b32_e32 v88, 0
	;; [unrolled: 1-line block ×4, first 2 shown]
	v_cmp_gt_i32_e32 vcc, s16, v149
	s_and_saveexec_b64 s[4:5], vcc
	s_cbranch_execz .LBB94_113
; %bb.112:                              ;   in Loop: Header=BB94_74 Depth=1
	global_load_dwordx2 v[88:89], v[42:43], off
.LBB94_113:                             ;   in Loop: Header=BB94_74 Depth=1
	s_or_b64 exec, exec, s[4:5]
	v_cmp_gt_i32_e32 vcc, s16, v150
	s_and_saveexec_b64 s[4:5], vcc
	s_cbranch_execz .LBB94_115
; %bb.114:                              ;   in Loop: Header=BB94_74 Depth=1
	v_add_co_u32_e32 v44, vcc, v123, v94
	v_addc_co_u32_e32 v45, vcc, 0, v124, vcc
	global_load_dwordx2 v[86:87], v[44:45], off
.LBB94_115:                             ;   in Loop: Header=BB94_74 Depth=1
	s_or_b64 exec, exec, s[4:5]
	v_mov_b32_e32 v90, 0
	v_mov_b32_e32 v92, 0
	;; [unrolled: 1-line block ×4, first 2 shown]
	v_cmp_gt_i32_e32 vcc, s16, v151
	s_and_saveexec_b64 s[4:5], vcc
	s_cbranch_execz .LBB94_117
; %bb.116:                              ;   in Loop: Header=BB94_74 Depth=1
	v_add_co_u32_e32 v44, vcc, v125, v94
	v_addc_co_u32_e32 v45, vcc, 0, v126, vcc
	global_load_dwordx2 v[92:93], v[44:45], off
.LBB94_117:                             ;   in Loop: Header=BB94_74 Depth=1
	s_or_b64 exec, exec, s[4:5]
	v_cmp_gt_i32_e32 vcc, s16, v152
	s_and_saveexec_b64 s[4:5], vcc
	s_cbranch_execz .LBB94_119
; %bb.118:                              ;   in Loop: Header=BB94_74 Depth=1
	v_add_co_u32_e32 v44, vcc, v127, v94
	v_addc_co_u32_e32 v45, vcc, 0, v128, vcc
	global_load_dwordx2 v[90:91], v[44:45], off
.LBB94_119:                             ;   in Loop: Header=BB94_74 Depth=1
	s_or_b64 exec, exec, s[4:5]
	s_mov_b64 s[4:5], 0
.LBB94_120:                             ;   in Loop: Header=BB94_74 Depth=1
	s_and_b64 vcc, exec, s[4:5]
	s_cbranch_vccz .LBB94_122
; %bb.121:                              ;   in Loop: Header=BB94_74 Depth=1
	global_load_dwordx2 v[88:89], v[42:43], off
	v_add_co_u32_e32 v42, vcc, v123, v94
	v_addc_co_u32_e32 v43, vcc, 0, v124, vcc
	global_load_dwordx2 v[86:87], v[42:43], off
	v_add_co_u32_e32 v42, vcc, v125, v94
	v_addc_co_u32_e32 v43, vcc, 0, v126, vcc
	;; [unrolled: 3-line block ×3, first 2 shown]
	global_load_dwordx2 v[90:91], v[42:43], off
.LBB94_122:                             ;   in Loop: Header=BB94_74 Depth=1
	ds_read_b64 v[42:43], v136
	v_add_f64 v[38:39], v[38:39], 0
	v_add_f64 v[14:15], v[14:15], 0
	;; [unrolled: 1-line block ×3, first 2 shown]
	v_cmp_gt_i32_e32 vcc, s16, v0
	s_waitcnt vmcnt(0) lgkmcnt(0)
	v_mul_f64 v[153:154], v[88:89], v[42:43]
	v_mul_f64 v[155:156], v[86:87], v[42:43]
	;; [unrolled: 1-line block ×4, first 2 shown]
	ds_read_b128 v[46:49], v132 offset:384
	ds_read_b128 v[42:45], v132 offset:400
	v_add_f64 v[38:39], v[38:39], v[40:41]
	v_add_f64 v[14:15], v[14:15], v[16:17]
	v_add_f64 v[54:55], v[54:55], v[56:57]
	ds_write2_b64 v137, v[153:154], v[155:156] offset1:67
	ds_write2_b64 v137, v[157:158], v[159:160] offset0:134 offset1:201
	s_waitcnt lgkmcnt(0)
	s_barrier
	ds_read2_b64 v[153:156], v129 offset1:1
	ds_read2_b64 v[157:160], v129 offset0:2 offset1:3
	v_add_f64 v[34:35], v[38:39], v[34:35]
	v_add_f64 v[10:11], v[14:15], v[10:11]
	;; [unrolled: 1-line block ×3, first 2 shown]
	s_waitcnt lgkmcnt(1)
	v_add_f64 v[153:154], v[153:154], 0
	s_or_b64 s[4:5], s[10:11], vcc
	s_and_b64 s[10:11], s[2:3], s[4:5]
	s_waitcnt lgkmcnt(0)
	s_barrier
	v_add_f64 v[34:35], v[34:35], v[36:37]
	v_add_f64 v[10:11], v[10:11], v[12:13]
	;; [unrolled: 1-line block ×6, first 2 shown]
	ds_write2_b64 v133, v[10:11], v[34:35] offset1:16
	ds_write2_b64 v133, v[16:17], v[12:13] offset0:32 offset1:48
	s_waitcnt lgkmcnt(0)
	s_barrier
	s_and_saveexec_b64 s[4:5], s[10:11]
	s_cbranch_execz .LBB94_124
; %bb.123:                              ;   in Loop: Header=BB94_74 Depth=1
	ds_read2_b64 v[10:13], v130 offset1:1
	ds_read2_b64 v[14:17], v130 offset0:2 offset1:3
	s_waitcnt lgkmcnt(1)
	v_add_f64 v[10:11], v[10:11], v[12:13]
	s_waitcnt lgkmcnt(0)
	v_add_f64 v[10:11], v[10:11], v[14:15]
	v_add_f64 v[34:35], v[10:11], v[16:17]
	ds_read2_b64 v[10:13], v130 offset0:4 offset1:5
	ds_read2_b64 v[14:17], v130 offset0:6 offset1:7
	s_waitcnt lgkmcnt(1)
	v_add_f64 v[10:11], v[34:35], v[10:11]
	v_add_f64 v[10:11], v[10:11], v[12:13]
	s_waitcnt lgkmcnt(0)
	v_add_f64 v[10:11], v[10:11], v[14:15]
	v_add_f64 v[34:35], v[10:11], v[16:17]
	ds_read2_b64 v[10:13], v130 offset0:8 offset1:9
	ds_read2_b64 v[14:17], v130 offset0:10 offset1:11
	s_waitcnt lgkmcnt(1)
	v_add_f64 v[10:11], v[34:35], v[10:11]
	v_add_f64 v[10:11], v[10:11], v[12:13]
	s_waitcnt lgkmcnt(0)
	v_add_f64 v[10:11], v[10:11], v[14:15]
	v_add_f64 v[14:15], v[10:11], v[16:17]
	ds_read2_b64 v[10:13], v130 offset0:12 offset1:13
	ds_read_b64 v[16:17], v130 offset:112
	s_waitcnt lgkmcnt(1)
	v_add_f64 v[10:11], v[14:15], v[10:11]
	v_mov_b32_e32 v14, s14
	v_add_f64 v[10:11], v[10:11], v[12:13]
	ds_read_b64 v[12:13], v131
	s_waitcnt lgkmcnt(1)
	v_add_f64 v[10:11], v[10:11], v[16:17]
	s_waitcnt lgkmcnt(0)
	v_add_f64 v[10:11], v[10:11], v[12:13]
	v_add_u32_e32 v12, s21, v0
	v_ashrrev_i32_e32 v13, 31, v12
	v_lshlrev_b64 v[12:13], 3, v[12:13]
	v_add_co_u32_e32 v12, vcc, s7, v12
	v_addc_co_u32_e32 v13, vcc, v14, v13, vcc
	global_store_dwordx2 v[12:13], v[10:11], off
.LBB94_124:                             ;   in Loop: Header=BB94_74 Depth=1
	s_or_b64 exec, exec, s[4:5]
	v_fma_f64 v[6:7], v[62:63], v[6:7], v[60:61]
	v_add_co_u32_e32 v97, vcc, s8, v97
	s_add_i32 s4, s6, 1
	s_add_i32 s21, s21, 64
	;; [unrolled: 1-line block ×3, first 2 shown]
	s_cmp_ge_u32 s5, s33
	v_fma_f64 v[6:7], v[64:65], v[8:9], v[6:7]
	s_waitcnt vmcnt(0)
	s_barrier
	v_fma_f64 v[2:3], v[66:67], v[2:3], v[6:7]
	v_fma_f64 v[2:3], v[68:69], v[4:5], v[2:3]
	v_mov_b32_e32 v4, s9
	v_addc_co_u32_e32 v98, vcc, v98, v4, vcc
	v_add_co_u32_e32 v99, vcc, s8, v99
	v_addc_co_u32_e32 v100, vcc, v100, v4, vcc
	v_fma_f64 v[2:3], v[70:71], v[22:23], v[2:3]
	v_add_co_u32_e32 v101, vcc, s8, v101
	v_addc_co_u32_e32 v102, vcc, v102, v4, vcc
	v_add_co_u32_e32 v103, vcc, s8, v103
	v_addc_co_u32_e32 v104, vcc, v104, v4, vcc
	v_fma_f64 v[2:3], v[72:73], v[24:25], v[2:3]
	v_add_co_u32_e32 v105, vcc, s8, v105
	;; [unrolled: 5-line block ×7, first 2 shown]
	v_addc_co_u32_e32 v126, vcc, v126, v4, vcc
	v_add_co_u32_e32 v127, vcc, s8, v127
	v_addc_co_u32_e32 v128, vcc, v128, v4, vcc
	v_fma_f64 v[2:3], v[82:83], v[28:29], v[2:3]
	v_fma_f64 v[2:3], v[88:89], v[46:47], v[2:3]
	;; [unrolled: 1-line block ×5, first 2 shown]
	s_cbranch_scc1 .LBB94_126
; %bb.125:                              ;   in Loop: Header=BB94_74 Depth=1
	s_mov_b32 s6, s4
	s_cmp_eq_u32 s15, s6
	s_cselect_b32 s16, s36, 0
	s_and_saveexec_b64 s[4:5], s[0:1]
	s_cbranch_execnz .LBB94_71
	s_branch .LBB94_74
.LBB94_126:
	s_movk_i32 s2, 0x218
	v_cmp_gt_i32_e32 vcc, s20, v0
	v_mad_u32_u24 v1, v1, s2, v94
	s_or_b64 s[2:3], s[18:19], vcc
	s_and_b64 s[0:1], s[0:1], s[2:3]
	ds_write_b64 v1, v[60:61]
	s_waitcnt lgkmcnt(0)
	s_barrier
	s_and_saveexec_b64 s[2:3], s[0:1]
	s_cbranch_execz .LBB94_128
; %bb.127:
	ds_read2_b64 v[0:3], v94 offset1:67
	s_waitcnt lgkmcnt(0)
	v_add_f64 v[4:5], v[0:1], v[2:3]
	ds_read2_b64 v[0:3], v94 offset0:134 offset1:201
	s_waitcnt lgkmcnt(0)
	v_add_f64 v[0:1], v[4:5], v[0:1]
	v_mov_b32_e32 v4, s14
	v_add_f64 v[0:1], v[0:1], v[2:3]
	v_lshlrev_b64 v[2:3], 3, v[58:59]
	v_add_co_u32_e32 v2, vcc, s7, v2
	v_addc_co_u32_e32 v3, vcc, v4, v3, vcc
	global_store_dwordx2 v[2:3], v[0:1], off
.LBB94_128:
	s_endpgm
	.section	.rodata,"a",@progbits
	.p2align	6, 0x0
	.amdhsa_kernel _ZL26rocblas_hemvn_kernel_upperILb0ELi64ELi4ELi33ELi32ELi16ElPKdS1_PdEviT6_lT7_lT5_lS4_lS5_lS3_lT8_i
		.amdhsa_group_segment_fixed_size 9600
		.amdhsa_private_segment_fixed_size 0
		.amdhsa_kernarg_size 376
		.amdhsa_user_sgpr_count 6
		.amdhsa_user_sgpr_private_segment_buffer 1
		.amdhsa_user_sgpr_dispatch_ptr 0
		.amdhsa_user_sgpr_queue_ptr 0
		.amdhsa_user_sgpr_kernarg_segment_ptr 1
		.amdhsa_user_sgpr_dispatch_id 0
		.amdhsa_user_sgpr_flat_scratch_init 0
		.amdhsa_user_sgpr_private_segment_size 0
		.amdhsa_uses_dynamic_stack 0
		.amdhsa_system_sgpr_private_segment_wavefront_offset 0
		.amdhsa_system_sgpr_workgroup_id_x 1
		.amdhsa_system_sgpr_workgroup_id_y 0
		.amdhsa_system_sgpr_workgroup_id_z 1
		.amdhsa_system_sgpr_workgroup_info 0
		.amdhsa_system_vgpr_workitem_id 1
		.amdhsa_next_free_vgpr 161
		.amdhsa_next_free_sgpr 93
		.amdhsa_reserve_vcc 1
		.amdhsa_reserve_flat_scratch 0
		.amdhsa_float_round_mode_32 0
		.amdhsa_float_round_mode_16_64 0
		.amdhsa_float_denorm_mode_32 3
		.amdhsa_float_denorm_mode_16_64 3
		.amdhsa_dx10_clamp 1
		.amdhsa_ieee_mode 1
		.amdhsa_fp16_overflow 0
		.amdhsa_exception_fp_ieee_invalid_op 0
		.amdhsa_exception_fp_denorm_src 0
		.amdhsa_exception_fp_ieee_div_zero 0
		.amdhsa_exception_fp_ieee_overflow 0
		.amdhsa_exception_fp_ieee_underflow 0
		.amdhsa_exception_fp_ieee_inexact 0
		.amdhsa_exception_int_div_zero 0
	.end_amdhsa_kernel
	.section	.text._ZL26rocblas_hemvn_kernel_upperILb0ELi64ELi4ELi33ELi32ELi16ElPKdS1_PdEviT6_lT7_lT5_lS4_lS5_lS3_lT8_i,"axG",@progbits,_ZL26rocblas_hemvn_kernel_upperILb0ELi64ELi4ELi33ELi32ELi16ElPKdS1_PdEviT6_lT7_lT5_lS4_lS5_lS3_lT8_i,comdat
.Lfunc_end94:
	.size	_ZL26rocblas_hemvn_kernel_upperILb0ELi64ELi4ELi33ELi32ELi16ElPKdS1_PdEviT6_lT7_lT5_lS4_lS5_lS3_lT8_i, .Lfunc_end94-_ZL26rocblas_hemvn_kernel_upperILb0ELi64ELi4ELi33ELi32ELi16ElPKdS1_PdEviT6_lT7_lT5_lS4_lS5_lS3_lT8_i
                                        ; -- End function
	.set _ZL26rocblas_hemvn_kernel_upperILb0ELi64ELi4ELi33ELi32ELi16ElPKdS1_PdEviT6_lT7_lT5_lS4_lS5_lS3_lT8_i.num_vgpr, 161
	.set _ZL26rocblas_hemvn_kernel_upperILb0ELi64ELi4ELi33ELi32ELi16ElPKdS1_PdEviT6_lT7_lT5_lS4_lS5_lS3_lT8_i.num_agpr, 0
	.set _ZL26rocblas_hemvn_kernel_upperILb0ELi64ELi4ELi33ELi32ELi16ElPKdS1_PdEviT6_lT7_lT5_lS4_lS5_lS3_lT8_i.numbered_sgpr, 42
	.set _ZL26rocblas_hemvn_kernel_upperILb0ELi64ELi4ELi33ELi32ELi16ElPKdS1_PdEviT6_lT7_lT5_lS4_lS5_lS3_lT8_i.num_named_barrier, 0
	.set _ZL26rocblas_hemvn_kernel_upperILb0ELi64ELi4ELi33ELi32ELi16ElPKdS1_PdEviT6_lT7_lT5_lS4_lS5_lS3_lT8_i.private_seg_size, 0
	.set _ZL26rocblas_hemvn_kernel_upperILb0ELi64ELi4ELi33ELi32ELi16ElPKdS1_PdEviT6_lT7_lT5_lS4_lS5_lS3_lT8_i.uses_vcc, 1
	.set _ZL26rocblas_hemvn_kernel_upperILb0ELi64ELi4ELi33ELi32ELi16ElPKdS1_PdEviT6_lT7_lT5_lS4_lS5_lS3_lT8_i.uses_flat_scratch, 0
	.set _ZL26rocblas_hemvn_kernel_upperILb0ELi64ELi4ELi33ELi32ELi16ElPKdS1_PdEviT6_lT7_lT5_lS4_lS5_lS3_lT8_i.has_dyn_sized_stack, 0
	.set _ZL26rocblas_hemvn_kernel_upperILb0ELi64ELi4ELi33ELi32ELi16ElPKdS1_PdEviT6_lT7_lT5_lS4_lS5_lS3_lT8_i.has_recursion, 0
	.set _ZL26rocblas_hemvn_kernel_upperILb0ELi64ELi4ELi33ELi32ELi16ElPKdS1_PdEviT6_lT7_lT5_lS4_lS5_lS3_lT8_i.has_indirect_call, 0
	.section	.AMDGPU.csdata,"",@progbits
; Kernel info:
; codeLenInByte = 7320
; TotalNumSgprs: 46
; NumVgprs: 161
; ScratchSize: 0
; MemoryBound: 0
; FloatMode: 240
; IeeeMode: 1
; LDSByteSize: 9600 bytes/workgroup (compile time only)
; SGPRBlocks: 12
; VGPRBlocks: 40
; NumSGPRsForWavesPerEU: 97
; NumVGPRsForWavesPerEU: 161
; Occupancy: 1
; WaveLimiterHint : 0
; COMPUTE_PGM_RSRC2:SCRATCH_EN: 0
; COMPUTE_PGM_RSRC2:USER_SGPR: 6
; COMPUTE_PGM_RSRC2:TRAP_HANDLER: 0
; COMPUTE_PGM_RSRC2:TGID_X_EN: 1
; COMPUTE_PGM_RSRC2:TGID_Y_EN: 0
; COMPUTE_PGM_RSRC2:TGID_Z_EN: 1
; COMPUTE_PGM_RSRC2:TIDIG_COMP_CNT: 1
	.section	.text._ZL36rocblas_hemvn_kernel_upper_block_sumILi64ElPKdPddEviT1_lS3_lT2_lT0_lPT3_i,"axG",@progbits,_ZL36rocblas_hemvn_kernel_upper_block_sumILi64ElPKdPddEviT1_lS3_lT2_lT0_lPT3_i,comdat
	.globl	_ZL36rocblas_hemvn_kernel_upper_block_sumILi64ElPKdPddEviT1_lS3_lT2_lT0_lPT3_i ; -- Begin function _ZL36rocblas_hemvn_kernel_upper_block_sumILi64ElPKdPddEviT1_lS3_lT2_lT0_lPT3_i
	.p2align	8
	.type	_ZL36rocblas_hemvn_kernel_upper_block_sumILi64ElPKdPddEviT1_lS3_lT2_lT0_lPT3_i,@function
_ZL36rocblas_hemvn_kernel_upper_block_sumILi64ElPKdPddEviT1_lS3_lT2_lT0_lPT3_i: ; @_ZL36rocblas_hemvn_kernel_upper_block_sumILi64ElPKdPddEviT1_lS3_lT2_lT0_lPT3_i
; %bb.0:
	s_load_dwordx8 s[8:15], s[4:5], 0x8
	s_waitcnt lgkmcnt(0)
	s_mul_i32 s0, s11, s7
	s_mul_hi_u32 s1, s10, s7
	s_add_i32 s1, s1, s0
	s_mul_i32 s0, s10, s7
	s_lshl_b64 s[0:1], s[0:1], 3
	s_add_u32 s0, s8, s0
	s_addc_u32 s1, s9, s1
	s_load_dwordx2 s[2:3], s[0:1], 0x0
	s_mul_i32 s0, s15, s7
	s_mul_hi_u32 s1, s14, s7
	s_add_i32 s1, s1, s0
	s_mul_i32 s0, s14, s7
	s_lshl_b64 s[0:1], s[0:1], 3
	s_add_u32 s0, s12, s0
	s_addc_u32 s1, s13, s1
	s_load_dwordx2 s[16:17], s[0:1], 0x0
	s_waitcnt lgkmcnt(0)
	v_cmp_eq_f64_e64 s[0:1], s[2:3], 0
	v_cmp_eq_f64_e64 s[8:9], s[16:17], 1.0
	s_and_b64 s[0:1], s[0:1], s[8:9]
	s_and_b64 vcc, exec, s[0:1]
	s_cbranch_vccnz .LBB95_19
; %bb.1:
	s_load_dwordx8 s[8:15], s[4:5], 0x30
	s_load_dwordx2 s[0:1], s[4:5], 0x28
	s_load_dword s18, s[4:5], 0x0
	v_cmp_neq_f64_e64 s[20:21], s[2:3], 0
	v_lshl_or_b32 v0, s6, 6, v0
	s_waitcnt lgkmcnt(0)
	s_mul_i32 s13, s13, s7
	s_mul_hi_u32 s19, s12, s7
	s_mul_i32 s12, s12, s7
	s_add_i32 s13, s19, s13
	s_lshl_b64 s[12:13], s[12:13], 3
	s_add_u32 s12, s0, s12
	s_addc_u32 s13, s1, s13
	s_lshl_b64 s[0:1], s[8:9], 3
	s_add_u32 s22, s12, s0
	s_addc_u32 s23, s13, s1
	s_mov_b64 s[8:9], 0
	s_and_b64 vcc, exec, s[20:21]
	v_cmp_gt_i32_e64 s[0:1], s18, v0
	s_cbranch_vccnz .LBB95_6
; %bb.2:
	s_mov_b64 s[12:13], 0
                                        ; implicit-def: $vgpr3_vgpr4
                                        ; implicit-def: $vgpr1_vgpr2
	s_and_saveexec_b64 s[20:21], s[0:1]
	s_cbranch_execz .LBB95_7
; %bb.3:
	v_cmp_eq_f64_e64 s[0:1], s[16:17], 0
	v_ashrrev_i32_e32 v1, 31, v0
	v_mul_lo_u32 v5, s11, v0
	v_mul_lo_u32 v6, s10, v1
	v_mad_u64_u32 v[1:2], s[8:9], s10, v0, 0
	v_mov_b32_e32 v3, 0
	v_mov_b32_e32 v4, 0
	v_add3_u32 v2, v2, v6, v5
	s_and_b64 vcc, exec, s[0:1]
	s_cbranch_vccnz .LBB95_5
; %bb.4:
	v_lshlrev_b64 v[3:4], 3, v[1:2]
	v_mov_b32_e32 v5, s23
	v_add_co_u32_e32 v3, vcc, s22, v3
	v_addc_co_u32_e32 v4, vcc, v5, v4, vcc
	global_load_dwordx2 v[3:4], v[3:4], off
	s_waitcnt vmcnt(0)
	v_mul_f64 v[3:4], s[16:17], v[3:4]
.LBB95_5:
	s_mov_b64 s[8:9], exec
	s_or_b64 exec, exec, s[20:21]
	s_and_b64 vcc, exec, s[12:13]
	s_cbranch_vccnz .LBB95_8
	s_branch .LBB95_17
.LBB95_6:
                                        ; implicit-def: $vgpr3_vgpr4
                                        ; implicit-def: $vgpr1_vgpr2
	s_cbranch_execnz .LBB95_8
	s_branch .LBB95_17
.LBB95_7:
	s_or_b64 exec, exec, s[20:21]
	s_and_b64 vcc, exec, s[12:13]
	s_cbranch_vccz .LBB95_17
.LBB95_8:
	v_cmp_gt_i32_e32 vcc, s18, v0
                                        ; implicit-def: $vgpr3_vgpr4
                                        ; implicit-def: $vgpr1_vgpr2
	s_and_saveexec_b64 s[0:1], vcc
	s_cbranch_execz .LBB95_16
; %bb.9:
	v_mov_b32_e32 v5, 0
	v_mov_b32_e32 v6, 0
	s_cmp_lt_i32 s6, 0
	v_ashrrev_i32_e32 v1, 31, v0
	s_cbranch_scc1 .LBB95_12
; %bb.10:
	s_load_dword s4, s[4:5], 0x58
	s_ashr_i32 s19, s18, 31
	s_mul_hi_u32 s5, s18, s7
	s_mul_i32 s12, s19, s7
	s_add_i32 s5, s5, s12
	s_mul_i32 s7, s18, s7
	s_waitcnt lgkmcnt(0)
	s_mul_i32 s5, s5, s4
	s_mul_hi_u32 s12, s7, s4
	s_add_i32 s5, s12, s5
	s_mul_i32 s4, s7, s4
	s_lshl_b64 s[4:5], s[4:5], 3
	s_add_u32 s4, s14, s4
	v_lshlrev_b64 v[2:3], 3, v[0:1]
	s_addc_u32 s5, s15, s5
	v_mov_b32_e32 v4, s5
	v_add_co_u32_e32 v2, vcc, s4, v2
	s_lshl_b64 s[4:5], s[18:19], 3
	v_mov_b32_e32 v5, 0
	v_addc_co_u32_e32 v3, vcc, v4, v3, vcc
	s_add_i32 s6, s6, 1
	v_mov_b32_e32 v6, 0
	v_mov_b32_e32 v4, s5
.LBB95_11:                              ; =>This Inner Loop Header: Depth=1
	global_load_dwordx2 v[7:8], v[2:3], off
	s_add_i32 s6, s6, -1
	v_add_co_u32_e32 v2, vcc, s4, v2
	s_cmp_eq_u32 s6, 0
	v_addc_co_u32_e32 v3, vcc, v3, v4, vcc
	s_waitcnt vmcnt(0)
	v_add_f64 v[5:6], v[5:6], v[7:8]
	s_cbranch_scc0 .LBB95_11
.LBB95_12:
	v_cmp_eq_f64_e64 s[6:7], s[16:17], 0
	v_mul_lo_u32 v7, s11, v0
	v_mul_lo_u32 v8, s10, v1
	s_mov_b64 s[4:5], 0
	s_and_b64 vcc, exec, s[6:7]
	s_cbranch_vccz .LBB95_20
; %bb.13:
	v_mad_u64_u32 v[1:2], s[6:7], s10, v0, 0
	v_mul_f64 v[3:4], s[2:3], v[5:6]
	v_add3_u32 v2, v2, v8, v7
	s_andn2_b64 vcc, exec, s[4:5]
	s_cbranch_vccnz .LBB95_15
.LBB95_14:
	v_mad_u64_u32 v[1:2], s[4:5], s10, v0, 0
	v_mov_b32_e32 v0, s23
	v_add3_u32 v2, v2, v8, v7
	v_lshlrev_b64 v[3:4], 3, v[1:2]
	v_add_co_u32_e32 v3, vcc, s22, v3
	v_addc_co_u32_e32 v4, vcc, v0, v4, vcc
	global_load_dwordx2 v[3:4], v[3:4], off
	s_waitcnt vmcnt(0)
	v_mul_f64 v[3:4], s[16:17], v[3:4]
	v_fma_f64 v[3:4], s[2:3], v[5:6], v[3:4]
.LBB95_15:
	s_or_b64 s[8:9], s[8:9], exec
.LBB95_16:
	s_or_b64 exec, exec, s[0:1]
.LBB95_17:
	s_and_saveexec_b64 s[0:1], s[8:9]
	s_cbranch_execz .LBB95_19
; %bb.18:
	v_lshlrev_b64 v[0:1], 3, v[1:2]
	v_mov_b32_e32 v2, s23
	v_add_co_u32_e32 v0, vcc, s22, v0
	v_addc_co_u32_e32 v1, vcc, v2, v1, vcc
	global_store_dwordx2 v[0:1], v[3:4], off
.LBB95_19:
	s_endpgm
.LBB95_20:
                                        ; implicit-def: $vgpr3_vgpr4
                                        ; implicit-def: $vgpr1_vgpr2
	s_branch .LBB95_14
	.section	.rodata,"a",@progbits
	.p2align	6, 0x0
	.amdhsa_kernel _ZL36rocblas_hemvn_kernel_upper_block_sumILi64ElPKdPddEviT1_lS3_lT2_lT0_lPT3_i
		.amdhsa_group_segment_fixed_size 0
		.amdhsa_private_segment_fixed_size 0
		.amdhsa_kernarg_size 344
		.amdhsa_user_sgpr_count 6
		.amdhsa_user_sgpr_private_segment_buffer 1
		.amdhsa_user_sgpr_dispatch_ptr 0
		.amdhsa_user_sgpr_queue_ptr 0
		.amdhsa_user_sgpr_kernarg_segment_ptr 1
		.amdhsa_user_sgpr_dispatch_id 0
		.amdhsa_user_sgpr_flat_scratch_init 0
		.amdhsa_user_sgpr_private_segment_size 0
		.amdhsa_uses_dynamic_stack 0
		.amdhsa_system_sgpr_private_segment_wavefront_offset 0
		.amdhsa_system_sgpr_workgroup_id_x 1
		.amdhsa_system_sgpr_workgroup_id_y 0
		.amdhsa_system_sgpr_workgroup_id_z 1
		.amdhsa_system_sgpr_workgroup_info 0
		.amdhsa_system_vgpr_workitem_id 0
		.amdhsa_next_free_vgpr 9
		.amdhsa_next_free_sgpr 24
		.amdhsa_reserve_vcc 1
		.amdhsa_reserve_flat_scratch 0
		.amdhsa_float_round_mode_32 0
		.amdhsa_float_round_mode_16_64 0
		.amdhsa_float_denorm_mode_32 3
		.amdhsa_float_denorm_mode_16_64 3
		.amdhsa_dx10_clamp 1
		.amdhsa_ieee_mode 1
		.amdhsa_fp16_overflow 0
		.amdhsa_exception_fp_ieee_invalid_op 0
		.amdhsa_exception_fp_denorm_src 0
		.amdhsa_exception_fp_ieee_div_zero 0
		.amdhsa_exception_fp_ieee_overflow 0
		.amdhsa_exception_fp_ieee_underflow 0
		.amdhsa_exception_fp_ieee_inexact 0
		.amdhsa_exception_int_div_zero 0
	.end_amdhsa_kernel
	.section	.text._ZL36rocblas_hemvn_kernel_upper_block_sumILi64ElPKdPddEviT1_lS3_lT2_lT0_lPT3_i,"axG",@progbits,_ZL36rocblas_hemvn_kernel_upper_block_sumILi64ElPKdPddEviT1_lS3_lT2_lT0_lPT3_i,comdat
.Lfunc_end95:
	.size	_ZL36rocblas_hemvn_kernel_upper_block_sumILi64ElPKdPddEviT1_lS3_lT2_lT0_lPT3_i, .Lfunc_end95-_ZL36rocblas_hemvn_kernel_upper_block_sumILi64ElPKdPddEviT1_lS3_lT2_lT0_lPT3_i
                                        ; -- End function
	.set _ZL36rocblas_hemvn_kernel_upper_block_sumILi64ElPKdPddEviT1_lS3_lT2_lT0_lPT3_i.num_vgpr, 9
	.set _ZL36rocblas_hemvn_kernel_upper_block_sumILi64ElPKdPddEviT1_lS3_lT2_lT0_lPT3_i.num_agpr, 0
	.set _ZL36rocblas_hemvn_kernel_upper_block_sumILi64ElPKdPddEviT1_lS3_lT2_lT0_lPT3_i.numbered_sgpr, 24
	.set _ZL36rocblas_hemvn_kernel_upper_block_sumILi64ElPKdPddEviT1_lS3_lT2_lT0_lPT3_i.num_named_barrier, 0
	.set _ZL36rocblas_hemvn_kernel_upper_block_sumILi64ElPKdPddEviT1_lS3_lT2_lT0_lPT3_i.private_seg_size, 0
	.set _ZL36rocblas_hemvn_kernel_upper_block_sumILi64ElPKdPddEviT1_lS3_lT2_lT0_lPT3_i.uses_vcc, 1
	.set _ZL36rocblas_hemvn_kernel_upper_block_sumILi64ElPKdPddEviT1_lS3_lT2_lT0_lPT3_i.uses_flat_scratch, 0
	.set _ZL36rocblas_hemvn_kernel_upper_block_sumILi64ElPKdPddEviT1_lS3_lT2_lT0_lPT3_i.has_dyn_sized_stack, 0
	.set _ZL36rocblas_hemvn_kernel_upper_block_sumILi64ElPKdPddEviT1_lS3_lT2_lT0_lPT3_i.has_recursion, 0
	.set _ZL36rocblas_hemvn_kernel_upper_block_sumILi64ElPKdPddEviT1_lS3_lT2_lT0_lPT3_i.has_indirect_call, 0
	.section	.AMDGPU.csdata,"",@progbits
; Kernel info:
; codeLenInByte = 728
; TotalNumSgprs: 28
; NumVgprs: 9
; ScratchSize: 0
; MemoryBound: 0
; FloatMode: 240
; IeeeMode: 1
; LDSByteSize: 0 bytes/workgroup (compile time only)
; SGPRBlocks: 3
; VGPRBlocks: 2
; NumSGPRsForWavesPerEU: 28
; NumVGPRsForWavesPerEU: 9
; Occupancy: 10
; WaveLimiterHint : 0
; COMPUTE_PGM_RSRC2:SCRATCH_EN: 0
; COMPUTE_PGM_RSRC2:USER_SGPR: 6
; COMPUTE_PGM_RSRC2:TRAP_HANDLER: 0
; COMPUTE_PGM_RSRC2:TGID_X_EN: 1
; COMPUTE_PGM_RSRC2:TGID_Y_EN: 0
; COMPUTE_PGM_RSRC2:TGID_Z_EN: 1
; COMPUTE_PGM_RSRC2:TIDIG_COMP_CNT: 0
	.section	.text._ZL26rocblas_hemvn_kernel_upperILb0ELi64ELi4ELi33ELi32ELi16EiPKdS1_PdEviT6_lT7_lT5_lS4_lS5_lS3_lT8_i,"axG",@progbits,_ZL26rocblas_hemvn_kernel_upperILb0ELi64ELi4ELi33ELi32ELi16EiPKdS1_PdEviT6_lT7_lT5_lS4_lS5_lS3_lT8_i,comdat
	.globl	_ZL26rocblas_hemvn_kernel_upperILb0ELi64ELi4ELi33ELi32ELi16EiPKdS1_PdEviT6_lT7_lT5_lS4_lS5_lS3_lT8_i ; -- Begin function _ZL26rocblas_hemvn_kernel_upperILb0ELi64ELi4ELi33ELi32ELi16EiPKdS1_PdEviT6_lT7_lT5_lS4_lS5_lS3_lT8_i
	.p2align	8
	.type	_ZL26rocblas_hemvn_kernel_upperILb0ELi64ELi4ELi33ELi32ELi16EiPKdS1_PdEviT6_lT7_lT5_lS4_lS5_lS3_lT8_i,@function
_ZL26rocblas_hemvn_kernel_upperILb0ELi64ELi4ELi33ELi32ELi16EiPKdS1_PdEviT6_lT7_lT5_lS4_lS5_lS3_lT8_i: ; @_ZL26rocblas_hemvn_kernel_upperILb0ELi64ELi4ELi33ELi32ELi16EiPKdS1_PdEviT6_lT7_lT5_lS4_lS5_lS3_lT8_i
; %bb.0:
	s_load_dwordx2 s[2:3], s[4:5], 0x84
	s_add_u32 s0, s4, 0x78
	s_addc_u32 s1, s5, 0
	s_waitcnt lgkmcnt(0)
	s_lshr_b32 s8, s2, 16
	s_and_b32 s2, s2, 0xffff
	s_and_b32 s3, s3, 0xffff
	s_mul_i32 s2, s8, s2
	s_mul_i32 s2, s2, s3
	s_cmpk_lg_i32 s2, 0x100
	s_cbranch_scc1 .LBB96_128
; %bb.1:
	s_load_dwordx8 s[20:27], s[4:5], 0x8
	s_load_dwordx8 s[12:19], s[4:5], 0x50
	s_waitcnt lgkmcnt(0)
	s_mul_i32 s3, s23, s7
	s_mul_hi_u32 s8, s22, s7
	s_mul_i32 s2, s22, s7
	s_add_i32 s3, s8, s3
	s_lshl_b64 s[2:3], s[2:3], 3
	s_mul_i32 s9, s17, s7
	s_add_u32 s2, s20, s2
	s_mul_hi_u32 s8, s16, s7
	s_addc_u32 s3, s21, s3
	s_add_i32 s9, s8, s9
	s_mul_i32 s8, s16, s7
	s_lshl_b64 s[8:9], s[8:9], 3
	s_add_u32 s8, s14, s8
	s_addc_u32 s9, s15, s9
	s_load_dwordx2 s[2:3], s[2:3], 0x0
	s_waitcnt lgkmcnt(0)
	v_cmp_eq_f64_e64 s[2:3], s[2:3], 0
	s_load_dwordx2 s[8:9], s[8:9], 0x0
	s_waitcnt lgkmcnt(0)
	v_cmp_eq_f64_e64 s[8:9], s[8:9], 1.0
	s_and_b64 s[8:9], s[2:3], s[8:9]
	s_and_b64 vcc, exec, s[8:9]
	s_cbranch_vccnz .LBB96_128
; %bb.2:
	s_and_b64 vcc, exec, s[2:3]
	s_cbranch_vccnz .LBB96_128
; %bb.3:
	s_load_dword s33, s[0:1], 0x0
	s_load_dword s40, s[4:5], 0x0
	s_load_dwordx4 s[8:11], s[4:5], 0x30
	s_load_dwordx2 s[2:3], s[4:5], 0x40
	s_load_dword s39, s[4:5], 0x48
	s_mul_i32 s0, s13, s7
	s_mul_hi_u32 s1, s12, s7
	s_add_i32 s1, s1, s0
	s_mul_i32 s0, s12, s7
	s_lshl_b64 s[0:1], s[0:1], 3
	s_waitcnt lgkmcnt(0)
	s_add_u32 s10, s10, s0
	s_addc_u32 s11, s11, s1
	s_lshl_b64 s[0:1], s[2:3], 3
	s_add_u32 s0, s10, s0
	s_addc_u32 s1, s11, s1
	s_lshl_b32 s28, s6, 6
	v_add_u32_e32 v58, s28, v0
	v_mul_lo_u32 v2, s39, v58
	s_ashr_i32 s41, s40, 31
	s_lshr_b32 s3, s41, 26
	s_add_i32 s3, s40, s3
	v_ashrrev_i32_e32 v3, 31, v2
	s_andn2_b32 s3, s3, 63
	v_lshlrev_b64 v[2:3], 3, v[2:3]
	s_add_i32 s2, s33, -1
	s_sub_i32 s38, s40, s3
	s_cmp_eq_u32 s6, s2
	v_mov_b32_e32 v4, s1
	v_add_co_u32_e32 v16, vcc, s0, v2
	s_cselect_b32 s16, s38, 0
	v_addc_co_u32_e32 v17, vcc, v4, v3, vcc
	v_cmp_eq_u32_e64 s[0:1], 0, v1
	s_and_saveexec_b64 s[2:3], s[0:1]
	s_cbranch_execz .LBB96_7
; %bb.4:
	s_cmp_eq_u32 s16, 0
	s_cselect_b64 s[10:11], -1, 0
	v_cmp_gt_i32_e32 vcc, s16, v0
	v_mov_b32_e32 v2, 0
	v_mov_b32_e32 v3, 0
	s_or_b64 s[12:13], s[10:11], vcc
	s_and_saveexec_b64 s[10:11], s[12:13]
	s_cbranch_execz .LBB96_6
; %bb.5:
	global_load_dwordx2 v[2:3], v[16:17], off
.LBB96_6:
	s_or_b64 exec, exec, s[10:11]
	v_lshlrev_b32_e32 v4, 3, v0
	s_waitcnt vmcnt(0)
	ds_write_b64 v4, v[2:3] offset:9088
.LBB96_7:
	s_or_b64 exec, exec, s[2:3]
	s_mul_i32 s2, s9, s7
	s_mul_hi_u32 s3, s8, s7
	s_add_i32 s3, s3, s2
	s_mul_i32 s2, s8, s7
	s_load_dword s22, s[4:5], 0x28
	s_lshl_b64 s[2:3], s[2:3], 3
	s_add_u32 s8, s24, s2
	v_lshl_add_u32 v24, v1, 6, v0
	s_addc_u32 s9, s25, s3
	s_lshl_b64 s[2:3], s[26:27], 3
	v_and_b32_e32 v2, 31, v0
	v_lshrrev_b32_e32 v13, 5, v24
	s_add_u32 s4, s8, s2
	s_addc_u32 s5, s9, s3
	s_waitcnt lgkmcnt(0)
	v_mad_u64_u32 v[3:4], s[2:3], s22, v13, v[2:3]
	s_ashr_i32 s29, s28, 31
	s_lshl_b64 s[2:3], s[28:29], 3
	v_ashrrev_i32_e32 v4, 31, v3
	v_lshlrev_b64 v[14:15], 3, v[3:4]
	s_add_u32 s2, s4, s2
	s_addc_u32 s3, s5, s3
	v_add_co_u32_e32 v4, vcc, s2, v14
	s_mul_i32 s2, s22, s28
	v_mov_b32_e32 v3, s3
	s_ashr_i32 s3, s2, 31
	s_lshl_b64 s[2:3], s[2:3], 3
	v_addc_co_u32_e32 v5, vcc, v3, v15, vcc
	s_cmp_eq_u32 s16, 0
	v_mov_b32_e32 v6, s3
	v_add_co_u32_e32 v3, vcc, s2, v4
	s_cselect_b64 s[20:21], -1, 0
	s_cmp_lg_u32 s16, 0
	v_addc_co_u32_e32 v4, vcc, v5, v6, vcc
	s_cselect_b64 s[30:31], -1, 0
	s_and_b64 vcc, exec, s[30:31]
	v_cmp_gt_i32_e64 s[2:3], s16, v2
	v_lshlrev_b32_e32 v20, 3, v2
	s_cbranch_vccz .LBB96_17
; %bb.8:
	v_sub_co_u32_e32 v5, vcc, v3, v20
	s_ashr_i32 s17, s16, 31
	v_subbrev_co_u32_e32 v6, vcc, 0, v4, vcc
	s_lshl_b64 s[4:5], s[16:17], 3
	v_mov_b32_e32 v7, s5
	v_add_co_u32_e32 v5, vcc, s4, v5
	v_addc_co_u32_e32 v6, vcc, v6, v7, vcc
	v_add_co_u32_e32 v5, vcc, -8, v5
	v_addc_co_u32_e32 v6, vcc, -1, v6, vcc
	v_mov_b32_e32 v7, 0
	v_mov_b32_e32 v9, 0
	v_cndmask_b32_e64 v6, v6, v4, s[2:3]
	v_cndmask_b32_e64 v5, v5, v3, s[2:3]
	v_mov_b32_e32 v8, 0
	v_mov_b32_e32 v10, 0
	v_cmp_gt_i32_e32 vcc, s16, v13
	s_and_saveexec_b64 s[8:9], vcc
	s_cbranch_execz .LBB96_10
; %bb.9:
	global_load_dwordx2 v[9:10], v[5:6], off
.LBB96_10:
	s_or_b64 exec, exec, s[8:9]
	s_movk_i32 s8, 0x108
	v_mad_u32_u24 v12, v13, s8, v20
	s_waitcnt vmcnt(0)
	ds_write_b64 v12, v[9:10]
	v_add_u32_e32 v9, 8, v13
	v_mul_u32_u24_e32 v11, 0x108, v13
	v_cmp_gt_i32_e32 vcc, s16, v9
	s_and_saveexec_b64 s[8:9], vcc
	s_cbranch_execz .LBB96_12
; %bb.11:
	s_lshl_b32 s10, s22, 3
	s_ashr_i32 s11, s10, 31
	s_lshl_b64 s[10:11], s[10:11], 3
	v_mov_b32_e32 v8, s11
	v_add_co_u32_e32 v7, vcc, s10, v5
	v_addc_co_u32_e32 v8, vcc, v6, v8, vcc
	global_load_dwordx2 v[7:8], v[7:8], off
.LBB96_12:
	s_or_b64 exec, exec, s[8:9]
	v_add_u32_e32 v11, v11, v20
	s_waitcnt vmcnt(0)
	ds_write_b64 v11, v[7:8] offset:2112
	v_add_u32_e32 v12, 16, v13
	v_mov_b32_e32 v7, 0
	v_mov_b32_e32 v9, 0
	v_mov_b32_e32 v8, 0
	v_mov_b32_e32 v10, 0
	v_cmp_gt_i32_e32 vcc, s16, v12
	s_and_saveexec_b64 s[8:9], vcc
	s_cbranch_execz .LBB96_14
; %bb.13:
	s_lshl_b32 s10, s22, 4
	s_ashr_i32 s11, s10, 31
	s_lshl_b64 s[10:11], s[10:11], 3
	v_mov_b32_e32 v10, s11
	v_add_co_u32_e32 v9, vcc, s10, v5
	v_addc_co_u32_e32 v10, vcc, v6, v10, vcc
	global_load_dwordx2 v[9:10], v[9:10], off
.LBB96_14:
	s_or_b64 exec, exec, s[8:9]
	s_waitcnt vmcnt(0)
	ds_write_b64 v11, v[9:10] offset:4224
	v_add_u32_e32 v9, 24, v13
	v_cmp_gt_i32_e32 vcc, s16, v9
	s_and_saveexec_b64 s[8:9], vcc
	s_cbranch_execz .LBB96_16
; %bb.15:
	s_mul_i32 s10, s22, 24
	s_ashr_i32 s11, s10, 31
	s_lshl_b64 s[10:11], s[10:11], 3
	v_mov_b32_e32 v8, s11
	v_add_co_u32_e32 v7, vcc, s10, v5
	v_addc_co_u32_e32 v8, vcc, v6, v8, vcc
	global_load_dwordx2 v[7:8], v[7:8], off
.LBB96_16:
	s_or_b64 exec, exec, s[8:9]
	v_add_co_u32_e32 v5, vcc, v5, v20
	v_addc_co_u32_e32 v6, vcc, 0, v6, vcc
	s_waitcnt vmcnt(0)
	ds_write_b64 v11, v[7:8] offset:6336
	v_mov_b32_e32 v7, s5
	v_subrev_co_u32_e32 v5, vcc, s4, v5
	v_subb_co_u32_e32 v6, vcc, v6, v7, vcc
	v_add_co_u32_e32 v5, vcc, 8, v5
	v_addc_co_u32_e32 v6, vcc, 0, v6, vcc
	v_cndmask_b32_e64 v6, v6, v4, s[2:3]
	v_cndmask_b32_e64 v5, v5, v3, s[2:3]
	s_branch .LBB96_19
.LBB96_17:
                                        ; implicit-def: $vgpr5_vgpr6
	s_cbranch_execz .LBB96_19
; %bb.18:
	s_lshl_b32 s2, s22, 3
	s_ashr_i32 s3, s2, 31
	s_lshl_b64 s[2:3], s[2:3], 3
	v_mov_b32_e32 v6, s3
	v_add_co_u32_e32 v5, vcc, s2, v3
	s_ashr_i32 s23, s22, 31
	v_addc_co_u32_e32 v6, vcc, v4, v6, vcc
	s_lshl_b64 s[2:3], s[22:23], 6
	v_mov_b32_e32 v10, s3
	v_add_co_u32_e32 v7, vcc, s2, v5
	v_addc_co_u32_e32 v8, vcc, v6, v10, vcc
	v_add_co_u32_e32 v9, vcc, s2, v7
	v_addc_co_u32_e32 v10, vcc, v8, v10, vcc
	global_load_dwordx2 v[11:12], v[3:4], off
	global_load_dwordx2 v[18:19], v[5:6], off
	;; [unrolled: 1-line block ×4, first 2 shown]
	v_mul_u32_u24_e32 v5, 0x108, v13
	v_lshl_add_u32 v5, v2, 3, v5
	s_waitcnt vmcnt(3)
	ds_write_b64 v5, v[11:12]
	s_waitcnt vmcnt(2)
	ds_write_b64 v5, v[18:19] offset:2112
	s_waitcnt vmcnt(1)
	ds_write_b64 v5, v[21:22] offset:4224
	;; [unrolled: 2-line block ×3, first 2 shown]
	v_mov_b32_e32 v6, v4
	v_mov_b32_e32 v5, v3
.LBB96_19:
	v_lshlrev_b32_e32 v18, 2, v13
	v_lshl_or_b32 v3, v2, 8, v20
	v_cmp_gt_u32_e64 s[4:5], v18, v2
	v_lshl_add_u32 v3, v18, 3, v3
	s_waitcnt lgkmcnt(0)
	s_barrier
	s_and_saveexec_b64 s[2:3], s[4:5]
	s_cbranch_execz .LBB96_21
; %bb.20:
	s_movk_i32 s8, 0x420
	v_mad_u32_u24 v4, v13, s8, v20
	ds_read_b64 v[7:8], v4
	s_waitcnt lgkmcnt(0)
	ds_write_b64 v3, v[7:8]
.LBB96_21:
	s_or_b64 exec, exec, s[2:3]
	v_or_b32_e32 v19, 1, v18
	v_cmp_ge_u32_e64 s[14:15], v18, v2
	s_and_saveexec_b64 s[2:3], s[14:15]
	s_cbranch_execz .LBB96_23
; %bb.22:
	s_movk_i32 s8, 0x108
	v_mad_u32_u24 v4, v19, s8, v20
	ds_read_b64 v[7:8], v4
	s_waitcnt lgkmcnt(0)
	ds_write_b64 v3, v[7:8] offset:8
.LBB96_23:
	s_or_b64 exec, exec, s[2:3]
	v_or_b32_e32 v4, 2, v18
	v_cmp_gt_u32_e64 s[8:9], v4, v2
	s_and_saveexec_b64 s[2:3], s[8:9]
	s_cbranch_execz .LBB96_25
; %bb.24:
	s_movk_i32 s10, 0x108
	v_mad_u32_u24 v4, v4, s10, v20
	ds_read_b64 v[7:8], v4
	s_waitcnt lgkmcnt(0)
	ds_write_b64 v3, v[7:8] offset:16
.LBB96_25:
	s_or_b64 exec, exec, s[2:3]
	v_or_b32_e32 v7, 3, v18
	v_cmp_gt_u32_e64 s[10:11], v7, v2
	v_cmp_le_u32_e32 vcc, v7, v2
                                        ; implicit-def: $vgpr4
	s_and_saveexec_b64 s[2:3], vcc
	s_xor_b64 s[2:3], exec, s[2:3]
; %bb.26:
	v_mul_u32_u24_e32 v4, 0x108, v7
                                        ; implicit-def: $vgpr7
                                        ; implicit-def: $vgpr3
; %bb.27:
	s_andn2_saveexec_b64 s[2:3], s[2:3]
	s_cbranch_execz .LBB96_29
; %bb.28:
	s_movk_i32 s12, 0x108
	v_mad_u32_u24 v4, v7, s12, v20
	ds_read_b64 v[8:9], v4
	v_mul_u32_u24_e32 v4, 0x108, v7
	s_waitcnt lgkmcnt(0)
	ds_write_b64 v3, v[8:9] offset:24
.LBB96_29:
	s_or_b64 exec, exec, s[2:3]
	s_movk_i32 s2, 0x420
	v_mad_u32_u24 v3, v13, s2, v20
	s_waitcnt lgkmcnt(0)
	s_barrier
	v_lshlrev_b32_e32 v23, 3, v18
	ds_read_b64 v[11:12], v3
	ds_read_b128 v[7:10], v23 offset:9088
	s_movk_i32 s2, 0x108
	v_mad_u32_u24 v3, v19, s2, v20
	ds_read2_b64 v[25:28], v3 offset1:33
	v_add_u32_e32 v21, v20, v4
	s_waitcnt lgkmcnt(1)
	v_fma_f64 v[7:8], v[11:12], v[7:8], 0
	v_mov_b32_e32 v59, 0
	v_mov_b32_e32 v60, 0
	v_cmp_gt_u32_e64 s[2:3], 32, v24
	ds_read_b64 v[3:4], v21
	s_waitcnt lgkmcnt(1)
	v_fma_f64 v[11:12], v[25:26], v[9:10], v[7:8]
	ds_read_b128 v[7:10], v23 offset:9104
	s_waitcnt lgkmcnt(0)
	s_barrier
	v_fma_f64 v[7:8], v[27:28], v[7:8], v[11:12]
	v_fma_f64 v[3:4], v[3:4], v[9:10], v[7:8]
	v_mul_u32_u24_e32 v7, 33, v2
	v_lshlrev_b32_e32 v25, 3, v7
	v_lshl_add_u32 v26, v13, 3, v25
	ds_write_b64 v26, v[3:4]
	s_waitcnt lgkmcnt(0)
	s_barrier
	s_and_saveexec_b64 s[12:13], s[2:3]
	s_cbranch_execz .LBB96_31
; %bb.30:
	ds_read2_b64 v[7:10], v25 offset1:1
	ds_read2_b64 v[27:30], v25 offset0:2 offset1:3
	s_waitcnt lgkmcnt(1)
	v_add_f64 v[3:4], v[7:8], v[9:10]
	s_waitcnt lgkmcnt(0)
	v_add_f64 v[3:4], v[3:4], v[27:28]
	v_add_f64 v[3:4], v[3:4], v[29:30]
	ds_read2_b64 v[7:10], v25 offset0:4 offset1:5
	ds_read2_b64 v[27:30], v25 offset0:6 offset1:7
	s_waitcnt lgkmcnt(1)
	v_add_f64 v[3:4], v[3:4], v[7:8]
	v_add_f64 v[3:4], v[3:4], v[9:10]
	s_waitcnt lgkmcnt(0)
	v_add_f64 v[3:4], v[3:4], v[27:28]
	v_add_f64 v[59:60], v[3:4], v[29:30]
.LBB96_31:
	s_or_b64 exec, exec, s[12:13]
	s_lshl_b32 s26, s22, 5
	s_ashr_i32 s27, s26, 31
	s_lshl_b64 s[24:25], s[26:27], 3
	v_mov_b32_e32 v3, s25
	v_add_co_u32_e32 v7, vcc, s24, v5
	v_addc_co_u32_e32 v8, vcc, v6, v3, vcc
	v_add_co_u32_e32 v5, vcc, 0x100, v7
	v_addc_co_u32_e32 v6, vcc, 0, v8, vcc
	s_and_b64 vcc, exec, s[30:31]
	s_barrier
	s_cbranch_vccz .LBB96_41
; %bb.32:
	v_sub_co_u32_e32 v4, vcc, v7, v20
	s_ashr_i32 s17, s16, 31
	v_subbrev_co_u32_e32 v9, vcc, 0, v8, vcc
	s_lshl_b64 s[34:35], s[16:17], 3
	v_mov_b32_e32 v10, s35
	v_add_co_u32_e32 v4, vcc, s34, v4
	v_or_b32_e32 v3, 32, v2
	v_addc_co_u32_e32 v9, vcc, v9, v10, vcc
	v_add_co_u32_e32 v10, vcc, -8, v4
	v_cmp_gt_i32_e64 s[12:13], s16, v3
	v_addc_co_u32_e32 v4, vcc, -1, v9, vcc
	v_cndmask_b32_e64 v3, v10, v5, s[12:13]
	s_sub_i32 s17, s16, 32
	v_mov_b32_e32 v9, 0
	v_mov_b32_e32 v11, 0
	v_cndmask_b32_e64 v4, v4, v6, s[12:13]
	v_mov_b32_e32 v10, 0
	v_mov_b32_e32 v12, 0
	v_cmp_gt_i32_e32 vcc, s17, v13
	s_and_saveexec_b64 s[36:37], vcc
	s_cbranch_execz .LBB96_34
; %bb.33:
	global_load_dwordx2 v[11:12], v[3:4], off
.LBB96_34:
	s_or_b64 exec, exec, s[36:37]
	s_movk_i32 s23, 0x108
	v_mad_u32_u24 v27, v13, s23, v20
	s_waitcnt vmcnt(0)
	ds_write_b64 v27, v[11:12]
	v_add_u32_e32 v11, 8, v13
	v_mul_u32_u24_e32 v22, 0x108, v13
	v_cmp_gt_i32_e32 vcc, s17, v11
	s_and_saveexec_b64 s[36:37], vcc
	s_cbranch_execz .LBB96_36
; %bb.35:
	s_lshl_b32 s42, s22, 3
	s_ashr_i32 s43, s42, 31
	s_lshl_b64 s[42:43], s[42:43], 3
	v_mov_b32_e32 v10, s43
	v_add_co_u32_e32 v9, vcc, s42, v3
	v_addc_co_u32_e32 v10, vcc, v4, v10, vcc
	global_load_dwordx2 v[9:10], v[9:10], off
.LBB96_36:
	s_or_b64 exec, exec, s[36:37]
	v_add_u32_e32 v22, v22, v20
	s_waitcnt vmcnt(0)
	ds_write_b64 v22, v[9:10] offset:2112
	v_add_u32_e32 v27, 16, v13
	v_mov_b32_e32 v9, 0
	v_mov_b32_e32 v11, 0
	;; [unrolled: 1-line block ×4, first 2 shown]
	v_cmp_gt_i32_e32 vcc, s17, v27
	s_and_saveexec_b64 s[36:37], vcc
	s_cbranch_execz .LBB96_38
; %bb.37:
	s_lshl_b32 s42, s22, 4
	s_ashr_i32 s43, s42, 31
	s_lshl_b64 s[42:43], s[42:43], 3
	v_mov_b32_e32 v12, s43
	v_add_co_u32_e32 v11, vcc, s42, v3
	v_addc_co_u32_e32 v12, vcc, v4, v12, vcc
	global_load_dwordx2 v[11:12], v[11:12], off
.LBB96_38:
	s_or_b64 exec, exec, s[36:37]
	s_waitcnt vmcnt(0)
	ds_write_b64 v22, v[11:12] offset:4224
	v_add_u32_e32 v11, 24, v13
	v_cmp_gt_i32_e32 vcc, s17, v11
	s_and_saveexec_b64 s[36:37], vcc
	s_cbranch_execz .LBB96_40
; %bb.39:
	s_mul_i32 s42, s22, 24
	s_ashr_i32 s43, s42, 31
	s_lshl_b64 s[42:43], s[42:43], 3
	v_mov_b32_e32 v10, s43
	v_add_co_u32_e32 v9, vcc, s42, v3
	v_addc_co_u32_e32 v10, vcc, v4, v10, vcc
	global_load_dwordx2 v[9:10], v[9:10], off
.LBB96_40:
	s_or_b64 exec, exec, s[36:37]
	v_add_co_u32_e32 v3, vcc, v3, v20
	v_addc_co_u32_e32 v4, vcc, 0, v4, vcc
	s_waitcnt vmcnt(0)
	ds_write_b64 v22, v[9:10] offset:6336
	v_mov_b32_e32 v9, s35
	v_subrev_co_u32_e32 v3, vcc, s34, v3
	v_subb_co_u32_e32 v4, vcc, v4, v9, vcc
	v_add_co_u32_e32 v3, vcc, 0x108, v3
	v_addc_co_u32_e32 v4, vcc, 0, v4, vcc
	v_cndmask_b32_e64 v4, v4, v6, s[12:13]
	v_cndmask_b32_e64 v3, v3, v5, s[12:13]
	v_mul_u32_u24_e32 v9, 0x420, v13
	s_branch .LBB96_43
.LBB96_41:
                                        ; implicit-def: $vgpr3_vgpr4
	v_mul_u32_u24_e32 v9, 0x420, v13
	s_cbranch_execz .LBB96_43
; %bb.42:
	s_lshl_b32 s12, s22, 3
	s_ashr_i32 s13, s12, 31
	s_lshl_b64 s[12:13], s[12:13], 3
	v_mov_b32_e32 v4, s13
	v_add_co_u32_e32 v3, vcc, s12, v7
	s_ashr_i32 s23, s22, 31
	v_addc_co_u32_e32 v4, vcc, v8, v4, vcc
	s_lshl_b64 s[12:13], s[22:23], 6
	v_mov_b32_e32 v12, s13
	v_add_co_u32_e32 v10, vcc, s12, v3
	v_addc_co_u32_e32 v11, vcc, v4, v12, vcc
	v_add_co_u32_e32 v27, vcc, s12, v10
	v_addc_co_u32_e32 v28, vcc, v11, v12, vcc
	global_load_dwordx2 v[29:30], v[7:8], off offset:256
	global_load_dwordx2 v[31:32], v[3:4], off offset:256
	;; [unrolled: 1-line block ×4, first 2 shown]
	s_movk_i32 s12, 0x108
	v_mad_u32_u24 v3, v13, s12, v20
	s_waitcnt vmcnt(3)
	ds_write_b64 v3, v[29:30]
	s_waitcnt vmcnt(2)
	ds_write_b64 v3, v[31:32] offset:2112
	s_waitcnt vmcnt(1)
	ds_write_b64 v3, v[33:34] offset:4224
	;; [unrolled: 2-line block ×3, first 2 shown]
	v_mov_b32_e32 v3, v5
	v_mov_b32_e32 v4, v6
.LBB96_43:
	v_mul_u32_u24_e32 v6, 0x108, v19
	v_add_u32_e32 v22, v20, v9
	v_lshl_add_u32 v5, v18, 3, v25
	s_waitcnt lgkmcnt(0)
	s_barrier
	s_and_saveexec_b64 s[12:13], s[4:5]
	s_cbranch_execnz .LBB96_60
; %bb.44:
	s_or_b64 exec, exec, s[12:13]
	v_add_u32_e32 v27, v20, v6
	s_and_saveexec_b64 s[4:5], s[14:15]
	s_cbranch_execnz .LBB96_61
.LBB96_45:
	s_or_b64 exec, exec, s[4:5]
	s_and_saveexec_b64 s[4:5], s[8:9]
	s_cbranch_execnz .LBB96_62
.LBB96_46:
	s_or_b64 exec, exec, s[4:5]
	v_add_u32_e32 v28, 0x2380, v23
	s_and_saveexec_b64 s[4:5], s[10:11]
	s_cbranch_execz .LBB96_48
.LBB96_47:
	ds_read_b64 v[6:7], v21
	s_waitcnt lgkmcnt(0)
	ds_write_b64 v5, v[6:7] offset:24
.LBB96_48:
	s_or_b64 exec, exec, s[4:5]
	s_waitcnt lgkmcnt(0)
	s_barrier
	ds_read_b64 v[18:19], v22
	ds_read_b128 v[5:8], v28 offset:256
	ds_read_b128 v[9:12], v28 offset:272
	ds_read_b64 v[33:34], v21
	ds_read2_b64 v[29:32], v27 offset1:33
	v_cmp_eq_u32_e64 s[4:5], 1, v13
	s_waitcnt lgkmcnt(3)
	v_fma_f64 v[5:6], v[18:19], v[5:6], 0
	s_waitcnt lgkmcnt(0)
	s_barrier
	v_fma_f64 v[5:6], v[29:30], v[7:8], v[5:6]
	v_fma_f64 v[5:6], v[31:32], v[9:10], v[5:6]
	;; [unrolled: 1-line block ×3, first 2 shown]
	ds_write_b64 v26, v[5:6]
	s_waitcnt lgkmcnt(0)
	s_barrier
	s_and_saveexec_b64 s[8:9], s[4:5]
	s_cbranch_execz .LBB96_50
; %bb.49:
	ds_read2_b64 v[5:8], v25 offset1:1
	ds_read2_b64 v[9:12], v25 offset0:2 offset1:3
	s_waitcnt lgkmcnt(1)
	v_add_f64 v[5:6], v[5:6], v[7:8]
	s_waitcnt lgkmcnt(0)
	v_add_f64 v[5:6], v[5:6], v[9:10]
	v_add_f64 v[18:19], v[5:6], v[11:12]
	ds_read2_b64 v[5:8], v25 offset0:4 offset1:5
	ds_read2_b64 v[9:12], v25 offset0:6 offset1:7
	s_waitcnt lgkmcnt(1)
	v_add_f64 v[5:6], v[18:19], v[5:6]
	v_add_f64 v[5:6], v[5:6], v[7:8]
	s_waitcnt lgkmcnt(0)
	v_add_f64 v[5:6], v[5:6], v[9:10]
	v_add_f64 v[59:60], v[5:6], v[11:12]
.LBB96_50:
	s_or_b64 exec, exec, s[8:9]
	v_add_co_u32_e32 v5, vcc, 0xffffff00, v3
	v_addc_co_u32_e32 v6, vcc, -1, v4, vcc
	s_and_b64 vcc, exec, s[30:31]
	s_barrier
	s_cbranch_vccz .LBB96_63
; %bb.51:
	v_sub_co_u32_e32 v7, vcc, v3, v20
	s_ashr_i32 s17, s16, 31
	v_subbrev_co_u32_e32 v8, vcc, 0, v4, vcc
	s_lshl_b64 s[10:11], s[16:17], 3
	v_mov_b32_e32 v9, s11
	v_add_co_u32_e32 v7, vcc, s10, v7
	v_addc_co_u32_e32 v8, vcc, v8, v9, vcc
	v_add_co_u32_e32 v7, vcc, 0xfffffef8, v7
	v_addc_co_u32_e32 v8, vcc, -1, v8, vcc
	v_cmp_gt_i32_e32 vcc, s16, v2
	s_sub_i32 s14, s16, 32
	v_mov_b32_e32 v9, 0
	v_mov_b32_e32 v11, 0
	v_cndmask_b32_e32 v8, v8, v6, vcc
	v_cndmask_b32_e32 v7, v7, v5, vcc
	v_mov_b32_e32 v10, 0
	v_mov_b32_e32 v12, 0
	v_cmp_gt_i32_e64 s[8:9], s14, v13
	s_and_saveexec_b64 s[12:13], s[8:9]
	s_cbranch_execz .LBB96_53
; %bb.52:
	global_load_dwordx2 v[11:12], v[7:8], off
.LBB96_53:
	s_or_b64 exec, exec, s[12:13]
	s_movk_i32 s8, 0x108
	v_mad_u32_u24 v2, v13, s8, v20
	s_waitcnt vmcnt(0)
	ds_write_b64 v2, v[11:12]
	v_add_u32_e32 v2, 8, v13
	v_mul_u32_u24_e32 v18, 0x108, v13
	v_cmp_gt_i32_e64 s[8:9], s14, v2
	s_and_saveexec_b64 s[12:13], s[8:9]
	s_cbranch_execz .LBB96_55
; %bb.54:
	s_lshl_b32 s8, s22, 3
	s_ashr_i32 s9, s8, 31
	s_lshl_b64 s[8:9], s[8:9], 3
	v_mov_b32_e32 v10, s9
	v_add_co_u32_e64 v9, s[8:9], s8, v7
	v_addc_co_u32_e64 v10, s[8:9], v8, v10, s[8:9]
	global_load_dwordx2 v[9:10], v[9:10], off
.LBB96_55:
	s_or_b64 exec, exec, s[12:13]
	v_add_u32_e32 v18, v18, v20
	s_waitcnt vmcnt(0)
	ds_write_b64 v18, v[9:10] offset:2112
	v_add_u32_e32 v23, 16, v13
	v_mov_b32_e32 v9, 0
	v_mov_b32_e32 v11, 0
	;; [unrolled: 1-line block ×4, first 2 shown]
	v_cmp_gt_i32_e64 s[8:9], s14, v23
	s_and_saveexec_b64 s[12:13], s[8:9]
	s_cbranch_execz .LBB96_57
; %bb.56:
	s_lshl_b32 s8, s22, 4
	s_ashr_i32 s9, s8, 31
	s_lshl_b64 s[8:9], s[8:9], 3
	v_mov_b32_e32 v12, s9
	v_add_co_u32_e64 v11, s[8:9], s8, v7
	v_addc_co_u32_e64 v12, s[8:9], v8, v12, s[8:9]
	global_load_dwordx2 v[11:12], v[11:12], off
.LBB96_57:
	s_or_b64 exec, exec, s[12:13]
	s_waitcnt vmcnt(0)
	ds_write_b64 v18, v[11:12] offset:4224
	v_add_u32_e32 v11, 24, v13
	v_cmp_gt_i32_e64 s[8:9], s14, v11
	s_and_saveexec_b64 s[12:13], s[8:9]
	s_cbranch_execz .LBB96_59
; %bb.58:
	s_mul_i32 s8, s22, 24
	s_ashr_i32 s9, s8, 31
	s_lshl_b64 s[8:9], s[8:9], 3
	v_mov_b32_e32 v10, s9
	v_add_co_u32_e64 v9, s[8:9], s8, v7
	v_addc_co_u32_e64 v10, s[8:9], v8, v10, s[8:9]
	global_load_dwordx2 v[9:10], v[9:10], off
.LBB96_59:
	s_or_b64 exec, exec, s[12:13]
	v_add_co_u32_e64 v7, s[8:9], v7, v20
	v_addc_co_u32_e64 v8, s[8:9], 0, v8, s[8:9]
	s_waitcnt vmcnt(0)
	ds_write_b64 v18, v[9:10] offset:6336
	v_mov_b32_e32 v9, s11
	v_subrev_co_u32_e64 v7, s[8:9], s10, v7
	v_subb_co_u32_e64 v8, s[8:9], v8, v9, s[8:9]
	v_add_co_u32_e64 v7, s[8:9], 8, v7
	v_addc_co_u32_e64 v8, s[8:9], 0, v8, s[8:9]
	v_cndmask_b32_e32 v19, v8, v6, vcc
	v_cndmask_b32_e32 v18, v7, v5, vcc
	s_branch .LBB96_65
.LBB96_60:
	ds_read_b64 v[7:8], v22
	s_waitcnt lgkmcnt(0)
	ds_write_b64 v5, v[7:8]
	s_or_b64 exec, exec, s[12:13]
	v_add_u32_e32 v27, v20, v6
	s_and_saveexec_b64 s[4:5], s[14:15]
	s_cbranch_execz .LBB96_45
.LBB96_61:
	ds_read_b64 v[6:7], v27
	s_waitcnt lgkmcnt(0)
	ds_write_b64 v5, v[6:7] offset:8
	s_or_b64 exec, exec, s[4:5]
	s_and_saveexec_b64 s[4:5], s[8:9]
	s_cbranch_execz .LBB96_46
.LBB96_62:
	ds_read_b64 v[6:7], v27 offset:264
	s_waitcnt lgkmcnt(0)
	ds_write_b64 v5, v[6:7] offset:16
	s_or_b64 exec, exec, s[4:5]
	v_add_u32_e32 v28, 0x2380, v23
	s_and_saveexec_b64 s[4:5], s[10:11]
	s_cbranch_execnz .LBB96_47
	s_branch .LBB96_48
.LBB96_63:
                                        ; implicit-def: $vgpr18_vgpr19
                                        ; implicit-def: $vgpr2
                                        ; implicit-def: $vgpr23
                                        ; implicit-def: $vgpr11
	s_cbranch_execz .LBB96_65
; %bb.64:
	s_lshl_b32 s8, s22, 3
	s_ashr_i32 s9, s8, 31
	s_lshl_b64 s[8:9], s[8:9], 3
	v_mov_b32_e32 v2, s9
	v_add_co_u32_e32 v7, vcc, s8, v3
	s_ashr_i32 s23, s22, 31
	v_addc_co_u32_e32 v8, vcc, v4, v2, vcc
	s_lshl_b64 s[8:9], s[22:23], 6
	v_mov_b32_e32 v2, s9
	v_add_co_u32_e32 v9, vcc, s8, v7
	v_addc_co_u32_e32 v10, vcc, v8, v2, vcc
	v_add_co_u32_e32 v11, vcc, s8, v9
	v_addc_co_u32_e32 v12, vcc, v10, v2, vcc
	global_load_dwordx2 v[18:19], v[3:4], off offset:-256
	global_load_dwordx2 v[29:30], v[7:8], off offset:-256
	;; [unrolled: 1-line block ×4, first 2 shown]
	s_movk_i32 s8, 0x108
	v_mad_u32_u24 v3, v13, s8, v20
	v_add_u32_e32 v2, 8, v13
	v_add_u32_e32 v23, 16, v13
	;; [unrolled: 1-line block ×3, first 2 shown]
	s_waitcnt vmcnt(3)
	ds_write_b64 v3, v[18:19]
	s_waitcnt vmcnt(2)
	ds_write_b64 v3, v[29:30] offset:2112
	s_waitcnt vmcnt(1)
	ds_write_b64 v3, v[31:32] offset:4224
	;; [unrolled: 2-line block ×3, first 2 shown]
	v_mov_b32_e32 v19, v6
	v_mov_b32_e32 v18, v5
.LBB96_65:
	v_lshlrev_b32_e32 v6, 3, v13
	v_add_u32_e32 v3, v25, v6
	s_waitcnt lgkmcnt(0)
	s_barrier
	v_lshlrev_b32_e32 v8, 3, v2
	ds_read_b64 v[2:3], v3
	ds_read_b64 v[4:5], v8 offset:9088
	ds_read_b64 v[6:7], v6 offset:9088
	ds_read_b64 v[20:21], v21
	v_lshlrev_b32_e32 v12, 3, v23
	v_lshlrev_b32_e32 v13, 3, v11
	s_waitcnt lgkmcnt(1)
	v_fma_f64 v[2:3], v[2:3], v[6:7], 0
	v_add_u32_e32 v6, v25, v8
	ds_read_b64 v[6:7], v6
	ds_read_b64 v[8:9], v13 offset:9088
	ds_read_b64 v[10:11], v12 offset:9088
	s_waitcnt lgkmcnt(2)
	v_fma_f64 v[2:3], v[6:7], v[4:5], v[2:3]
	v_add_u32_e32 v4, v25, v12
	ds_read_b64 v[4:5], v4
	s_waitcnt lgkmcnt(0)
	v_fma_f64 v[2:3], v[4:5], v[10:11], v[2:3]
	v_add_u32_e32 v4, v25, v13
	ds_read_b64 v[4:5], v4
	ds_read_b64 v[22:23], v22
	s_waitcnt lgkmcnt(1)
	v_fma_f64 v[29:30], v[4:5], v[8:9], v[2:3]
	ds_read_b128 v[10:13], v28 offset:256
	ds_read_b128 v[2:5], v28 offset:272
	ds_read2_b64 v[6:9], v27 offset1:33
	s_waitcnt lgkmcnt(0)
	s_barrier
	ds_write_b64 v26, v[29:30]
	s_waitcnt lgkmcnt(0)
	s_barrier
	s_and_saveexec_b64 s[8:9], s[4:5]
	s_cbranch_execz .LBB96_67
; %bb.66:
	ds_read2_b64 v[27:30], v25 offset1:1
	ds_read2_b64 v[31:34], v25 offset0:2 offset1:3
	s_waitcnt lgkmcnt(1)
	v_add_f64 v[27:28], v[59:60], v[27:28]
	v_add_f64 v[27:28], v[27:28], v[29:30]
	s_waitcnt lgkmcnt(0)
	v_add_f64 v[27:28], v[27:28], v[31:32]
	v_add_f64 v[35:36], v[27:28], v[33:34]
	ds_read2_b64 v[27:30], v25 offset0:4 offset1:5
	ds_read2_b64 v[31:34], v25 offset0:6 offset1:7
	s_waitcnt lgkmcnt(1)
	v_add_f64 v[27:28], v[35:36], v[27:28]
	v_add_f64 v[27:28], v[27:28], v[29:30]
	s_waitcnt lgkmcnt(0)
	v_add_f64 v[27:28], v[27:28], v[31:32]
	v_add_f64 v[59:60], v[27:28], v[33:34]
.LBB96_67:
	s_or_b64 exec, exec, s[8:9]
	v_fma_f64 v[10:11], v[22:23], v[10:11], 0
	s_barrier
	v_fma_f64 v[6:7], v[6:7], v[12:13], v[10:11]
	v_fma_f64 v[2:3], v[8:9], v[2:3], v[6:7]
	v_fma_f64 v[2:3], v[20:21], v[4:5], v[2:3]
	ds_write_b64 v26, v[2:3]
	s_waitcnt lgkmcnt(0)
	s_barrier
	s_and_saveexec_b64 s[4:5], s[2:3]
	s_cbranch_execz .LBB96_69
; %bb.68:
	ds_read2_b64 v[2:5], v25 offset1:1
	ds_read2_b64 v[6:9], v25 offset0:2 offset1:3
	s_waitcnt lgkmcnt(1)
	v_add_f64 v[2:3], v[59:60], v[2:3]
	v_add_f64 v[2:3], v[2:3], v[4:5]
	s_waitcnt lgkmcnt(0)
	v_add_f64 v[2:3], v[2:3], v[6:7]
	v_add_f64 v[10:11], v[2:3], v[8:9]
	ds_read2_b64 v[2:5], v25 offset0:4 offset1:5
	ds_read2_b64 v[6:9], v25 offset0:6 offset1:7
	s_waitcnt lgkmcnt(1)
	v_add_f64 v[2:3], v[10:11], v[2:3]
	v_add_f64 v[2:3], v[2:3], v[4:5]
	s_waitcnt lgkmcnt(0)
	v_add_f64 v[2:3], v[2:3], v[6:7]
	v_add_f64 v[59:60], v[2:3], v[8:9]
.LBB96_69:
	s_or_b64 exec, exec, s[4:5]
	s_mul_hi_u32 s2, s40, s7
	s_mul_i32 s41, s41, s7
	s_add_i32 s2, s2, s41
	s_mul_i32 s4, s40, s7
	s_mul_i32 s2, s2, s33
	s_mul_hi_u32 s3, s4, s33
	s_add_i32 s3, s3, s2
	s_mul_i32 s2, s4, s33
	s_lshl_b64 s[2:3], s[2:3], 3
	s_add_u32 s4, s18, s2
	s_addc_u32 s5, s19, s3
	s_mul_hi_i32 s3, s40, s6
	s_mul_i32 s2, s40, s6
	s_lshl_b64 s[2:3], s[2:3], 3
	s_add_u32 s7, s4, s2
	s_addc_u32 s17, s5, s3
	s_add_i32 s4, s6, 1
	s_cmp_ge_u32 s4, s33
	v_lshlrev_b32_e32 v95, 3, v0
	s_barrier
	s_cbranch_scc1 .LBB96_126
; %bb.70:
	s_mul_i32 s2, s39, s28
	s_ashr_i32 s3, s2, 31
	s_lshl_b64 s[2:3], s[2:3], 3
	v_lshlrev_b32_e32 v96, 2, v1
	v_subrev_co_u32_e32 v97, vcc, s2, v16
	s_lshl_b32 s2, s22, 4
	v_mov_b32_e32 v4, s3
	v_mad_u64_u32 v[2:3], s[8:9], s22, v96, v[0:1]
	s_lshl_b32 s29, s39, 6
	s_ashr_i32 s3, s2, 31
	s_ashr_i32 s23, s22, 31
	s_lshl_b32 s14, s22, 1
	s_mul_i32 s18, s22, 3
	s_mul_i32 s39, s39, s4
	s_add_i32 s28, s33, -2
	s_ashr_i32 s15, s14, 31
	s_ashr_i32 s19, s18, 31
	s_lshl_b64 s[12:13], s[22:23], 3
	s_lshl_b32 s8, s39, 6
	s_lshl_b64 s[10:11], s[2:3], 5
	s_lshl_b64 s[4:5], s[22:23], 4
	s_add_u32 s9, s4, s24
	s_addc_u32 s30, s5, s25
	s_add_u32 s37, s12, s24
	s_addc_u32 s39, s13, s25
	s_lshl_b64 s[14:15], s[14:15], 3
	s_add_u32 s40, s24, s14
	s_addc_u32 s41, s25, s15
	s_lshl_b64 s[18:19], s[18:19], 3
	s_add_u32 s42, s24, s18
	s_addc_u32 s43, s25, s19
	s_lshl_b64 s[34:35], s[2:3], 3
	s_add_u32 s44, s24, s34
	s_addc_u32 s45, s25, s35
	s_add_u32 s46, s37, s34
	s_addc_u32 s47, s39, s35
	s_add_u32 s48, s44, s14
	v_subb_co_u32_e32 v98, vcc, v17, v4, vcc
	s_addc_u32 s49, s45, s15
	v_ashrrev_i32_e32 v3, 31, v2
	v_mov_b32_e32 v5, s27
	v_add_co_u32_e32 v4, vcc, s26, v2
	s_add_u32 s50, s44, s18
	v_addc_co_u32_e32 v5, vcc, v5, v3, vcc
	s_addc_u32 s51, s45, s19
	v_lshlrev_b64 v[4:5], 3, v[4:5]
	s_add_u32 s34, s9, s34
	s_mul_hi_i32 s31, s22, 24
	s_mul_i32 s36, s22, 24
	s_addc_u32 s35, s30, s35
	v_mov_b32_e32 v6, s31
	v_add_co_u32_e32 v8, vcc, s36, v4
	s_add_u32 s26, s26, s2
	v_addc_co_u32_e32 v9, vcc, v6, v5, vcc
	s_addc_u32 s27, s27, s3
	v_mov_b32_e32 v7, s27
	v_add_co_u32_e32 v6, vcc, s26, v2
	s_lshl_b64 s[26:27], s[2:3], 4
	s_add_u32 s52, s26, s24
	s_addc_u32 s53, s27, s25
	s_add_u32 s54, s52, s12
	s_addc_u32 s55, s53, s13
	;; [unrolled: 2-line block ×3, first 2 shown]
	s_add_u32 s58, s52, s18
	v_addc_co_u32_e32 v7, vcc, v7, v3, vcc
	s_addc_u32 s59, s53, s19
	v_lshlrev_b64 v[6:7], 3, v[6:7]
	s_add_u32 s60, s9, s26
	s_addc_u32 s61, s30, s27
	v_mov_b32_e32 v10, s31
	v_add_co_u32_e32 v11, vcc, s36, v6
	s_add_u32 s26, s36, s26
	v_addc_co_u32_e32 v10, vcc, v10, v7, vcc
	s_addc_u32 s27, s31, s27
	v_mov_b32_e32 v6, s27
	v_add_co_u32_e32 v12, vcc, s26, v4
	v_addc_co_u32_e32 v13, vcc, v6, v5, vcc
	v_mad_i64_i32 v[6:7], s[26:27], s2, 24, v[4:5]
	v_mov_b32_e32 v16, s13
	s_mul_i32 s26, s22, 0x180
	v_add_co_u32_e32 v99, vcc, v18, v6
	v_addc_co_u32_e32 v100, vcc, v19, v7, vcc
	v_add_co_u32_e32 v17, vcc, s12, v6
	v_addc_co_u32_e32 v16, vcc, v7, v16, vcc
	s_mul_hi_i32 s27, s2, 24
	v_mov_b32_e32 v20, s15
	v_add_co_u32_e32 v21, vcc, s14, v6
	s_add_u32 s12, s26, s4
	v_addc_co_u32_e32 v20, vcc, v7, v20, vcc
	s_addc_u32 s4, s27, s5
	v_mov_b32_e32 v22, s19
	v_add_co_u32_e32 v23, vcc, s18, v6
	s_add_u32 s2, s22, s2
	v_addc_co_u32_e32 v22, vcc, v7, v22, vcc
	v_mov_b32_e32 v25, s4
	v_mad_u64_u32 v[6:7], s[4:5], s2, 24, v[4:5]
	v_add_co_u32_e32 v26, vcc, s12, v4
	s_addc_u32 s2, s23, s3
	v_mov_b32_e32 v4, v7
	v_addc_co_u32_e32 v25, vcc, v25, v5, vcc
	v_mad_u64_u32 v[4:5], s[2:3], s2, 24, v[4:5]
	v_add_co_u32_e32 v101, vcc, v18, v6
	v_addc_co_u32_e32 v102, vcc, v19, v4, vcc
	v_mov_b32_e32 v5, s25
	v_add_co_u32_e32 v103, vcc, s24, v18
	v_addc_co_u32_e32 v104, vcc, v19, v5, vcc
	v_mov_b32_e32 v4, s30
	v_add_co_u32_e32 v105, vcc, s9, v18
	v_addc_co_u32_e32 v106, vcc, v19, v4, vcc
	v_add_co_u32_e32 v107, vcc, v18, v8
	v_addc_co_u32_e32 v108, vcc, v19, v9, vcc
	v_mov_b32_e32 v4, s39
	v_add_co_u32_e32 v109, vcc, s37, v18
	v_addc_co_u32_e32 v110, vcc, v19, v4, vcc
	v_mov_b32_e32 v4, s41
	v_add_co_u32_e32 v111, vcc, s40, v18
	v_addc_co_u32_e32 v112, vcc, v19, v4, vcc
	v_mov_b32_e32 v4, s43
	v_add_co_u32_e32 v113, vcc, s42, v18
	v_addc_co_u32_e32 v114, vcc, v19, v4, vcc
	v_mov_b32_e32 v4, s45
	v_add_co_u32_e32 v115, vcc, s44, v18
	v_addc_co_u32_e32 v116, vcc, v19, v4, vcc
	v_mov_b32_e32 v4, s47
	v_add_co_u32_e32 v117, vcc, s46, v18
	v_addc_co_u32_e32 v118, vcc, v19, v4, vcc
	v_mov_b32_e32 v4, s49
	v_add_co_u32_e32 v119, vcc, s48, v18
	v_addc_co_u32_e32 v120, vcc, v19, v4, vcc
	v_mov_b32_e32 v4, s51
	v_add_co_u32_e32 v121, vcc, s50, v18
	v_addc_co_u32_e32 v122, vcc, v19, v4, vcc
	v_mov_b32_e32 v4, s35
	v_add_co_u32_e32 v123, vcc, s34, v18
	v_addc_co_u32_e32 v124, vcc, v19, v4, vcc
	v_add_co_u32_e32 v125, vcc, v18, v11
	v_addc_co_u32_e32 v126, vcc, v19, v10, vcc
	v_mov_b32_e32 v4, s53
	v_add_co_u32_e32 v127, vcc, s52, v18
	v_addc_co_u32_e32 v128, vcc, v19, v4, vcc
	v_mov_b32_e32 v4, s55
	;; [unrolled: 3-line block ×5, first 2 shown]
	v_add_co_u32_e32 v135, vcc, s60, v18
	v_addc_co_u32_e32 v136, vcc, v19, v4, vcc
	v_add_co_u32_e32 v137, vcc, v18, v12
	v_addc_co_u32_e32 v138, vcc, v19, v13, vcc
	;; [unrolled: 2-line block ×5, first 2 shown]
	v_lshrrev_b32_e32 v4, 4, v24
	v_add_co_u32_e32 v145, vcc, v18, v26
	s_movk_i32 s4, 0x218
	v_and_b32_e32 v5, 15, v0
	v_lshlrev_b32_e32 v6, 5, v4
	v_lshlrev_b64 v[2:3], 3, v[2:3]
	v_addc_co_u32_e32 v146, vcc, v19, v25, vcc
	v_mad_u32_u24 v147, v5, s4, v6
	v_and_b32_e32 v6, 48, v0
	v_lshlrev_b32_e32 v6, 3, v6
	v_sub_co_u32_e32 v150, vcc, v2, v14
	v_mad_u32_u24 v148, v5, s4, v6
	v_or_b32_e32 v6, 0x78, v95
	v_subb_co_u32_e32 v151, vcc, v3, v15, vcc
	v_mov_b32_e32 v2, 0x2180
	v_mad_u32_u24 v149, v5, s4, v6
	v_sub_co_u32_e32 v152, vcc, 0, v14
	v_lshl_add_u32 v154, v1, 5, v2
	s_movk_i32 s4, 0x860
	v_mul_i32_i24_e32 v2, 0xffffffe8, v4
	v_cmp_gt_u32_e64 s[2:3], 64, v24
	v_subb_co_u32_e32 v153, vcc, 0, v15, vcc
	v_add_u32_e32 v155, v147, v2
	v_add_u32_e32 v156, 0x2180, v95
	;; [unrolled: 1-line block ×3, first 2 shown]
	v_mad_u32_u24 v158, v1, s4, v95
	v_or_b32_e32 v159, 1, v96
	v_or_b32_e32 v160, 2, v96
	;; [unrolled: 1-line block ×3, first 2 shown]
	v_add_u32_e32 v162, 16, v96
	v_add_u32_e32 v163, 17, v96
	;; [unrolled: 1-line block ×13, first 2 shown]
	s_cmp_eq_u32 s28, s6
	s_cselect_b32 s18, s38, 0
	s_and_saveexec_b64 s[4:5], s[0:1]
	s_cbranch_execz .LBB96_74
.LBB96_71:
	s_cmp_eq_u32 s18, 0
	s_cselect_b64 s[12:13], -1, 0
	v_cmp_gt_i32_e32 vcc, s18, v0
	v_mov_b32_e32 v2, 0
	v_mov_b32_e32 v3, 0
	s_or_b64 s[14:15], s[12:13], vcc
	s_and_saveexec_b64 s[12:13], s[14:15]
	s_cbranch_execz .LBB96_73
; %bb.72:
	s_ashr_i32 s9, s8, 31
	s_lshl_b64 s[14:15], s[8:9], 3
	v_mov_b32_e32 v3, s15
	v_add_co_u32_e32 v2, vcc, s14, v97
	v_addc_co_u32_e32 v3, vcc, v98, v3, vcc
	global_load_dwordx2 v[2:3], v[2:3], off
.LBB96_73:
	s_or_b64 exec, exec, s[12:13]
	s_waitcnt vmcnt(0)
	ds_write_b64 v156, v[2:3]
.LBB96_74:                              ; =>This Inner Loop Header: Depth=1
	s_or_b64 exec, exec, s[4:5]
	s_cmp_eq_u32 s18, 0
	v_add_co_u32_e32 v2, vcc, v103, v150
	s_cselect_b64 s[12:13], -1, 0
	s_cmp_lg_u32 s18, 0
	v_addc_co_u32_e32 v3, vcc, v104, v151, vcc
	s_cselect_b64 s[14:15], -1, 0
	s_mov_b64 s[4:5], -1
	s_and_b64 vcc, exec, s[14:15]
	s_waitcnt lgkmcnt(0)
	s_barrier
                                        ; implicit-def: $vgpr67_vgpr68
                                        ; implicit-def: $vgpr69_vgpr70
                                        ; implicit-def: $vgpr65_vgpr66
                                        ; implicit-def: $vgpr63_vgpr64
	s_cbranch_vccz .LBB96_84
; %bb.75:                               ;   in Loop: Header=BB96_74 Depth=1
	v_mov_b32_e32 v65, 0
	v_mov_b32_e32 v63, 0
	;; [unrolled: 1-line block ×4, first 2 shown]
	v_cmp_gt_i32_e32 vcc, s18, v96
	s_and_saveexec_b64 s[4:5], vcc
	s_cbranch_execz .LBB96_77
; %bb.76:                               ;   in Loop: Header=BB96_74 Depth=1
	global_load_dwordx2 v[63:64], v[2:3], off
.LBB96_77:                              ;   in Loop: Header=BB96_74 Depth=1
	s_or_b64 exec, exec, s[4:5]
	v_cmp_gt_i32_e32 vcc, s18, v159
	s_and_saveexec_b64 s[4:5], vcc
	s_cbranch_execz .LBB96_79
; %bb.78:                               ;   in Loop: Header=BB96_74 Depth=1
	v_add_co_u32_e32 v4, vcc, v109, v150
	v_addc_co_u32_e32 v5, vcc, v110, v151, vcc
	global_load_dwordx2 v[65:66], v[4:5], off
.LBB96_79:                              ;   in Loop: Header=BB96_74 Depth=1
	s_or_b64 exec, exec, s[4:5]
	v_mov_b32_e32 v67, 0
	v_mov_b32_e32 v69, 0
	;; [unrolled: 1-line block ×4, first 2 shown]
	v_cmp_gt_i32_e32 vcc, s18, v160
	s_and_saveexec_b64 s[4:5], vcc
	s_cbranch_execz .LBB96_81
; %bb.80:                               ;   in Loop: Header=BB96_74 Depth=1
	v_add_co_u32_e32 v4, vcc, v111, v150
	v_addc_co_u32_e32 v5, vcc, v112, v151, vcc
	global_load_dwordx2 v[69:70], v[4:5], off
.LBB96_81:                              ;   in Loop: Header=BB96_74 Depth=1
	s_or_b64 exec, exec, s[4:5]
	v_cmp_gt_i32_e32 vcc, s18, v161
	s_and_saveexec_b64 s[4:5], vcc
	s_cbranch_execz .LBB96_83
; %bb.82:                               ;   in Loop: Header=BB96_74 Depth=1
	v_add_co_u32_e32 v4, vcc, v113, v150
	v_addc_co_u32_e32 v5, vcc, v114, v151, vcc
	global_load_dwordx2 v[67:68], v[4:5], off
.LBB96_83:                              ;   in Loop: Header=BB96_74 Depth=1
	s_or_b64 exec, exec, s[4:5]
	s_mov_b64 s[4:5], 0
.LBB96_84:                              ;   in Loop: Header=BB96_74 Depth=1
	s_and_b64 vcc, exec, s[4:5]
	s_cbranch_vccz .LBB96_86
; %bb.85:                               ;   in Loop: Header=BB96_74 Depth=1
	global_load_dwordx2 v[63:64], v[2:3], off
	v_add_co_u32_e32 v2, vcc, v109, v150
	v_addc_co_u32_e32 v3, vcc, v110, v151, vcc
	global_load_dwordx2 v[65:66], v[2:3], off
	v_add_co_u32_e32 v2, vcc, v105, v150
	v_addc_co_u32_e32 v3, vcc, v106, v151, vcc
	;; [unrolled: 3-line block ×3, first 2 shown]
	global_load_dwordx2 v[67:68], v[2:3], off
.LBB96_86:                              ;   in Loop: Header=BB96_74 Depth=1
	ds_read_b64 v[2:3], v157
                                        ; implicit-def: $vgpr75_vgpr76
                                        ; implicit-def: $vgpr77_vgpr78
                                        ; implicit-def: $vgpr73_vgpr74
                                        ; implicit-def: $vgpr71_vgpr72
	s_waitcnt vmcnt(0) lgkmcnt(0)
	v_mul_f64 v[10:11], v[63:64], v[2:3]
	v_mul_f64 v[12:13], v[65:66], v[2:3]
	v_mul_f64 v[14:15], v[69:70], v[2:3]
	v_mul_f64 v[16:17], v[67:68], v[2:3]
	ds_read_b128 v[6:9], v154
	ds_read_b128 v[2:5], v154 offset:16
	ds_write2_b64 v158, v[10:11], v[12:13] offset1:67
	ds_write2_b64 v158, v[14:15], v[16:17] offset0:134 offset1:201
	s_waitcnt lgkmcnt(0)
	s_barrier
	ds_read2_b64 v[22:25], v147 offset1:1
	ds_read2_b64 v[18:21], v147 offset0:2 offset1:3
	v_add_co_u32_e32 v10, vcc, v115, v150
	v_addc_co_u32_e32 v11, vcc, v116, v151, vcc
	v_cndmask_b32_e64 v12, 0, 1, s[14:15]
	v_cmp_ne_u32_e64 s[4:5], 1, v12
	s_andn2_b64 vcc, exec, s[14:15]
	s_mov_b64 s[14:15], -1
	s_waitcnt lgkmcnt(0)
	s_barrier
	s_cbranch_vccnz .LBB96_96
; %bb.87:                               ;   in Loop: Header=BB96_74 Depth=1
	v_mov_b32_e32 v73, 0
	v_mov_b32_e32 v71, 0
	;; [unrolled: 1-line block ×4, first 2 shown]
	v_cmp_gt_i32_e32 vcc, s18, v162
	s_and_saveexec_b64 s[14:15], vcc
	s_cbranch_execz .LBB96_89
; %bb.88:                               ;   in Loop: Header=BB96_74 Depth=1
	global_load_dwordx2 v[71:72], v[10:11], off
.LBB96_89:                              ;   in Loop: Header=BB96_74 Depth=1
	s_or_b64 exec, exec, s[14:15]
	v_cmp_gt_i32_e32 vcc, s18, v163
	s_and_saveexec_b64 s[14:15], vcc
	s_cbranch_execz .LBB96_91
; %bb.90:                               ;   in Loop: Header=BB96_74 Depth=1
	v_add_co_u32_e32 v12, vcc, v117, v150
	v_addc_co_u32_e32 v13, vcc, v118, v151, vcc
	global_load_dwordx2 v[73:74], v[12:13], off
.LBB96_91:                              ;   in Loop: Header=BB96_74 Depth=1
	s_or_b64 exec, exec, s[14:15]
	v_mov_b32_e32 v75, 0
	v_mov_b32_e32 v77, 0
	;; [unrolled: 1-line block ×4, first 2 shown]
	v_cmp_gt_i32_e32 vcc, s18, v164
	s_and_saveexec_b64 s[14:15], vcc
	s_cbranch_execz .LBB96_93
; %bb.92:                               ;   in Loop: Header=BB96_74 Depth=1
	v_add_co_u32_e32 v12, vcc, v119, v150
	v_addc_co_u32_e32 v13, vcc, v120, v151, vcc
	global_load_dwordx2 v[77:78], v[12:13], off
.LBB96_93:                              ;   in Loop: Header=BB96_74 Depth=1
	s_or_b64 exec, exec, s[14:15]
	v_cmp_gt_i32_e32 vcc, s18, v165
	s_and_saveexec_b64 s[14:15], vcc
	s_cbranch_execz .LBB96_95
; %bb.94:                               ;   in Loop: Header=BB96_74 Depth=1
	v_add_co_u32_e32 v12, vcc, v121, v150
	v_addc_co_u32_e32 v13, vcc, v122, v151, vcc
	global_load_dwordx2 v[75:76], v[12:13], off
.LBB96_95:                              ;   in Loop: Header=BB96_74 Depth=1
	s_or_b64 exec, exec, s[14:15]
	s_mov_b64 s[14:15], 0
.LBB96_96:                              ;   in Loop: Header=BB96_74 Depth=1
	s_and_b64 vcc, exec, s[14:15]
	s_cbranch_vccz .LBB96_98
; %bb.97:                               ;   in Loop: Header=BB96_74 Depth=1
	global_load_dwordx2 v[71:72], v[10:11], off
	v_add_co_u32_e32 v10, vcc, v117, v150
	v_addc_co_u32_e32 v11, vcc, v118, v151, vcc
	global_load_dwordx2 v[73:74], v[10:11], off
	v_add_co_u32_e32 v10, vcc, v123, v150
	v_addc_co_u32_e32 v11, vcc, v124, v151, vcc
	;; [unrolled: 3-line block ×3, first 2 shown]
	global_load_dwordx2 v[75:76], v[10:11], off
.LBB96_98:                              ;   in Loop: Header=BB96_74 Depth=1
	ds_read_b64 v[10:11], v157
	s_mov_b64 s[14:15], -1
                                        ; implicit-def: $vgpr83_vgpr84
                                        ; implicit-def: $vgpr85_vgpr86
                                        ; implicit-def: $vgpr79_vgpr80
                                        ; implicit-def: $vgpr81_vgpr82
	s_waitcnt vmcnt(0) lgkmcnt(0)
	v_mul_f64 v[26:27], v[71:72], v[10:11]
	v_mul_f64 v[28:29], v[73:74], v[10:11]
	v_mul_f64 v[30:31], v[77:78], v[10:11]
	v_mul_f64 v[32:33], v[75:76], v[10:11]
	ds_read_b128 v[14:17], v154 offset:128
	ds_read_b128 v[10:13], v154 offset:144
	ds_write2_b64 v158, v[26:27], v[28:29] offset1:67
	ds_write2_b64 v158, v[30:31], v[32:33] offset0:134 offset1:201
	s_waitcnt lgkmcnt(0)
	s_barrier
	ds_read2_b64 v[38:41], v147 offset1:1
	ds_read2_b64 v[34:37], v147 offset0:2 offset1:3
	v_add_co_u32_e32 v26, vcc, v127, v150
	v_addc_co_u32_e32 v27, vcc, v128, v151, vcc
	s_and_b64 vcc, exec, s[4:5]
	s_waitcnt lgkmcnt(0)
	s_barrier
	s_cbranch_vccnz .LBB96_108
; %bb.99:                               ;   in Loop: Header=BB96_74 Depth=1
	v_mov_b32_e32 v79, 0
	v_mov_b32_e32 v81, 0
	v_mov_b32_e32 v80, 0
	v_mov_b32_e32 v82, 0
	v_cmp_gt_i32_e32 vcc, s18, v166
	s_and_saveexec_b64 s[14:15], vcc
	s_cbranch_execz .LBB96_101
; %bb.100:                              ;   in Loop: Header=BB96_74 Depth=1
	global_load_dwordx2 v[81:82], v[26:27], off
.LBB96_101:                             ;   in Loop: Header=BB96_74 Depth=1
	s_or_b64 exec, exec, s[14:15]
	v_cmp_gt_i32_e32 vcc, s18, v167
	s_and_saveexec_b64 s[14:15], vcc
	s_cbranch_execz .LBB96_103
; %bb.102:                              ;   in Loop: Header=BB96_74 Depth=1
	v_add_co_u32_e32 v28, vcc, v129, v150
	v_addc_co_u32_e32 v29, vcc, v130, v151, vcc
	global_load_dwordx2 v[79:80], v[28:29], off
.LBB96_103:                             ;   in Loop: Header=BB96_74 Depth=1
	s_or_b64 exec, exec, s[14:15]
	v_mov_b32_e32 v83, 0
	v_mov_b32_e32 v85, 0
	;; [unrolled: 1-line block ×4, first 2 shown]
	v_cmp_gt_i32_e32 vcc, s18, v168
	s_and_saveexec_b64 s[14:15], vcc
	s_cbranch_execz .LBB96_105
; %bb.104:                              ;   in Loop: Header=BB96_74 Depth=1
	v_add_co_u32_e32 v28, vcc, v131, v150
	v_addc_co_u32_e32 v29, vcc, v132, v151, vcc
	global_load_dwordx2 v[85:86], v[28:29], off
.LBB96_105:                             ;   in Loop: Header=BB96_74 Depth=1
	s_or_b64 exec, exec, s[14:15]
	v_cmp_gt_i32_e32 vcc, s18, v169
	s_and_saveexec_b64 s[14:15], vcc
	s_cbranch_execz .LBB96_107
; %bb.106:                              ;   in Loop: Header=BB96_74 Depth=1
	v_add_co_u32_e32 v28, vcc, v133, v150
	v_addc_co_u32_e32 v29, vcc, v134, v151, vcc
	global_load_dwordx2 v[83:84], v[28:29], off
.LBB96_107:                             ;   in Loop: Header=BB96_74 Depth=1
	s_or_b64 exec, exec, s[14:15]
	s_mov_b64 s[14:15], 0
.LBB96_108:                             ;   in Loop: Header=BB96_74 Depth=1
	s_and_b64 vcc, exec, s[14:15]
	s_cbranch_vccz .LBB96_110
; %bb.109:                              ;   in Loop: Header=BB96_74 Depth=1
	global_load_dwordx2 v[81:82], v[26:27], off
	v_add_co_u32_e32 v26, vcc, v129, v150
	v_addc_co_u32_e32 v27, vcc, v130, v151, vcc
	global_load_dwordx2 v[79:80], v[26:27], off
	v_add_co_u32_e32 v26, vcc, v135, v150
	v_addc_co_u32_e32 v27, vcc, v136, v151, vcc
	;; [unrolled: 3-line block ×3, first 2 shown]
	global_load_dwordx2 v[83:84], v[26:27], off
.LBB96_110:                             ;   in Loop: Header=BB96_74 Depth=1
	ds_read_b64 v[26:27], v157
                                        ; implicit-def: $vgpr91_vgpr92
                                        ; implicit-def: $vgpr93_vgpr94
                                        ; implicit-def: $vgpr87_vgpr88
                                        ; implicit-def: $vgpr89_vgpr90
	s_waitcnt vmcnt(0) lgkmcnt(0)
	v_mul_f64 v[42:43], v[81:82], v[26:27]
	v_mul_f64 v[44:45], v[79:80], v[26:27]
	v_mul_f64 v[46:47], v[85:86], v[26:27]
	v_mul_f64 v[48:49], v[83:84], v[26:27]
	ds_read_b128 v[30:33], v154 offset:256
	ds_read_b128 v[26:29], v154 offset:272
	ds_write2_b64 v158, v[42:43], v[44:45] offset1:67
	ds_write2_b64 v158, v[46:47], v[48:49] offset0:134 offset1:201
	s_waitcnt lgkmcnt(0)
	s_barrier
	ds_read2_b64 v[54:57], v147 offset1:1
	ds_read2_b64 v[50:53], v147 offset0:2 offset1:3
	v_add_co_u32_e32 v42, vcc, v99, v152
	v_addc_co_u32_e32 v43, vcc, v100, v153, vcc
	s_and_b64 vcc, exec, s[4:5]
	s_mov_b64 s[4:5], -1
	s_waitcnt lgkmcnt(0)
	s_barrier
	s_cbranch_vccnz .LBB96_120
; %bb.111:                              ;   in Loop: Header=BB96_74 Depth=1
	v_mov_b32_e32 v87, 0
	v_mov_b32_e32 v89, 0
	v_mov_b32_e32 v88, 0
	v_mov_b32_e32 v90, 0
	v_cmp_gt_i32_e32 vcc, s18, v170
	s_and_saveexec_b64 s[4:5], vcc
	s_cbranch_execz .LBB96_113
; %bb.112:                              ;   in Loop: Header=BB96_74 Depth=1
	global_load_dwordx2 v[89:90], v[42:43], off
.LBB96_113:                             ;   in Loop: Header=BB96_74 Depth=1
	s_or_b64 exec, exec, s[4:5]
	v_cmp_gt_i32_e32 vcc, s18, v171
	s_and_saveexec_b64 s[4:5], vcc
	s_cbranch_execz .LBB96_115
; %bb.114:                              ;   in Loop: Header=BB96_74 Depth=1
	v_add_co_u32_e32 v44, vcc, v139, v152
	v_addc_co_u32_e32 v45, vcc, v140, v153, vcc
	global_load_dwordx2 v[87:88], v[44:45], off
.LBB96_115:                             ;   in Loop: Header=BB96_74 Depth=1
	s_or_b64 exec, exec, s[4:5]
	v_mov_b32_e32 v91, 0
	v_mov_b32_e32 v93, 0
	;; [unrolled: 1-line block ×4, first 2 shown]
	v_cmp_gt_i32_e32 vcc, s18, v172
	s_and_saveexec_b64 s[4:5], vcc
	s_cbranch_execz .LBB96_117
; %bb.116:                              ;   in Loop: Header=BB96_74 Depth=1
	v_add_co_u32_e32 v44, vcc, v141, v152
	v_addc_co_u32_e32 v45, vcc, v142, v153, vcc
	global_load_dwordx2 v[93:94], v[44:45], off
.LBB96_117:                             ;   in Loop: Header=BB96_74 Depth=1
	s_or_b64 exec, exec, s[4:5]
	v_cmp_gt_i32_e32 vcc, s18, v173
	s_and_saveexec_b64 s[4:5], vcc
	s_cbranch_execz .LBB96_119
; %bb.118:                              ;   in Loop: Header=BB96_74 Depth=1
	v_add_co_u32_e32 v44, vcc, v143, v152
	v_addc_co_u32_e32 v45, vcc, v144, v153, vcc
	global_load_dwordx2 v[91:92], v[44:45], off
.LBB96_119:                             ;   in Loop: Header=BB96_74 Depth=1
	s_or_b64 exec, exec, s[4:5]
	s_mov_b64 s[4:5], 0
.LBB96_120:                             ;   in Loop: Header=BB96_74 Depth=1
	s_and_b64 vcc, exec, s[4:5]
	s_cbranch_vccz .LBB96_122
; %bb.121:                              ;   in Loop: Header=BB96_74 Depth=1
	global_load_dwordx2 v[89:90], v[42:43], off
	v_add_co_u32_e32 v42, vcc, v139, v152
	v_addc_co_u32_e32 v43, vcc, v140, v153, vcc
	global_load_dwordx2 v[87:88], v[42:43], off
	v_add_co_u32_e32 v42, vcc, v145, v152
	v_addc_co_u32_e32 v43, vcc, v146, v153, vcc
	global_load_dwordx2 v[93:94], v[42:43], off
	v_add_co_u32_e32 v42, vcc, v101, v152
	v_addc_co_u32_e32 v43, vcc, v102, v153, vcc
	global_load_dwordx2 v[91:92], v[42:43], off
.LBB96_122:                             ;   in Loop: Header=BB96_74 Depth=1
	ds_read_b64 v[42:43], v157
	v_add_f64 v[38:39], v[38:39], 0
	v_add_f64 v[22:23], v[22:23], 0
	;; [unrolled: 1-line block ×3, first 2 shown]
	v_cmp_gt_i32_e32 vcc, s18, v0
	s_waitcnt vmcnt(0) lgkmcnt(0)
	v_mul_f64 v[174:175], v[89:90], v[42:43]
	v_mul_f64 v[176:177], v[87:88], v[42:43]
	;; [unrolled: 1-line block ×4, first 2 shown]
	ds_read_b128 v[46:49], v154 offset:384
	ds_read_b128 v[42:45], v154 offset:400
	v_add_f64 v[38:39], v[38:39], v[40:41]
	v_add_f64 v[22:23], v[22:23], v[24:25]
	;; [unrolled: 1-line block ×3, first 2 shown]
	ds_write2_b64 v158, v[174:175], v[176:177] offset1:67
	ds_write2_b64 v158, v[178:179], v[180:181] offset0:134 offset1:201
	s_waitcnt lgkmcnt(0)
	s_barrier
	ds_read2_b64 v[174:177], v147 offset1:1
	ds_read2_b64 v[178:181], v147 offset0:2 offset1:3
	v_add_f64 v[34:35], v[38:39], v[34:35]
	v_add_f64 v[18:19], v[22:23], v[18:19]
	v_add_f64 v[40:41], v[54:55], v[50:51]
	s_waitcnt lgkmcnt(1)
	v_add_f64 v[174:175], v[174:175], 0
	s_or_b64 s[4:5], s[12:13], vcc
	s_and_b64 s[12:13], s[2:3], s[4:5]
	s_waitcnt lgkmcnt(0)
	s_barrier
	v_add_f64 v[34:35], v[34:35], v[36:37]
	v_add_f64 v[18:19], v[18:19], v[20:21]
	;; [unrolled: 1-line block ×6, first 2 shown]
	ds_write2_b64 v155, v[18:19], v[34:35] offset1:16
	ds_write2_b64 v155, v[24:25], v[20:21] offset0:32 offset1:48
	s_waitcnt lgkmcnt(0)
	s_barrier
	s_and_saveexec_b64 s[4:5], s[12:13]
	s_cbranch_execz .LBB96_124
; %bb.123:                              ;   in Loop: Header=BB96_74 Depth=1
	ds_read2_b64 v[18:21], v148 offset1:1
	ds_read2_b64 v[22:25], v148 offset0:2 offset1:3
	v_ashrrev_i32_e32 v62, 31, v61
	s_waitcnt lgkmcnt(1)
	v_add_f64 v[18:19], v[18:19], v[20:21]
	s_waitcnt lgkmcnt(0)
	v_add_f64 v[18:19], v[18:19], v[22:23]
	v_add_f64 v[34:35], v[18:19], v[24:25]
	ds_read2_b64 v[18:21], v148 offset0:4 offset1:5
	ds_read2_b64 v[22:25], v148 offset0:6 offset1:7
	s_waitcnt lgkmcnt(1)
	v_add_f64 v[18:19], v[34:35], v[18:19]
	v_add_f64 v[18:19], v[18:19], v[20:21]
	s_waitcnt lgkmcnt(0)
	v_add_f64 v[18:19], v[18:19], v[22:23]
	v_add_f64 v[34:35], v[18:19], v[24:25]
	ds_read2_b64 v[18:21], v148 offset0:8 offset1:9
	ds_read2_b64 v[22:25], v148 offset0:10 offset1:11
	s_waitcnt lgkmcnt(1)
	v_add_f64 v[18:19], v[34:35], v[18:19]
	v_add_f64 v[18:19], v[18:19], v[20:21]
	s_waitcnt lgkmcnt(0)
	v_add_f64 v[18:19], v[18:19], v[22:23]
	v_add_f64 v[22:23], v[18:19], v[24:25]
	ds_read2_b64 v[18:21], v148 offset0:12 offset1:13
	ds_read_b64 v[24:25], v148 offset:112
	s_waitcnt lgkmcnt(1)
	v_add_f64 v[18:19], v[22:23], v[18:19]
	v_mov_b32_e32 v22, s17
	v_add_f64 v[18:19], v[18:19], v[20:21]
	ds_read_b64 v[20:21], v149
	s_waitcnt lgkmcnt(1)
	v_add_f64 v[18:19], v[18:19], v[24:25]
	s_waitcnt lgkmcnt(0)
	v_add_f64 v[18:19], v[18:19], v[20:21]
	v_lshlrev_b64 v[20:21], 3, v[61:62]
	v_add_co_u32_e32 v20, vcc, s7, v20
	v_addc_co_u32_e32 v21, vcc, v22, v21, vcc
	global_store_dwordx2 v[20:21], v[18:19], off
.LBB96_124:                             ;   in Loop: Header=BB96_74 Depth=1
	s_or_b64 exec, exec, s[4:5]
	v_fma_f64 v[6:7], v[63:64], v[6:7], v[59:60]
	v_add_co_u32_e32 v103, vcc, s10, v103
	s_add_i32 s4, s6, 1
	s_add_i32 s8, s8, s29
	;; [unrolled: 1-line block ×3, first 2 shown]
	v_add_u32_e32 v61, 64, v61
	s_cmp_ge_u32 s5, s33
	v_fma_f64 v[6:7], v[65:66], v[8:9], v[6:7]
	s_waitcnt vmcnt(0)
	s_barrier
	v_fma_f64 v[2:3], v[69:70], v[2:3], v[6:7]
	v_fma_f64 v[2:3], v[67:68], v[4:5], v[2:3]
	v_mov_b32_e32 v4, s11
	v_addc_co_u32_e32 v104, vcc, v104, v4, vcc
	v_add_co_u32_e32 v105, vcc, s10, v105
	v_addc_co_u32_e32 v106, vcc, v106, v4, vcc
	v_fma_f64 v[2:3], v[71:72], v[14:15], v[2:3]
	v_add_co_u32_e32 v107, vcc, s10, v107
	v_addc_co_u32_e32 v108, vcc, v108, v4, vcc
	v_add_co_u32_e32 v109, vcc, s10, v109
	v_addc_co_u32_e32 v110, vcc, v110, v4, vcc
	v_fma_f64 v[2:3], v[73:74], v[16:17], v[2:3]
	v_add_co_u32_e32 v111, vcc, s10, v111
	v_addc_co_u32_e32 v112, vcc, v112, v4, vcc
	v_add_co_u32_e32 v113, vcc, s10, v113
	v_addc_co_u32_e32 v114, vcc, v114, v4, vcc
	v_fma_f64 v[2:3], v[77:78], v[10:11], v[2:3]
	v_add_co_u32_e32 v115, vcc, s10, v115
	v_addc_co_u32_e32 v116, vcc, v116, v4, vcc
	v_add_co_u32_e32 v117, vcc, s10, v117
	v_addc_co_u32_e32 v118, vcc, v118, v4, vcc
	v_fma_f64 v[2:3], v[75:76], v[12:13], v[2:3]
	v_add_co_u32_e32 v119, vcc, s10, v119
	v_addc_co_u32_e32 v120, vcc, v120, v4, vcc
	v_add_co_u32_e32 v121, vcc, s10, v121
	v_addc_co_u32_e32 v122, vcc, v122, v4, vcc
	v_fma_f64 v[2:3], v[81:82], v[30:31], v[2:3]
	v_add_co_u32_e32 v123, vcc, s10, v123
	v_addc_co_u32_e32 v124, vcc, v124, v4, vcc
	v_add_co_u32_e32 v125, vcc, s10, v125
	v_addc_co_u32_e32 v126, vcc, v126, v4, vcc
	v_fma_f64 v[2:3], v[79:80], v[32:33], v[2:3]
	v_add_co_u32_e32 v127, vcc, s10, v127
	v_addc_co_u32_e32 v128, vcc, v128, v4, vcc
	v_add_co_u32_e32 v129, vcc, s10, v129
	v_addc_co_u32_e32 v130, vcc, v130, v4, vcc
	v_fma_f64 v[2:3], v[85:86], v[26:27], v[2:3]
	v_add_co_u32_e32 v131, vcc, s10, v131
	v_addc_co_u32_e32 v132, vcc, v132, v4, vcc
	v_add_co_u32_e32 v133, vcc, s10, v133
	v_addc_co_u32_e32 v134, vcc, v134, v4, vcc
	v_fma_f64 v[2:3], v[83:84], v[28:29], v[2:3]
	v_add_co_u32_e32 v135, vcc, s10, v135
	v_addc_co_u32_e32 v136, vcc, v136, v4, vcc
	v_add_co_u32_e32 v137, vcc, s10, v137
	v_addc_co_u32_e32 v138, vcc, v138, v4, vcc
	v_fma_f64 v[2:3], v[89:90], v[46:47], v[2:3]
	v_add_co_u32_e32 v99, vcc, s10, v99
	v_addc_co_u32_e32 v100, vcc, v100, v4, vcc
	v_add_co_u32_e32 v139, vcc, s10, v139
	v_addc_co_u32_e32 v140, vcc, v140, v4, vcc
	v_fma_f64 v[2:3], v[87:88], v[48:49], v[2:3]
	v_add_co_u32_e32 v141, vcc, s10, v141
	v_addc_co_u32_e32 v142, vcc, v142, v4, vcc
	v_add_co_u32_e32 v143, vcc, s10, v143
	v_addc_co_u32_e32 v144, vcc, v144, v4, vcc
	v_fma_f64 v[2:3], v[93:94], v[42:43], v[2:3]
	v_add_co_u32_e32 v145, vcc, s10, v145
	v_addc_co_u32_e32 v146, vcc, v146, v4, vcc
	v_add_co_u32_e32 v101, vcc, s10, v101
	v_addc_co_u32_e32 v102, vcc, v102, v4, vcc
	v_fma_f64 v[59:60], v[91:92], v[44:45], v[2:3]
	s_cbranch_scc1 .LBB96_126
; %bb.125:                              ;   in Loop: Header=BB96_74 Depth=1
	s_mov_b32 s6, s4
	s_cmp_eq_u32 s28, s6
	s_cselect_b32 s18, s38, 0
	s_and_saveexec_b64 s[4:5], s[0:1]
	s_cbranch_execnz .LBB96_71
	s_branch .LBB96_74
.LBB96_126:
	s_movk_i32 s2, 0x218
	v_cmp_gt_i32_e32 vcc, s16, v0
	v_mad_u32_u24 v1, v1, s2, v95
	s_or_b64 s[2:3], s[20:21], vcc
	s_and_b64 s[0:1], s[0:1], s[2:3]
	ds_write_b64 v1, v[59:60]
	s_waitcnt lgkmcnt(0)
	s_barrier
	s_and_saveexec_b64 s[2:3], s[0:1]
	s_cbranch_execz .LBB96_128
; %bb.127:
	ds_read2_b64 v[0:3], v95 offset1:67
	v_ashrrev_i32_e32 v59, 31, v58
	s_waitcnt lgkmcnt(0)
	v_add_f64 v[4:5], v[0:1], v[2:3]
	ds_read2_b64 v[0:3], v95 offset0:134 offset1:201
	s_waitcnt lgkmcnt(0)
	v_add_f64 v[0:1], v[4:5], v[0:1]
	v_mov_b32_e32 v4, s17
	v_add_f64 v[0:1], v[0:1], v[2:3]
	v_lshlrev_b64 v[2:3], 3, v[58:59]
	v_add_co_u32_e32 v2, vcc, s7, v2
	v_addc_co_u32_e32 v3, vcc, v4, v3, vcc
	global_store_dwordx2 v[2:3], v[0:1], off
.LBB96_128:
	s_endpgm
	.section	.rodata,"a",@progbits
	.p2align	6, 0x0
	.amdhsa_kernel _ZL26rocblas_hemvn_kernel_upperILb0ELi64ELi4ELi33ELi32ELi16EiPKdS1_PdEviT6_lT7_lT5_lS4_lS5_lS3_lT8_i
		.amdhsa_group_segment_fixed_size 9600
		.amdhsa_private_segment_fixed_size 0
		.amdhsa_kernarg_size 376
		.amdhsa_user_sgpr_count 6
		.amdhsa_user_sgpr_private_segment_buffer 1
		.amdhsa_user_sgpr_dispatch_ptr 0
		.amdhsa_user_sgpr_queue_ptr 0
		.amdhsa_user_sgpr_kernarg_segment_ptr 1
		.amdhsa_user_sgpr_dispatch_id 0
		.amdhsa_user_sgpr_flat_scratch_init 0
		.amdhsa_user_sgpr_private_segment_size 0
		.amdhsa_uses_dynamic_stack 0
		.amdhsa_system_sgpr_private_segment_wavefront_offset 0
		.amdhsa_system_sgpr_workgroup_id_x 1
		.amdhsa_system_sgpr_workgroup_id_y 0
		.amdhsa_system_sgpr_workgroup_id_z 1
		.amdhsa_system_sgpr_workgroup_info 0
		.amdhsa_system_vgpr_workitem_id 1
		.amdhsa_next_free_vgpr 182
		.amdhsa_next_free_sgpr 93
		.amdhsa_reserve_vcc 1
		.amdhsa_reserve_flat_scratch 0
		.amdhsa_float_round_mode_32 0
		.amdhsa_float_round_mode_16_64 0
		.amdhsa_float_denorm_mode_32 3
		.amdhsa_float_denorm_mode_16_64 3
		.amdhsa_dx10_clamp 1
		.amdhsa_ieee_mode 1
		.amdhsa_fp16_overflow 0
		.amdhsa_exception_fp_ieee_invalid_op 0
		.amdhsa_exception_fp_denorm_src 0
		.amdhsa_exception_fp_ieee_div_zero 0
		.amdhsa_exception_fp_ieee_overflow 0
		.amdhsa_exception_fp_ieee_underflow 0
		.amdhsa_exception_fp_ieee_inexact 0
		.amdhsa_exception_int_div_zero 0
	.end_amdhsa_kernel
	.section	.text._ZL26rocblas_hemvn_kernel_upperILb0ELi64ELi4ELi33ELi32ELi16EiPKdS1_PdEviT6_lT7_lT5_lS4_lS5_lS3_lT8_i,"axG",@progbits,_ZL26rocblas_hemvn_kernel_upperILb0ELi64ELi4ELi33ELi32ELi16EiPKdS1_PdEviT6_lT7_lT5_lS4_lS5_lS3_lT8_i,comdat
.Lfunc_end96:
	.size	_ZL26rocblas_hemvn_kernel_upperILb0ELi64ELi4ELi33ELi32ELi16EiPKdS1_PdEviT6_lT7_lT5_lS4_lS5_lS3_lT8_i, .Lfunc_end96-_ZL26rocblas_hemvn_kernel_upperILb0ELi64ELi4ELi33ELi32ELi16EiPKdS1_PdEviT6_lT7_lT5_lS4_lS5_lS3_lT8_i
                                        ; -- End function
	.set _ZL26rocblas_hemvn_kernel_upperILb0ELi64ELi4ELi33ELi32ELi16EiPKdS1_PdEviT6_lT7_lT5_lS4_lS5_lS3_lT8_i.num_vgpr, 182
	.set _ZL26rocblas_hemvn_kernel_upperILb0ELi64ELi4ELi33ELi32ELi16EiPKdS1_PdEviT6_lT7_lT5_lS4_lS5_lS3_lT8_i.num_agpr, 0
	.set _ZL26rocblas_hemvn_kernel_upperILb0ELi64ELi4ELi33ELi32ELi16EiPKdS1_PdEviT6_lT7_lT5_lS4_lS5_lS3_lT8_i.numbered_sgpr, 62
	.set _ZL26rocblas_hemvn_kernel_upperILb0ELi64ELi4ELi33ELi32ELi16EiPKdS1_PdEviT6_lT7_lT5_lS4_lS5_lS3_lT8_i.num_named_barrier, 0
	.set _ZL26rocblas_hemvn_kernel_upperILb0ELi64ELi4ELi33ELi32ELi16EiPKdS1_PdEviT6_lT7_lT5_lS4_lS5_lS3_lT8_i.private_seg_size, 0
	.set _ZL26rocblas_hemvn_kernel_upperILb0ELi64ELi4ELi33ELi32ELi16EiPKdS1_PdEviT6_lT7_lT5_lS4_lS5_lS3_lT8_i.uses_vcc, 1
	.set _ZL26rocblas_hemvn_kernel_upperILb0ELi64ELi4ELi33ELi32ELi16EiPKdS1_PdEviT6_lT7_lT5_lS4_lS5_lS3_lT8_i.uses_flat_scratch, 0
	.set _ZL26rocblas_hemvn_kernel_upperILb0ELi64ELi4ELi33ELi32ELi16EiPKdS1_PdEviT6_lT7_lT5_lS4_lS5_lS3_lT8_i.has_dyn_sized_stack, 0
	.set _ZL26rocblas_hemvn_kernel_upperILb0ELi64ELi4ELi33ELi32ELi16EiPKdS1_PdEviT6_lT7_lT5_lS4_lS5_lS3_lT8_i.has_recursion, 0
	.set _ZL26rocblas_hemvn_kernel_upperILb0ELi64ELi4ELi33ELi32ELi16EiPKdS1_PdEviT6_lT7_lT5_lS4_lS5_lS3_lT8_i.has_indirect_call, 0
	.section	.AMDGPU.csdata,"",@progbits
; Kernel info:
; codeLenInByte = 7400
; TotalNumSgprs: 66
; NumVgprs: 182
; ScratchSize: 0
; MemoryBound: 0
; FloatMode: 240
; IeeeMode: 1
; LDSByteSize: 9600 bytes/workgroup (compile time only)
; SGPRBlocks: 12
; VGPRBlocks: 45
; NumSGPRsForWavesPerEU: 97
; NumVGPRsForWavesPerEU: 182
; Occupancy: 1
; WaveLimiterHint : 1
; COMPUTE_PGM_RSRC2:SCRATCH_EN: 0
; COMPUTE_PGM_RSRC2:USER_SGPR: 6
; COMPUTE_PGM_RSRC2:TRAP_HANDLER: 0
; COMPUTE_PGM_RSRC2:TGID_X_EN: 1
; COMPUTE_PGM_RSRC2:TGID_Y_EN: 0
; COMPUTE_PGM_RSRC2:TGID_Z_EN: 1
; COMPUTE_PGM_RSRC2:TIDIG_COMP_CNT: 1
	.section	.text._ZL36rocblas_hemvn_kernel_upper_block_sumILi64EiPKdPddEviT1_lS3_lT2_lT0_lPT3_i,"axG",@progbits,_ZL36rocblas_hemvn_kernel_upper_block_sumILi64EiPKdPddEviT1_lS3_lT2_lT0_lPT3_i,comdat
	.globl	_ZL36rocblas_hemvn_kernel_upper_block_sumILi64EiPKdPddEviT1_lS3_lT2_lT0_lPT3_i ; -- Begin function _ZL36rocblas_hemvn_kernel_upper_block_sumILi64EiPKdPddEviT1_lS3_lT2_lT0_lPT3_i
	.p2align	8
	.type	_ZL36rocblas_hemvn_kernel_upper_block_sumILi64EiPKdPddEviT1_lS3_lT2_lT0_lPT3_i,@function
_ZL36rocblas_hemvn_kernel_upper_block_sumILi64EiPKdPddEviT1_lS3_lT2_lT0_lPT3_i: ; @_ZL36rocblas_hemvn_kernel_upper_block_sumILi64EiPKdPddEviT1_lS3_lT2_lT0_lPT3_i
; %bb.0:
	s_load_dwordx8 s[8:15], s[4:5], 0x8
	s_waitcnt lgkmcnt(0)
	s_mul_i32 s0, s11, s7
	s_mul_hi_u32 s1, s10, s7
	s_add_i32 s1, s1, s0
	s_mul_i32 s0, s10, s7
	s_lshl_b64 s[0:1], s[0:1], 3
	s_add_u32 s0, s8, s0
	s_addc_u32 s1, s9, s1
	s_load_dwordx2 s[8:9], s[0:1], 0x0
	s_mul_i32 s0, s15, s7
	s_mul_hi_u32 s1, s14, s7
	s_add_i32 s1, s1, s0
	s_mul_i32 s0, s14, s7
	s_lshl_b64 s[0:1], s[0:1], 3
	s_add_u32 s0, s12, s0
	s_addc_u32 s1, s13, s1
	s_load_dwordx2 s[10:11], s[0:1], 0x0
	s_waitcnt lgkmcnt(0)
	v_cmp_eq_f64_e64 s[0:1], s[8:9], 0
	v_cmp_eq_f64_e64 s[2:3], s[10:11], 1.0
	s_and_b64 s[0:1], s[0:1], s[2:3]
	s_and_b64 vcc, exec, s[0:1]
	s_cbranch_vccnz .LBB97_19
; %bb.1:
	s_load_dwordx4 s[0:3], s[4:5], 0x40
	s_load_dwordx4 s[16:19], s[4:5], 0x28
	s_load_dword s22, s[4:5], 0x38
	s_load_dword s14, s[4:5], 0x0
	v_cmp_neq_f64_e64 s[24:25], s[8:9], 0
	s_waitcnt lgkmcnt(0)
	s_mul_i32 s1, s1, s7
	s_mul_hi_u32 s12, s0, s7
	s_add_i32 s1, s12, s1
	s_mul_i32 s0, s0, s7
	s_lshl_b64 s[0:1], s[0:1], 3
	s_add_u32 s12, s16, s0
	s_addc_u32 s13, s17, s1
	s_lshl_b64 s[0:1], s[18:19], 3
	s_add_u32 s20, s12, s0
	v_lshl_or_b32 v0, s6, 6, v0
	s_addc_u32 s21, s13, s1
	s_mov_b64 s[12:13], 0
	s_and_b64 vcc, exec, s[24:25]
	v_cmp_gt_i32_e64 s[0:1], s14, v0
	s_cbranch_vccnz .LBB97_6
; %bb.2:
	s_mov_b64 s[16:17], 0
                                        ; implicit-def: $vgpr3_vgpr4
                                        ; implicit-def: $vgpr1_vgpr2
	s_and_saveexec_b64 s[18:19], s[0:1]
	s_cbranch_execz .LBB97_7
; %bb.3:
	v_cmp_eq_f64_e64 s[0:1], s[10:11], 0
	v_mul_lo_u32 v1, s22, v0
	v_mov_b32_e32 v3, 0
	v_mov_b32_e32 v4, 0
	v_ashrrev_i32_e32 v2, 31, v1
	s_and_b64 vcc, exec, s[0:1]
	s_cbranch_vccnz .LBB97_5
; %bb.4:
	v_lshlrev_b64 v[3:4], 3, v[1:2]
	v_mov_b32_e32 v5, s21
	v_add_co_u32_e32 v3, vcc, s20, v3
	v_addc_co_u32_e32 v4, vcc, v5, v4, vcc
	global_load_dwordx2 v[3:4], v[3:4], off
	s_waitcnt vmcnt(0)
	v_mul_f64 v[3:4], s[10:11], v[3:4]
.LBB97_5:
	s_mov_b64 s[12:13], exec
	s_or_b64 exec, exec, s[18:19]
	s_and_b64 vcc, exec, s[16:17]
	s_cbranch_vccnz .LBB97_8
	s_branch .LBB97_17
.LBB97_6:
                                        ; implicit-def: $vgpr3_vgpr4
                                        ; implicit-def: $vgpr1_vgpr2
	s_cbranch_execnz .LBB97_8
	s_branch .LBB97_17
.LBB97_7:
	s_or_b64 exec, exec, s[18:19]
	s_and_b64 vcc, exec, s[16:17]
	s_cbranch_vccz .LBB97_17
.LBB97_8:
	v_cmp_gt_i32_e32 vcc, s14, v0
                                        ; implicit-def: $vgpr3_vgpr4
                                        ; implicit-def: $vgpr1_vgpr2
	s_and_saveexec_b64 s[0:1], vcc
	s_cbranch_execz .LBB97_16
; %bb.9:
	v_mov_b32_e32 v5, 0
	v_mov_b32_e32 v6, 0
	s_cmp_lt_i32 s6, 0
	s_cbranch_scc1 .LBB97_12
; %bb.10:
	s_load_dword s4, s[4:5], 0x58
	s_ashr_i32 s15, s14, 31
	s_mul_hi_u32 s5, s14, s7
	s_mul_i32 s16, s15, s7
	s_add_i32 s5, s5, s16
	s_mul_i32 s7, s14, s7
	s_waitcnt lgkmcnt(0)
	s_mul_i32 s5, s5, s4
	s_mul_hi_u32 s16, s7, s4
	s_add_i32 s5, s16, s5
	s_mul_i32 s4, s7, s4
	s_lshl_b64 s[4:5], s[4:5], 3
	v_mov_b32_e32 v1, 0
	s_add_u32 s2, s2, s4
	v_lshlrev_b64 v[1:2], 3, v[0:1]
	s_addc_u32 s3, s3, s5
	v_mov_b32_e32 v3, s3
	v_add_co_u32_e32 v1, vcc, s2, v1
	s_lshl_b64 s[2:3], s[14:15], 3
	v_mov_b32_e32 v5, 0
	v_addc_co_u32_e32 v2, vcc, v3, v2, vcc
	s_add_i32 s4, s6, 1
	v_mov_b32_e32 v6, 0
	v_mov_b32_e32 v3, s3
.LBB97_11:                              ; =>This Inner Loop Header: Depth=1
	global_load_dwordx2 v[7:8], v[1:2], off
	s_add_i32 s4, s4, -1
	v_add_co_u32_e32 v1, vcc, s2, v1
	s_cmp_eq_u32 s4, 0
	v_addc_co_u32_e32 v2, vcc, v2, v3, vcc
	s_waitcnt vmcnt(0)
	v_add_f64 v[5:6], v[5:6], v[7:8]
	s_cbranch_scc0 .LBB97_11
.LBB97_12:
	v_cmp_eq_f64_e64 s[4:5], s[10:11], 0
	v_mul_lo_u32 v1, s22, v0
	s_mov_b64 s[2:3], 0
	v_ashrrev_i32_e32 v2, 31, v1
	s_and_b64 vcc, exec, s[4:5]
	s_cbranch_vccz .LBB97_20
; %bb.13:
	v_mul_f64 v[3:4], s[8:9], v[5:6]
	s_andn2_b64 vcc, exec, s[2:3]
	s_cbranch_vccnz .LBB97_15
.LBB97_14:
	v_lshlrev_b64 v[3:4], 3, v[1:2]
	v_mov_b32_e32 v0, s21
	v_add_co_u32_e32 v3, vcc, s20, v3
	v_addc_co_u32_e32 v4, vcc, v0, v4, vcc
	global_load_dwordx2 v[3:4], v[3:4], off
	s_waitcnt vmcnt(0)
	v_mul_f64 v[3:4], s[10:11], v[3:4]
	v_fma_f64 v[3:4], s[8:9], v[5:6], v[3:4]
.LBB97_15:
	s_or_b64 s[12:13], s[12:13], exec
.LBB97_16:
	s_or_b64 exec, exec, s[0:1]
.LBB97_17:
	s_and_saveexec_b64 s[0:1], s[12:13]
	s_cbranch_execz .LBB97_19
; %bb.18:
	v_lshlrev_b64 v[0:1], 3, v[1:2]
	v_mov_b32_e32 v2, s21
	v_add_co_u32_e32 v0, vcc, s20, v0
	v_addc_co_u32_e32 v1, vcc, v2, v1, vcc
	global_store_dwordx2 v[0:1], v[3:4], off
.LBB97_19:
	s_endpgm
.LBB97_20:
                                        ; implicit-def: $vgpr3_vgpr4
	s_branch .LBB97_14
	.section	.rodata,"a",@progbits
	.p2align	6, 0x0
	.amdhsa_kernel _ZL36rocblas_hemvn_kernel_upper_block_sumILi64EiPKdPddEviT1_lS3_lT2_lT0_lPT3_i
		.amdhsa_group_segment_fixed_size 0
		.amdhsa_private_segment_fixed_size 0
		.amdhsa_kernarg_size 344
		.amdhsa_user_sgpr_count 6
		.amdhsa_user_sgpr_private_segment_buffer 1
		.amdhsa_user_sgpr_dispatch_ptr 0
		.amdhsa_user_sgpr_queue_ptr 0
		.amdhsa_user_sgpr_kernarg_segment_ptr 1
		.amdhsa_user_sgpr_dispatch_id 0
		.amdhsa_user_sgpr_flat_scratch_init 0
		.amdhsa_user_sgpr_private_segment_size 0
		.amdhsa_uses_dynamic_stack 0
		.amdhsa_system_sgpr_private_segment_wavefront_offset 0
		.amdhsa_system_sgpr_workgroup_id_x 1
		.amdhsa_system_sgpr_workgroup_id_y 0
		.amdhsa_system_sgpr_workgroup_id_z 1
		.amdhsa_system_sgpr_workgroup_info 0
		.amdhsa_system_vgpr_workitem_id 0
		.amdhsa_next_free_vgpr 9
		.amdhsa_next_free_sgpr 26
		.amdhsa_reserve_vcc 1
		.amdhsa_reserve_flat_scratch 0
		.amdhsa_float_round_mode_32 0
		.amdhsa_float_round_mode_16_64 0
		.amdhsa_float_denorm_mode_32 3
		.amdhsa_float_denorm_mode_16_64 3
		.amdhsa_dx10_clamp 1
		.amdhsa_ieee_mode 1
		.amdhsa_fp16_overflow 0
		.amdhsa_exception_fp_ieee_invalid_op 0
		.amdhsa_exception_fp_denorm_src 0
		.amdhsa_exception_fp_ieee_div_zero 0
		.amdhsa_exception_fp_ieee_overflow 0
		.amdhsa_exception_fp_ieee_underflow 0
		.amdhsa_exception_fp_ieee_inexact 0
		.amdhsa_exception_int_div_zero 0
	.end_amdhsa_kernel
	.section	.text._ZL36rocblas_hemvn_kernel_upper_block_sumILi64EiPKdPddEviT1_lS3_lT2_lT0_lPT3_i,"axG",@progbits,_ZL36rocblas_hemvn_kernel_upper_block_sumILi64EiPKdPddEviT1_lS3_lT2_lT0_lPT3_i,comdat
.Lfunc_end97:
	.size	_ZL36rocblas_hemvn_kernel_upper_block_sumILi64EiPKdPddEviT1_lS3_lT2_lT0_lPT3_i, .Lfunc_end97-_ZL36rocblas_hemvn_kernel_upper_block_sumILi64EiPKdPddEviT1_lS3_lT2_lT0_lPT3_i
                                        ; -- End function
	.set _ZL36rocblas_hemvn_kernel_upper_block_sumILi64EiPKdPddEviT1_lS3_lT2_lT0_lPT3_i.num_vgpr, 9
	.set _ZL36rocblas_hemvn_kernel_upper_block_sumILi64EiPKdPddEviT1_lS3_lT2_lT0_lPT3_i.num_agpr, 0
	.set _ZL36rocblas_hemvn_kernel_upper_block_sumILi64EiPKdPddEviT1_lS3_lT2_lT0_lPT3_i.numbered_sgpr, 26
	.set _ZL36rocblas_hemvn_kernel_upper_block_sumILi64EiPKdPddEviT1_lS3_lT2_lT0_lPT3_i.num_named_barrier, 0
	.set _ZL36rocblas_hemvn_kernel_upper_block_sumILi64EiPKdPddEviT1_lS3_lT2_lT0_lPT3_i.private_seg_size, 0
	.set _ZL36rocblas_hemvn_kernel_upper_block_sumILi64EiPKdPddEviT1_lS3_lT2_lT0_lPT3_i.uses_vcc, 1
	.set _ZL36rocblas_hemvn_kernel_upper_block_sumILi64EiPKdPddEviT1_lS3_lT2_lT0_lPT3_i.uses_flat_scratch, 0
	.set _ZL36rocblas_hemvn_kernel_upper_block_sumILi64EiPKdPddEviT1_lS3_lT2_lT0_lPT3_i.has_dyn_sized_stack, 0
	.set _ZL36rocblas_hemvn_kernel_upper_block_sumILi64EiPKdPddEviT1_lS3_lT2_lT0_lPT3_i.has_recursion, 0
	.set _ZL36rocblas_hemvn_kernel_upper_block_sumILi64EiPKdPddEviT1_lS3_lT2_lT0_lPT3_i.has_indirect_call, 0
	.section	.AMDGPU.csdata,"",@progbits
; Kernel info:
; codeLenInByte = 676
; TotalNumSgprs: 30
; NumVgprs: 9
; ScratchSize: 0
; MemoryBound: 0
; FloatMode: 240
; IeeeMode: 1
; LDSByteSize: 0 bytes/workgroup (compile time only)
; SGPRBlocks: 3
; VGPRBlocks: 2
; NumSGPRsForWavesPerEU: 30
; NumVGPRsForWavesPerEU: 9
; Occupancy: 10
; WaveLimiterHint : 0
; COMPUTE_PGM_RSRC2:SCRATCH_EN: 0
; COMPUTE_PGM_RSRC2:USER_SGPR: 6
; COMPUTE_PGM_RSRC2:TRAP_HANDLER: 0
; COMPUTE_PGM_RSRC2:TGID_X_EN: 1
; COMPUTE_PGM_RSRC2:TGID_Y_EN: 0
; COMPUTE_PGM_RSRC2:TGID_Z_EN: 1
; COMPUTE_PGM_RSRC2:TIDIG_COMP_CNT: 0
	.section	.text._ZL26rocblas_hemvn_kernel_upperILb0ELi64ELi4ELi33ELi32ELi16EldPKdPdEviT6_lT7_lT5_lS4_lS5_lS3_lT8_i,"axG",@progbits,_ZL26rocblas_hemvn_kernel_upperILb0ELi64ELi4ELi33ELi32ELi16EldPKdPdEviT6_lT7_lT5_lS4_lS5_lS3_lT8_i,comdat
	.globl	_ZL26rocblas_hemvn_kernel_upperILb0ELi64ELi4ELi33ELi32ELi16EldPKdPdEviT6_lT7_lT5_lS4_lS5_lS3_lT8_i ; -- Begin function _ZL26rocblas_hemvn_kernel_upperILb0ELi64ELi4ELi33ELi32ELi16EldPKdPdEviT6_lT7_lT5_lS4_lS5_lS3_lT8_i
	.p2align	8
	.type	_ZL26rocblas_hemvn_kernel_upperILb0ELi64ELi4ELi33ELi32ELi16EldPKdPdEviT6_lT7_lT5_lS4_lS5_lS3_lT8_i,@function
_ZL26rocblas_hemvn_kernel_upperILb0ELi64ELi4ELi33ELi32ELi16EldPKdPdEviT6_lT7_lT5_lS4_lS5_lS3_lT8_i: ; @_ZL26rocblas_hemvn_kernel_upperILb0ELi64ELi4ELi33ELi32ELi16EldPKdPdEviT6_lT7_lT5_lS4_lS5_lS3_lT8_i
; %bb.0:
	s_load_dwordx2 s[2:3], s[4:5], 0x84
	s_add_u32 s0, s4, 0x78
	s_addc_u32 s1, s5, 0
	s_waitcnt lgkmcnt(0)
	s_lshr_b32 s8, s2, 16
	s_and_b32 s2, s2, 0xffff
	s_and_b32 s3, s3, 0xffff
	s_mul_i32 s2, s8, s2
	s_mul_i32 s2, s2, s3
	s_cmpk_lg_i32 s2, 0x100
	s_cbranch_scc1 .LBB98_128
; %bb.1:
	s_load_dwordx2 s[2:3], s[4:5], 0x8
	s_load_dwordx2 s[8:9], s[4:5], 0x58
	s_waitcnt lgkmcnt(0)
	v_cmp_eq_f64_e64 s[2:3], s[2:3], 0
	v_cmp_eq_f64_e64 s[8:9], s[8:9], 1.0
	s_and_b64 s[8:9], s[2:3], s[8:9]
	s_and_b64 vcc, exec, s[8:9]
	s_cbranch_vccnz .LBB98_128
; %bb.2:
	s_and_b64 vcc, exec, s[2:3]
	s_cbranch_vccnz .LBB98_128
; %bb.3:
	s_load_dwordx16 s[16:31], s[4:5], 0x18
	s_load_dword s33, s[0:1], 0x0
	s_load_dword s37, s[4:5], 0x0
	s_waitcnt lgkmcnt(0)
	s_mul_i32 s1, s31, s7
	s_mul_hi_u32 s2, s30, s7
	s_mul_i32 s0, s30, s7
	s_add_i32 s1, s2, s1
	s_lshl_b64 s[0:1], s[0:1], 3
	s_add_u32 s2, s24, s0
	s_addc_u32 s3, s25, s1
	s_lshl_b64 s[0:1], s[26:27], 3
	s_add_u32 s2, s2, s0
	s_addc_u32 s3, s3, s1
	s_lshl_b32 s26, s6, 6
	s_ashr_i32 s38, s37, 31
	s_lshr_b32 s0, s38, 26
	v_add_u32_e32 v58, s26, v0
	s_add_i32 s0, s37, s0
	v_ashrrev_i32_e32 v59, 31, v58
	s_and_b32 s9, s0, 0xffffffc0
	v_mul_lo_u32 v4, s28, v59
	v_mul_lo_u32 v5, s29, v58
	v_mad_u64_u32 v[2:3], s[0:1], s28, v58, 0
	s_add_i32 s8, s33, -1
	s_sub_i32 s36, s37, s9
	v_add3_u32 v3, v3, v4, v5
	v_lshlrev_b64 v[2:3], 3, v[2:3]
	s_cmp_eq_u32 s6, s8
	v_mov_b32_e32 v4, s3
	v_add_co_u32_e32 v14, vcc, s2, v2
	s_cselect_b32 s24, s36, 0
	v_addc_co_u32_e32 v15, vcc, v4, v3, vcc
	v_cmp_eq_u32_e64 s[0:1], 0, v1
	s_and_saveexec_b64 s[2:3], s[0:1]
	s_cbranch_execz .LBB98_7
; %bb.4:
	s_cmp_eq_u32 s24, 0
	s_cselect_b64 s[8:9], -1, 0
	v_cmp_gt_i32_e32 vcc, s24, v0
	v_mov_b32_e32 v2, 0
	v_mov_b32_e32 v3, 0
	s_or_b64 s[10:11], s[8:9], vcc
	s_and_saveexec_b64 s[8:9], s[10:11]
	s_cbranch_execz .LBB98_6
; %bb.5:
	global_load_dwordx2 v[2:3], v[14:15], off
.LBB98_6:
	s_or_b64 exec, exec, s[8:9]
	v_lshlrev_b32_e32 v4, 3, v0
	s_waitcnt vmcnt(0)
	ds_write_b64 v4, v[2:3] offset:9088
.LBB98_7:
	s_or_b64 exec, exec, s[2:3]
	v_lshl_add_u32 v24, v1, 6, v0
	s_mul_i32 s2, s23, s7
	s_mul_hi_u32 s3, s22, s7
	v_and_b32_e32 v2, 31, v0
	v_lshrrev_b32_e32 v13, 5, v24
	s_add_i32 s3, s3, s2
	s_mul_i32 s2, s22, s7
	v_mov_b32_e32 v3, 0
	s_lshl_b64 s[2:3], s[2:3], 3
	v_mad_u64_u32 v[3:4], s[8:9], s20, v13, v[2:3]
	s_add_u32 s10, s16, s2
	s_addc_u32 s11, s17, s3
	s_lshl_b64 s[2:3], s[18:19], 3
	s_add_u32 s8, s10, s2
	s_addc_u32 s9, s11, s3
	v_mad_u64_u32 v[4:5], s[2:3], s21, v13, v[4:5]
	s_ashr_i32 s27, s26, 31
	s_lshl_b64 s[2:3], s[26:27], 3
	s_add_u32 s2, s8, s2
	v_lshlrev_b64 v[16:17], 3, v[3:4]
	s_addc_u32 s3, s9, s3
	v_mov_b32_e32 v3, s3
	v_add_co_u32_e32 v4, vcc, s2, v16
	s_mul_hi_u32 s2, s20, s26
	s_mul_i32 s3, s20, s27
	s_add_i32 s2, s2, s3
	s_mul_i32 s3, s21, s26
	s_add_i32 s3, s2, s3
	s_mul_i32 s2, s20, s26
	s_lshl_b64 s[2:3], s[2:3], 3
	v_addc_co_u32_e32 v3, vcc, v3, v17, vcc
	s_cmp_eq_u32 s24, 0
	v_mov_b32_e32 v6, s3
	v_add_co_u32_e32 v5, vcc, s2, v4
	s_cselect_b64 s[18:19], -1, 0
	s_cmp_lg_u32 s24, 0
	v_addc_co_u32_e32 v6, vcc, v3, v6, vcc
	s_cselect_b64 s[22:23], -1, 0
	s_and_b64 vcc, exec, s[22:23]
	v_cmp_gt_i32_e64 s[2:3], s24, v2
	v_lshlrev_b32_e32 v18, 3, v2
	s_cbranch_vccz .LBB98_17
; %bb.8:
	v_sub_co_u32_e32 v3, vcc, v5, v18
	s_ashr_i32 s25, s24, 31
	v_subbrev_co_u32_e32 v4, vcc, 0, v6, vcc
	s_lshl_b64 s[8:9], s[24:25], 3
	v_mov_b32_e32 v7, s9
	v_add_co_u32_e32 v3, vcc, s8, v3
	v_addc_co_u32_e32 v4, vcc, v4, v7, vcc
	v_add_co_u32_e32 v3, vcc, -8, v3
	v_addc_co_u32_e32 v4, vcc, -1, v4, vcc
	v_mov_b32_e32 v7, 0
	v_mov_b32_e32 v9, 0
	v_cndmask_b32_e64 v4, v4, v6, s[2:3]
	v_cndmask_b32_e64 v3, v3, v5, s[2:3]
	v_mov_b32_e32 v8, 0
	v_mov_b32_e32 v10, 0
	v_cmp_gt_i32_e32 vcc, s24, v13
	s_and_saveexec_b64 s[10:11], vcc
	s_cbranch_execz .LBB98_10
; %bb.9:
	global_load_dwordx2 v[9:10], v[3:4], off
.LBB98_10:
	s_or_b64 exec, exec, s[10:11]
	v_lshlrev_b32_e32 v11, 3, v2
	s_movk_i32 s10, 0x108
	v_mad_u32_u24 v19, v13, s10, v11
	s_waitcnt vmcnt(0)
	ds_write_b64 v19, v[9:10]
	v_add_u32_e32 v9, 8, v13
	v_mul_u32_u24_e32 v12, 0x108, v13
	v_cmp_gt_i32_e32 vcc, s24, v9
	s_and_saveexec_b64 s[10:11], vcc
	s_cbranch_execz .LBB98_12
; %bb.11:
	s_lshl_b64 s[12:13], s[20:21], 6
	v_mov_b32_e32 v8, s13
	v_add_co_u32_e32 v7, vcc, s12, v3
	v_addc_co_u32_e32 v8, vcc, v4, v8, vcc
	global_load_dwordx2 v[7:8], v[7:8], off
.LBB98_12:
	s_or_b64 exec, exec, s[10:11]
	v_add_u32_e32 v11, v12, v11
	s_waitcnt vmcnt(0)
	ds_write_b64 v11, v[7:8] offset:2112
	v_add_u32_e32 v12, 16, v13
	v_mov_b32_e32 v7, 0
	v_mov_b32_e32 v9, 0
	v_mov_b32_e32 v8, 0
	v_mov_b32_e32 v10, 0
	v_cmp_gt_i32_e32 vcc, s24, v12
	s_and_saveexec_b64 s[10:11], vcc
	s_cbranch_execz .LBB98_14
; %bb.13:
	s_lshl_b64 s[12:13], s[20:21], 7
	v_mov_b32_e32 v10, s13
	v_add_co_u32_e32 v9, vcc, s12, v3
	v_addc_co_u32_e32 v10, vcc, v4, v10, vcc
	global_load_dwordx2 v[9:10], v[9:10], off
.LBB98_14:
	s_or_b64 exec, exec, s[10:11]
	s_waitcnt vmcnt(0)
	ds_write_b64 v11, v[9:10] offset:4224
	v_add_u32_e32 v9, 24, v13
	v_cmp_gt_i32_e32 vcc, s24, v9
	s_and_saveexec_b64 s[10:11], vcc
	s_cbranch_execz .LBB98_16
; %bb.15:
	v_mov_b32_e32 v7, 0xc0
	v_mad_u64_u32 v[7:8], s[12:13], s20, v7, v[3:4]
	s_mul_i32 s12, s21, 0xc0
	v_add_u32_e32 v8, s12, v8
	global_load_dwordx2 v[7:8], v[7:8], off
.LBB98_16:
	s_or_b64 exec, exec, s[10:11]
	v_add_co_u32_e32 v3, vcc, v3, v18
	v_addc_co_u32_e32 v4, vcc, 0, v4, vcc
	s_waitcnt vmcnt(0)
	ds_write_b64 v11, v[7:8] offset:6336
	v_mov_b32_e32 v7, s9
	v_subrev_co_u32_e32 v3, vcc, s8, v3
	v_subb_co_u32_e32 v4, vcc, v4, v7, vcc
	v_add_co_u32_e32 v3, vcc, 8, v3
	v_addc_co_u32_e32 v4, vcc, 0, v4, vcc
	v_cndmask_b32_e64 v4, v4, v6, s[2:3]
	v_cndmask_b32_e64 v3, v3, v5, s[2:3]
	s_branch .LBB98_19
.LBB98_17:
                                        ; implicit-def: $vgpr3_vgpr4
	s_cbranch_execz .LBB98_19
; %bb.18:
	s_lshl_b64 s[2:3], s[20:21], 6
	v_mov_b32_e32 v10, s3
	v_add_co_u32_e32 v3, vcc, s2, v5
	v_addc_co_u32_e32 v4, vcc, v6, v10, vcc
	v_add_co_u32_e32 v7, vcc, s2, v3
	v_addc_co_u32_e32 v8, vcc, v4, v10, vcc
	;; [unrolled: 2-line block ×3, first 2 shown]
	global_load_dwordx2 v[11:12], v[5:6], off
	global_load_dwordx2 v[19:20], v[3:4], off
	;; [unrolled: 1-line block ×4, first 2 shown]
	v_mul_u32_u24_e32 v3, 0x108, v13
	v_lshl_add_u32 v3, v2, 3, v3
	s_waitcnt vmcnt(3)
	ds_write_b64 v3, v[11:12]
	s_waitcnt vmcnt(2)
	ds_write_b64 v3, v[19:20] offset:2112
	s_waitcnt vmcnt(1)
	ds_write_b64 v3, v[21:22] offset:4224
	;; [unrolled: 2-line block ×3, first 2 shown]
	v_mov_b32_e32 v3, v5
	v_mov_b32_e32 v4, v6
.LBB98_19:
	v_lshlrev_b32_e32 v20, 3, v2
	v_lshlrev_b32_e32 v19, 2, v13
	v_lshl_or_b32 v5, v2, 8, v20
	v_cmp_gt_u32_e64 s[16:17], v19, v2
	v_lshl_add_u32 v5, v19, 3, v5
	s_waitcnt lgkmcnt(0)
	s_barrier
	s_and_saveexec_b64 s[2:3], s[16:17]
	s_cbranch_execz .LBB98_21
; %bb.20:
	s_movk_i32 s8, 0x420
	v_mad_u32_u24 v6, v13, s8, v20
	ds_read_b64 v[6:7], v6
	s_waitcnt lgkmcnt(0)
	ds_write_b64 v5, v[6:7]
.LBB98_21:
	s_or_b64 exec, exec, s[2:3]
	v_or_b32_e32 v22, 1, v19
	v_cmp_ge_u32_e64 s[8:9], v19, v2
	s_and_saveexec_b64 s[2:3], s[8:9]
	s_cbranch_execz .LBB98_23
; %bb.22:
	s_movk_i32 s10, 0x108
	v_mad_u32_u24 v6, v22, s10, v20
	ds_read_b64 v[6:7], v6
	s_waitcnt lgkmcnt(0)
	ds_write_b64 v5, v[6:7] offset:8
.LBB98_23:
	s_or_b64 exec, exec, s[2:3]
	v_or_b32_e32 v6, 2, v19
	v_cmp_gt_u32_e64 s[10:11], v6, v2
	s_and_saveexec_b64 s[2:3], s[10:11]
	s_cbranch_execz .LBB98_25
; %bb.24:
	s_movk_i32 s12, 0x108
	v_mad_u32_u24 v6, v6, s12, v20
	ds_read_b64 v[6:7], v6
	s_waitcnt lgkmcnt(0)
	ds_write_b64 v5, v[6:7] offset:16
.LBB98_25:
	s_or_b64 exec, exec, s[2:3]
	v_or_b32_e32 v7, 3, v19
	v_cmp_gt_u32_e64 s[12:13], v7, v2
	v_cmp_le_u32_e32 vcc, v7, v2
                                        ; implicit-def: $vgpr6
	s_and_saveexec_b64 s[2:3], vcc
	s_xor_b64 s[2:3], exec, s[2:3]
; %bb.26:
	v_mul_u32_u24_e32 v6, 0x108, v7
                                        ; implicit-def: $vgpr7
                                        ; implicit-def: $vgpr5
; %bb.27:
	s_andn2_saveexec_b64 s[2:3], s[2:3]
	s_cbranch_execz .LBB98_29
; %bb.28:
	s_movk_i32 s14, 0x108
	v_mad_u32_u24 v6, v7, s14, v20
	ds_read_b64 v[8:9], v6
	v_mul_u32_u24_e32 v6, 0x108, v7
	s_waitcnt lgkmcnt(0)
	ds_write_b64 v5, v[8:9] offset:24
.LBB98_29:
	s_or_b64 exec, exec, s[2:3]
	s_movk_i32 s2, 0x420
	v_mad_u32_u24 v5, v13, s2, v20
	s_waitcnt lgkmcnt(0)
	s_barrier
	v_lshlrev_b32_e32 v23, 3, v19
	ds_read_b64 v[11:12], v5
	ds_read_b128 v[7:10], v23 offset:9088
	s_movk_i32 s2, 0x108
	v_mad_u32_u24 v5, v22, s2, v20
	ds_read2_b64 v[25:28], v5 offset1:33
	v_add_u32_e32 v21, v20, v6
	s_waitcnt lgkmcnt(1)
	v_fma_f64 v[7:8], v[11:12], v[7:8], 0
	v_mov_b32_e32 v60, 0
	v_mov_b32_e32 v61, 0
	v_cmp_gt_u32_e64 s[2:3], 32, v24
	ds_read_b64 v[5:6], v21
	s_waitcnt lgkmcnt(1)
	v_fma_f64 v[11:12], v[25:26], v[9:10], v[7:8]
	ds_read_b128 v[7:10], v23 offset:9104
	s_waitcnt lgkmcnt(0)
	s_barrier
	v_fma_f64 v[7:8], v[27:28], v[7:8], v[11:12]
	v_fma_f64 v[5:6], v[5:6], v[9:10], v[7:8]
	v_mul_u32_u24_e32 v7, 33, v2
	v_lshlrev_b32_e32 v25, 3, v7
	v_lshl_add_u32 v26, v13, 3, v25
	ds_write_b64 v26, v[5:6]
	s_waitcnt lgkmcnt(0)
	s_barrier
	s_and_saveexec_b64 s[14:15], s[2:3]
	s_cbranch_execz .LBB98_31
; %bb.30:
	ds_read2_b64 v[5:8], v25 offset1:1
	ds_read2_b64 v[9:12], v25 offset0:2 offset1:3
	s_waitcnt lgkmcnt(1)
	v_add_f64 v[5:6], v[5:6], v[7:8]
	s_waitcnt lgkmcnt(0)
	v_add_f64 v[5:6], v[5:6], v[9:10]
	v_add_f64 v[27:28], v[5:6], v[11:12]
	ds_read2_b64 v[5:8], v25 offset0:4 offset1:5
	ds_read2_b64 v[9:12], v25 offset0:6 offset1:7
	s_waitcnt lgkmcnt(1)
	v_add_f64 v[5:6], v[27:28], v[5:6]
	v_add_f64 v[5:6], v[5:6], v[7:8]
	s_waitcnt lgkmcnt(0)
	v_add_f64 v[5:6], v[5:6], v[9:10]
	v_add_f64 v[60:61], v[5:6], v[11:12]
.LBB98_31:
	s_or_b64 exec, exec, s[14:15]
	s_lshl_b64 s[14:15], s[20:21], 8
	v_mov_b32_e32 v5, s15
	v_add_co_u32_e32 v7, vcc, s14, v3
	v_addc_co_u32_e32 v8, vcc, v4, v5, vcc
	v_add_co_u32_e32 v5, vcc, 0x100, v7
	v_addc_co_u32_e32 v6, vcc, 0, v8, vcc
	s_and_b64 vcc, exec, s[22:23]
	s_barrier
	s_cbranch_vccz .LBB98_41
; %bb.32:
	v_sub_co_u32_e32 v4, vcc, v7, v18
	s_ashr_i32 s25, s24, 31
	v_subbrev_co_u32_e32 v9, vcc, 0, v8, vcc
	s_lshl_b64 s[30:31], s[24:25], 3
	v_mov_b32_e32 v10, s31
	v_add_co_u32_e32 v4, vcc, s30, v4
	v_or_b32_e32 v3, 32, v2
	v_addc_co_u32_e32 v9, vcc, v9, v10, vcc
	v_add_co_u32_e32 v10, vcc, -8, v4
	v_cmp_gt_i32_e64 s[14:15], s24, v3
	v_addc_co_u32_e32 v4, vcc, -1, v9, vcc
	v_cndmask_b32_e64 v3, v10, v5, s[14:15]
	s_sub_i32 s25, s24, 32
	v_mov_b32_e32 v9, 0
	v_mov_b32_e32 v11, 0
	v_cndmask_b32_e64 v4, v4, v6, s[14:15]
	v_mov_b32_e32 v10, 0
	v_mov_b32_e32 v12, 0
	v_cmp_gt_i32_e32 vcc, s25, v13
	s_and_saveexec_b64 s[34:35], vcc
	s_cbranch_execz .LBB98_34
; %bb.33:
	global_load_dwordx2 v[11:12], v[3:4], off
.LBB98_34:
	s_or_b64 exec, exec, s[34:35]
	s_movk_i32 s34, 0x108
	v_mad_u32_u24 v28, v13, s34, v20
	s_waitcnt vmcnt(0)
	ds_write_b64 v28, v[11:12]
	v_add_u32_e32 v11, 8, v13
	v_mul_u32_u24_e32 v27, 0x108, v13
	v_cmp_gt_i32_e32 vcc, s25, v11
	s_and_saveexec_b64 s[34:35], vcc
	s_cbranch_execz .LBB98_36
; %bb.35:
	s_lshl_b64 s[40:41], s[20:21], 6
	v_mov_b32_e32 v10, s41
	v_add_co_u32_e32 v9, vcc, s40, v3
	v_addc_co_u32_e32 v10, vcc, v4, v10, vcc
	global_load_dwordx2 v[9:10], v[9:10], off
.LBB98_36:
	s_or_b64 exec, exec, s[34:35]
	v_add_u32_e32 v27, v27, v20
	s_waitcnt vmcnt(0)
	ds_write_b64 v27, v[9:10] offset:2112
	v_add_u32_e32 v28, 16, v13
	v_mov_b32_e32 v9, 0
	v_mov_b32_e32 v11, 0
	;; [unrolled: 1-line block ×4, first 2 shown]
	v_cmp_gt_i32_e32 vcc, s25, v28
	s_and_saveexec_b64 s[34:35], vcc
	s_cbranch_execz .LBB98_38
; %bb.37:
	s_lshl_b64 s[40:41], s[20:21], 7
	v_mov_b32_e32 v12, s41
	v_add_co_u32_e32 v11, vcc, s40, v3
	v_addc_co_u32_e32 v12, vcc, v4, v12, vcc
	global_load_dwordx2 v[11:12], v[11:12], off
.LBB98_38:
	s_or_b64 exec, exec, s[34:35]
	s_waitcnt vmcnt(0)
	ds_write_b64 v27, v[11:12] offset:4224
	v_add_u32_e32 v11, 24, v13
	v_cmp_gt_i32_e32 vcc, s25, v11
	s_and_saveexec_b64 s[34:35], vcc
	s_cbranch_execz .LBB98_40
; %bb.39:
	v_mov_b32_e32 v9, 0xc0
	v_mad_u64_u32 v[9:10], s[40:41], s20, v9, v[3:4]
	s_mul_i32 s25, s21, 0xc0
	v_add_u32_e32 v10, s25, v10
	global_load_dwordx2 v[9:10], v[9:10], off
.LBB98_40:
	s_or_b64 exec, exec, s[34:35]
	v_add_co_u32_e32 v3, vcc, v3, v18
	v_addc_co_u32_e32 v4, vcc, 0, v4, vcc
	s_waitcnt vmcnt(0)
	ds_write_b64 v27, v[9:10] offset:6336
	v_mov_b32_e32 v9, s31
	v_subrev_co_u32_e32 v3, vcc, s30, v3
	v_subb_co_u32_e32 v4, vcc, v4, v9, vcc
	v_add_co_u32_e32 v3, vcc, 0x108, v3
	v_addc_co_u32_e32 v4, vcc, 0, v4, vcc
	v_cndmask_b32_e64 v4, v4, v6, s[14:15]
	v_cndmask_b32_e64 v3, v3, v5, s[14:15]
	v_mul_u32_u24_e32 v9, 0x420, v13
	s_branch .LBB98_43
.LBB98_41:
                                        ; implicit-def: $vgpr3_vgpr4
	v_mul_u32_u24_e32 v9, 0x420, v13
	s_cbranch_execz .LBB98_43
; %bb.42:
	s_lshl_b64 s[14:15], s[20:21], 6
	v_mov_b32_e32 v12, s15
	v_add_co_u32_e32 v3, vcc, s14, v7
	v_addc_co_u32_e32 v4, vcc, v8, v12, vcc
	v_add_co_u32_e32 v10, vcc, s14, v3
	v_addc_co_u32_e32 v11, vcc, v4, v12, vcc
	;; [unrolled: 2-line block ×3, first 2 shown]
	global_load_dwordx2 v[29:30], v[7:8], off offset:256
	global_load_dwordx2 v[31:32], v[3:4], off offset:256
	;; [unrolled: 1-line block ×4, first 2 shown]
	s_movk_i32 s14, 0x108
	v_mad_u32_u24 v3, v13, s14, v20
	s_waitcnt vmcnt(3)
	ds_write_b64 v3, v[29:30]
	s_waitcnt vmcnt(2)
	ds_write_b64 v3, v[31:32] offset:2112
	s_waitcnt vmcnt(1)
	ds_write_b64 v3, v[33:34] offset:4224
	;; [unrolled: 2-line block ×3, first 2 shown]
	v_mov_b32_e32 v3, v5
	v_mov_b32_e32 v4, v6
.LBB98_43:
	v_mul_u32_u24_e32 v6, 0x108, v22
	v_add_u32_e32 v22, v20, v9
	v_lshl_add_u32 v5, v19, 3, v25
	s_waitcnt lgkmcnt(0)
	s_barrier
	s_and_saveexec_b64 s[14:15], s[16:17]
	s_cbranch_execnz .LBB98_60
; %bb.44:
	s_or_b64 exec, exec, s[14:15]
	v_add_u32_e32 v27, v20, v6
	s_and_saveexec_b64 s[14:15], s[8:9]
	s_cbranch_execnz .LBB98_61
.LBB98_45:
	s_or_b64 exec, exec, s[14:15]
	s_and_saveexec_b64 s[8:9], s[10:11]
	s_cbranch_execnz .LBB98_62
.LBB98_46:
	s_or_b64 exec, exec, s[8:9]
	v_add_u32_e32 v28, 0x2380, v23
	s_and_saveexec_b64 s[8:9], s[12:13]
	s_cbranch_execz .LBB98_48
.LBB98_47:
	ds_read_b64 v[6:7], v21
	s_waitcnt lgkmcnt(0)
	ds_write_b64 v5, v[6:7] offset:24
.LBB98_48:
	s_or_b64 exec, exec, s[8:9]
	s_waitcnt lgkmcnt(0)
	s_barrier
	ds_read_b64 v[29:30], v22
	ds_read_b128 v[5:8], v28 offset:256
	ds_read_b128 v[9:12], v28 offset:272
	ds_read_b64 v[33:34], v21
	v_cmp_eq_u32_e64 s[8:9], 1, v13
	s_waitcnt lgkmcnt(2)
	v_fma_f64 v[5:6], v[29:30], v[5:6], 0
	ds_read2_b64 v[29:32], v27 offset1:33
	s_waitcnt lgkmcnt(0)
	s_barrier
	v_fma_f64 v[5:6], v[29:30], v[7:8], v[5:6]
	v_fma_f64 v[5:6], v[31:32], v[9:10], v[5:6]
	v_fma_f64 v[5:6], v[33:34], v[11:12], v[5:6]
	ds_write_b64 v26, v[5:6]
	s_waitcnt lgkmcnt(0)
	s_barrier
	s_and_saveexec_b64 s[10:11], s[8:9]
	s_cbranch_execz .LBB98_50
; %bb.49:
	ds_read2_b64 v[5:8], v25 offset1:1
	ds_read2_b64 v[9:12], v25 offset0:2 offset1:3
	s_waitcnt lgkmcnt(1)
	v_add_f64 v[5:6], v[5:6], v[7:8]
	s_waitcnt lgkmcnt(0)
	v_add_f64 v[5:6], v[5:6], v[9:10]
	v_add_f64 v[29:30], v[5:6], v[11:12]
	ds_read2_b64 v[5:8], v25 offset0:4 offset1:5
	ds_read2_b64 v[9:12], v25 offset0:6 offset1:7
	s_waitcnt lgkmcnt(1)
	v_add_f64 v[5:6], v[29:30], v[5:6]
	v_add_f64 v[5:6], v[5:6], v[7:8]
	s_waitcnt lgkmcnt(0)
	v_add_f64 v[5:6], v[5:6], v[9:10]
	v_add_f64 v[60:61], v[5:6], v[11:12]
.LBB98_50:
	s_or_b64 exec, exec, s[10:11]
	v_add_co_u32_e32 v5, vcc, 0xffffff00, v3
	v_addc_co_u32_e32 v6, vcc, -1, v4, vcc
	s_and_b64 vcc, exec, s[22:23]
	s_barrier
	s_cbranch_vccz .LBB98_63
; %bb.51:
	v_sub_co_u32_e32 v7, vcc, v3, v18
	s_ashr_i32 s25, s24, 31
	v_subbrev_co_u32_e32 v8, vcc, 0, v4, vcc
	s_lshl_b64 s[12:13], s[24:25], 3
	v_mov_b32_e32 v9, s13
	v_add_co_u32_e32 v7, vcc, s12, v7
	v_addc_co_u32_e32 v8, vcc, v8, v9, vcc
	v_add_co_u32_e32 v7, vcc, 0xfffffef8, v7
	v_addc_co_u32_e32 v8, vcc, -1, v8, vcc
	v_cmp_gt_i32_e32 vcc, s24, v2
	s_sub_i32 s16, s24, 32
	v_mov_b32_e32 v9, 0
	v_mov_b32_e32 v11, 0
	v_cndmask_b32_e32 v8, v8, v6, vcc
	v_cndmask_b32_e32 v7, v7, v5, vcc
	v_mov_b32_e32 v10, 0
	v_mov_b32_e32 v12, 0
	v_cmp_gt_i32_e64 s[10:11], s16, v13
	s_and_saveexec_b64 s[14:15], s[10:11]
	s_cbranch_execz .LBB98_53
; %bb.52:
	global_load_dwordx2 v[11:12], v[7:8], off
.LBB98_53:
	s_or_b64 exec, exec, s[14:15]
	s_movk_i32 s10, 0x108
	v_mad_u32_u24 v2, v13, s10, v20
	s_waitcnt vmcnt(0)
	ds_write_b64 v2, v[11:12]
	v_add_u32_e32 v2, 8, v13
	v_mul_u32_u24_e32 v19, 0x108, v13
	v_cmp_gt_i32_e64 s[10:11], s16, v2
	s_and_saveexec_b64 s[14:15], s[10:11]
	s_cbranch_execz .LBB98_55
; %bb.54:
	s_lshl_b64 s[10:11], s[20:21], 6
	v_mov_b32_e32 v10, s11
	v_add_co_u32_e64 v9, s[10:11], s10, v7
	v_addc_co_u32_e64 v10, s[10:11], v8, v10, s[10:11]
	global_load_dwordx2 v[9:10], v[9:10], off
.LBB98_55:
	s_or_b64 exec, exec, s[14:15]
	v_add_u32_e32 v19, v19, v20
	s_waitcnt vmcnt(0)
	ds_write_b64 v19, v[9:10] offset:2112
	v_add_u32_e32 v23, 16, v13
	v_mov_b32_e32 v9, 0
	v_mov_b32_e32 v11, 0
	;; [unrolled: 1-line block ×4, first 2 shown]
	v_cmp_gt_i32_e64 s[10:11], s16, v23
	s_and_saveexec_b64 s[14:15], s[10:11]
	s_cbranch_execz .LBB98_57
; %bb.56:
	s_lshl_b64 s[10:11], s[20:21], 7
	v_mov_b32_e32 v12, s11
	v_add_co_u32_e64 v11, s[10:11], s10, v7
	v_addc_co_u32_e64 v12, s[10:11], v8, v12, s[10:11]
	global_load_dwordx2 v[11:12], v[11:12], off
.LBB98_57:
	s_or_b64 exec, exec, s[14:15]
	s_waitcnt vmcnt(0)
	ds_write_b64 v19, v[11:12] offset:4224
	v_add_u32_e32 v11, 24, v13
	v_cmp_gt_i32_e64 s[10:11], s16, v11
	s_and_saveexec_b64 s[14:15], s[10:11]
	s_cbranch_execz .LBB98_59
; %bb.58:
	v_mov_b32_e32 v9, 0xc0
	v_mad_u64_u32 v[9:10], s[10:11], s20, v9, v[7:8]
	s_mul_i32 s10, s21, 0xc0
	v_add_u32_e32 v10, s10, v10
	global_load_dwordx2 v[9:10], v[9:10], off
.LBB98_59:
	s_or_b64 exec, exec, s[14:15]
	v_add_co_u32_e64 v7, s[10:11], v7, v18
	v_addc_co_u32_e64 v8, s[10:11], 0, v8, s[10:11]
	s_waitcnt vmcnt(0)
	ds_write_b64 v19, v[9:10] offset:6336
	v_mov_b32_e32 v9, s13
	v_subrev_co_u32_e64 v7, s[10:11], s12, v7
	v_subb_co_u32_e64 v8, s[10:11], v8, v9, s[10:11]
	v_add_co_u32_e64 v7, s[10:11], 8, v7
	v_addc_co_u32_e64 v8, s[10:11], 0, v8, s[10:11]
	v_cndmask_b32_e32 v19, v8, v6, vcc
	v_cndmask_b32_e32 v18, v7, v5, vcc
	s_branch .LBB98_65
.LBB98_60:
	ds_read_b64 v[7:8], v22
	s_waitcnt lgkmcnt(0)
	ds_write_b64 v5, v[7:8]
	s_or_b64 exec, exec, s[14:15]
	v_add_u32_e32 v27, v20, v6
	s_and_saveexec_b64 s[14:15], s[8:9]
	s_cbranch_execz .LBB98_45
.LBB98_61:
	ds_read_b64 v[6:7], v27
	s_waitcnt lgkmcnt(0)
	ds_write_b64 v5, v[6:7] offset:8
	s_or_b64 exec, exec, s[14:15]
	s_and_saveexec_b64 s[8:9], s[10:11]
	s_cbranch_execz .LBB98_46
.LBB98_62:
	ds_read_b64 v[6:7], v27 offset:264
	s_waitcnt lgkmcnt(0)
	ds_write_b64 v5, v[6:7] offset:16
	s_or_b64 exec, exec, s[8:9]
	v_add_u32_e32 v28, 0x2380, v23
	s_and_saveexec_b64 s[8:9], s[12:13]
	s_cbranch_execnz .LBB98_47
	s_branch .LBB98_48
.LBB98_63:
                                        ; implicit-def: $vgpr18_vgpr19
                                        ; implicit-def: $vgpr2
                                        ; implicit-def: $vgpr23
                                        ; implicit-def: $vgpr11
	s_cbranch_execz .LBB98_65
; %bb.64:
	s_lshl_b64 s[10:11], s[20:21], 6
	v_mov_b32_e32 v2, s11
	v_add_co_u32_e32 v7, vcc, s10, v3
	v_addc_co_u32_e32 v8, vcc, v4, v2, vcc
	v_add_co_u32_e32 v9, vcc, s10, v7
	v_addc_co_u32_e32 v10, vcc, v8, v2, vcc
	;; [unrolled: 2-line block ×3, first 2 shown]
	global_load_dwordx2 v[18:19], v[3:4], off offset:-256
	global_load_dwordx2 v[29:30], v[7:8], off offset:-256
	;; [unrolled: 1-line block ×4, first 2 shown]
	s_movk_i32 s10, 0x108
	v_mad_u32_u24 v3, v13, s10, v20
	v_add_u32_e32 v2, 8, v13
	v_add_u32_e32 v23, 16, v13
	;; [unrolled: 1-line block ×3, first 2 shown]
	s_waitcnt vmcnt(3)
	ds_write_b64 v3, v[18:19]
	s_waitcnt vmcnt(2)
	ds_write_b64 v3, v[29:30] offset:2112
	s_waitcnt vmcnt(1)
	ds_write_b64 v3, v[31:32] offset:4224
	;; [unrolled: 2-line block ×3, first 2 shown]
	v_mov_b32_e32 v19, v6
	v_mov_b32_e32 v18, v5
.LBB98_65:
	v_lshlrev_b32_e32 v6, 3, v13
	v_add_u32_e32 v3, v25, v6
	s_waitcnt lgkmcnt(0)
	s_barrier
	v_lshlrev_b32_e32 v8, 3, v2
	ds_read_b64 v[2:3], v3
	ds_read_b64 v[4:5], v8 offset:9088
	ds_read_b64 v[6:7], v6 offset:9088
	ds_read_b64 v[20:21], v21
	v_lshlrev_b32_e32 v12, 3, v23
	v_lshlrev_b32_e32 v13, 3, v11
	s_waitcnt lgkmcnt(1)
	v_fma_f64 v[2:3], v[2:3], v[6:7], 0
	v_add_u32_e32 v6, v25, v8
	ds_read_b64 v[6:7], v6
	ds_read_b64 v[8:9], v13 offset:9088
	ds_read_b64 v[10:11], v12 offset:9088
	s_waitcnt lgkmcnt(2)
	v_fma_f64 v[2:3], v[6:7], v[4:5], v[2:3]
	v_add_u32_e32 v4, v25, v12
	ds_read_b64 v[4:5], v4
	s_waitcnt lgkmcnt(0)
	v_fma_f64 v[2:3], v[4:5], v[10:11], v[2:3]
	v_add_u32_e32 v4, v25, v13
	ds_read_b64 v[4:5], v4
	ds_read_b64 v[22:23], v22
	s_waitcnt lgkmcnt(1)
	v_fma_f64 v[29:30], v[4:5], v[8:9], v[2:3]
	ds_read_b128 v[10:13], v28 offset:256
	ds_read_b128 v[2:5], v28 offset:272
	ds_read2_b64 v[6:9], v27 offset1:33
	s_waitcnt lgkmcnt(0)
	s_barrier
	ds_write_b64 v26, v[29:30]
	s_waitcnt lgkmcnt(0)
	s_barrier
	s_and_saveexec_b64 s[10:11], s[8:9]
	s_cbranch_execz .LBB98_67
; %bb.66:
	ds_read2_b64 v[27:30], v25 offset1:1
	ds_read2_b64 v[31:34], v25 offset0:2 offset1:3
	s_waitcnt lgkmcnt(1)
	v_add_f64 v[27:28], v[60:61], v[27:28]
	v_add_f64 v[27:28], v[27:28], v[29:30]
	s_waitcnt lgkmcnt(0)
	v_add_f64 v[27:28], v[27:28], v[31:32]
	v_add_f64 v[35:36], v[27:28], v[33:34]
	ds_read2_b64 v[27:30], v25 offset0:4 offset1:5
	ds_read2_b64 v[31:34], v25 offset0:6 offset1:7
	s_waitcnt lgkmcnt(1)
	v_add_f64 v[27:28], v[35:36], v[27:28]
	v_add_f64 v[27:28], v[27:28], v[29:30]
	s_waitcnt lgkmcnt(0)
	v_add_f64 v[27:28], v[27:28], v[31:32]
	v_add_f64 v[60:61], v[27:28], v[33:34]
.LBB98_67:
	s_or_b64 exec, exec, s[10:11]
	v_fma_f64 v[10:11], v[22:23], v[10:11], 0
	s_barrier
	v_fma_f64 v[6:7], v[6:7], v[12:13], v[10:11]
	v_fma_f64 v[2:3], v[8:9], v[2:3], v[6:7]
	;; [unrolled: 1-line block ×3, first 2 shown]
	ds_write_b64 v26, v[2:3]
	s_waitcnt lgkmcnt(0)
	s_barrier
	s_and_saveexec_b64 s[8:9], s[2:3]
	s_cbranch_execz .LBB98_69
; %bb.68:
	ds_read2_b64 v[2:5], v25 offset1:1
	ds_read2_b64 v[6:9], v25 offset0:2 offset1:3
	s_waitcnt lgkmcnt(1)
	v_add_f64 v[2:3], v[60:61], v[2:3]
	v_add_f64 v[2:3], v[2:3], v[4:5]
	s_waitcnt lgkmcnt(0)
	v_add_f64 v[2:3], v[2:3], v[6:7]
	v_add_f64 v[10:11], v[2:3], v[8:9]
	ds_read2_b64 v[2:5], v25 offset0:4 offset1:5
	ds_read2_b64 v[6:9], v25 offset0:6 offset1:7
	s_waitcnt lgkmcnt(1)
	v_add_f64 v[2:3], v[10:11], v[2:3]
	v_add_f64 v[2:3], v[2:3], v[4:5]
	s_waitcnt lgkmcnt(0)
	v_add_f64 v[2:3], v[2:3], v[6:7]
	v_add_f64 v[60:61], v[2:3], v[8:9]
.LBB98_69:
	s_or_b64 exec, exec, s[8:9]
	s_load_dwordx2 s[2:3], s[4:5], 0x68
	s_mul_hi_u32 s4, s37, s7
	s_mul_i32 s38, s38, s7
	s_add_i32 s4, s4, s38
	s_mul_i32 s7, s37, s7
	s_mul_i32 s4, s4, s33
	s_mul_hi_u32 s5, s7, s33
	s_add_i32 s5, s5, s4
	s_mul_i32 s4, s7, s33
	s_lshl_b64 s[4:5], s[4:5], 3
	s_waitcnt lgkmcnt(0)
	s_add_u32 s4, s2, s4
	s_addc_u32 s5, s3, s5
	s_mul_hi_i32 s3, s37, s6
	s_mul_i32 s2, s37, s6
	s_lshl_b64 s[2:3], s[2:3], 3
	s_add_u32 s7, s4, s2
	s_addc_u32 s14, s5, s3
	s_add_i32 s2, s6, 1
	s_cmp_ge_u32 s2, s33
	v_lshlrev_b32_e32 v94, 3, v0
	s_barrier
	s_cbranch_scc1 .LBB98_126
; %bb.70:
	v_lshlrev_b32_e32 v7, 5, v1
	v_add_u32_e32 v4, 0x100, v7
	v_mad_u64_u32 v[2:3], s[2:3], s20, v4, 0
	v_add_u32_e32 v6, 0x110, v7
	v_add_u32_e32 v20, 0x180, v7
	v_mad_u64_u32 v[3:4], s[2:3], s21, v4, v[3:4]
	v_mad_u64_u32 v[4:5], s[2:3], s20, v6, 0
	v_sub_co_u32_e32 v8, vcc, v2, v16
	v_mov_b32_e32 v2, v5
	v_subb_co_u32_e32 v9, vcc, v3, v17, vcc
	v_mad_u64_u32 v[2:3], s[2:3], s21, v6, v[2:3]
	v_add_u32_e32 v3, 0x118, v7
	v_mad_u64_u32 v[5:6], s[2:3], s20, v3, 0
	v_sub_co_u32_e32 v10, vcc, v4, v16
	v_subb_co_u32_e32 v11, vcc, v2, v17, vcc
	v_mov_b32_e32 v2, v6
	v_mad_u64_u32 v[2:3], s[2:3], s21, v3, v[2:3]
	v_add_u32_e32 v6, 0x108, v7
	v_mad_u64_u32 v[3:4], s[2:3], s20, v6, 0
	v_sub_co_u32_e32 v12, vcc, v5, v16
	v_subb_co_u32_e32 v13, vcc, v2, v17, vcc
	v_mov_b32_e32 v2, v4
	v_mad_u64_u32 v[4:5], s[2:3], s21, v6, v[2:3]
	v_mad_u64_u32 v[5:6], s[2:3], s20, v20, 0
	v_sub_co_u32_e32 v21, vcc, v3, v16
	v_mov_b32_e32 v2, v6
	v_mad_u64_u32 v[2:3], s[2:3], s21, v20, v[2:3]
	v_add_u32_e32 v6, 0x188, v7
	v_subb_co_u32_e32 v22, vcc, v4, v17, vcc
	v_mad_u64_u32 v[3:4], s[2:3], s20, v6, 0
	v_sub_co_u32_e32 v20, vcc, v5, v16
	v_subb_co_u32_e32 v23, vcc, v2, v17, vcc
	v_mov_b32_e32 v2, v4
	v_mad_u64_u32 v[4:5], s[2:3], s21, v6, v[2:3]
	v_add_u32_e32 v25, 0x190, v7
	v_mad_u64_u32 v[5:6], s[2:3], s20, v25, 0
	v_sub_co_u32_e32 v26, vcc, v3, v16
	v_mov_b32_e32 v2, v6
	v_mad_u64_u32 v[2:3], s[2:3], s21, v25, v[2:3]
	v_add_u32_e32 v6, 0x198, v7
	v_subb_co_u32_e32 v27, vcc, v4, v17, vcc
	v_mad_u64_u32 v[3:4], s[2:3], s20, v6, 0
	v_sub_co_u32_e32 v25, vcc, v5, v16
	v_subb_co_u32_e32 v28, vcc, v2, v17, vcc
	v_mov_b32_e32 v2, v4
	v_mad_u64_u32 v[4:5], s[2:3], s21, v6, v[2:3]
	v_add_u32_e32 v29, 0x200, v7
	;; [unrolled: 12-line block ×5, first 2 shown]
	v_mad_u64_u32 v[5:6], s[2:3], s20, v41, 0
	v_sub_co_u32_e32 v42, vcc, v3, v16
	v_mov_b32_e32 v2, v6
	v_mad_u64_u32 v[2:3], s[2:3], s21, v41, v[2:3]
	v_add_u32_e32 v6, 0x298, v7
	v_subb_co_u32_e32 v43, vcc, v4, v17, vcc
	v_mad_u64_u32 v[3:4], s[2:3], s20, v6, 0
	v_sub_co_u32_e32 v41, vcc, v5, v16
	v_subb_co_u32_e32 v44, vcc, v2, v17, vcc
	v_mov_b32_e32 v2, v4
	v_mad_u64_u32 v[4:5], s[2:3], s21, v6, v[2:3]
	s_mul_i32 s2, s28, s27
	s_mul_hi_u32 s3, s28, s26
	s_add_i32 s2, s3, s2
	s_mul_i32 s3, s29, s26
	v_sub_co_u32_e32 v2, vcc, v3, v16
	s_add_i32 s3, s2, s3
	s_mul_i32 s2, s28, s26
	v_subb_co_u32_e32 v3, vcc, v4, v17, vcc
	s_lshl_b64 s[2:3], s[2:3], 3
	v_mov_b32_e32 v4, s3
	v_subrev_co_u32_e32 v96, vcc, s2, v14
	v_subb_co_u32_e32 v97, vcc, v15, v4, vcc
	v_add_co_u32_e32 v99, vcc, v18, v8
	v_addc_co_u32_e32 v100, vcc, v19, v9, vcc
	v_add_co_u32_e32 v101, vcc, v18, v10
	v_addc_co_u32_e32 v102, vcc, v19, v11, vcc
	;; [unrolled: 2-line block ×15, first 2 shown]
	v_add_co_u32_e32 v129, vcc, v18, v2
	v_and_b32_e32 v2, 48, v0
	v_lshrrev_b32_e32 v4, 4, v24
	v_and_b32_e32 v5, 15, v0
	s_movk_i32 s4, 0x218
	v_lshlrev_b32_e32 v2, 3, v2
	v_lshlrev_b32_e32 v6, 5, v4
	v_mad_u32_u24 v131, v5, s4, v2
	v_or_b32_e32 v2, 0x78, v94
	v_lshlrev_b32_e32 v95, 2, v1
	v_mad_u32_u24 v98, v5, s4, v6
	v_mad_u32_u24 v132, v5, s4, v2
	s_movk_i32 s4, 0x860
	v_mul_i32_i24_e32 v2, 0xffffffe8, v4
	s_add_i32 s15, s33, -2
	v_cmp_gt_u32_e64 s[2:3], 64, v24
	v_addc_co_u32_e32 v130, vcc, v19, v3, vcc
	v_add_u32_e32 v133, 0x2180, v94
	v_add_u32_e32 v134, 0x2180, v7
	s_add_i32 s16, s26, 64
	s_lshl_b64 s[8:9], s[20:21], 9
	v_add_u32_e32 v135, v98, v2
	v_add_u32_e32 v136, 0x2380, v94
	v_mad_u32_u24 v137, v1, s4, v94
	v_or_b32_e32 v138, 1, v95
	v_or_b32_e32 v139, 2, v95
	;; [unrolled: 1-line block ×3, first 2 shown]
	v_add_u32_e32 v141, 16, v95
	v_add_u32_e32 v142, 17, v95
	;; [unrolled: 1-line block ×12, first 2 shown]
	s_cmp_eq_u32 s15, s6
	s_cselect_b32 s17, s36, 0
	s_and_saveexec_b64 s[4:5], s[0:1]
	s_cbranch_execz .LBB98_74
.LBB98_71:
	s_cmp_eq_u32 s17, 0
	s_cselect_b64 s[10:11], -1, 0
	v_cmp_gt_i32_e32 vcc, s17, v0
	v_mov_b32_e32 v2, 0
	v_mov_b32_e32 v3, 0
	s_or_b64 s[12:13], s[10:11], vcc
	s_and_saveexec_b64 s[10:11], s[12:13]
	s_cbranch_execz .LBB98_73
; %bb.72:
	s_ashr_i32 s12, s16, 31
	s_mul_hi_u32 s13, s28, s16
	s_mul_i32 s12, s28, s12
	s_add_i32 s12, s13, s12
	s_mul_i32 s13, s29, s16
	s_add_i32 s13, s12, s13
	s_mul_i32 s12, s28, s16
	s_lshl_b64 s[12:13], s[12:13], 3
	v_mov_b32_e32 v3, s13
	v_add_co_u32_e32 v2, vcc, s12, v96
	v_addc_co_u32_e32 v3, vcc, v97, v3, vcc
	global_load_dwordx2 v[2:3], v[2:3], off
.LBB98_73:
	s_or_b64 exec, exec, s[10:11]
	s_waitcnt vmcnt(0)
	ds_write_b64 v133, v[2:3]
.LBB98_74:                              ; =>This Inner Loop Header: Depth=1
	s_or_b64 exec, exec, s[4:5]
	s_cmp_eq_u32 s17, 0
	v_add_co_u32_e32 v2, vcc, v99, v94
	s_cselect_b64 s[10:11], -1, 0
	s_cmp_lg_u32 s17, 0
	v_addc_co_u32_e32 v3, vcc, 0, v100, vcc
	s_cselect_b64 s[12:13], -1, 0
	s_mov_b64 s[4:5], -1
	s_and_b64 vcc, exec, s[12:13]
	s_waitcnt lgkmcnt(0)
	s_barrier
                                        ; implicit-def: $vgpr68_vgpr69
                                        ; implicit-def: $vgpr66_vgpr67
                                        ; implicit-def: $vgpr64_vgpr65
                                        ; implicit-def: $vgpr62_vgpr63
	s_cbranch_vccz .LBB98_84
; %bb.75:                               ;   in Loop: Header=BB98_74 Depth=1
	v_mov_b32_e32 v64, 0
	v_mov_b32_e32 v62, 0
	v_mov_b32_e32 v65, 0
	v_mov_b32_e32 v63, 0
	v_cmp_gt_i32_e32 vcc, s17, v95
	s_and_saveexec_b64 s[4:5], vcc
	s_cbranch_execz .LBB98_77
; %bb.76:                               ;   in Loop: Header=BB98_74 Depth=1
	global_load_dwordx2 v[62:63], v[2:3], off
.LBB98_77:                              ;   in Loop: Header=BB98_74 Depth=1
	s_or_b64 exec, exec, s[4:5]
	v_cmp_gt_i32_e32 vcc, s17, v138
	s_and_saveexec_b64 s[4:5], vcc
	s_cbranch_execz .LBB98_79
; %bb.78:                               ;   in Loop: Header=BB98_74 Depth=1
	v_add_co_u32_e32 v4, vcc, v105, v94
	v_addc_co_u32_e32 v5, vcc, 0, v106, vcc
	global_load_dwordx2 v[64:65], v[4:5], off
.LBB98_79:                              ;   in Loop: Header=BB98_74 Depth=1
	s_or_b64 exec, exec, s[4:5]
	v_mov_b32_e32 v68, 0
	v_mov_b32_e32 v66, 0
	;; [unrolled: 1-line block ×4, first 2 shown]
	v_cmp_gt_i32_e32 vcc, s17, v139
	s_and_saveexec_b64 s[4:5], vcc
	s_cbranch_execz .LBB98_81
; %bb.80:                               ;   in Loop: Header=BB98_74 Depth=1
	v_add_co_u32_e32 v4, vcc, v101, v94
	v_addc_co_u32_e32 v5, vcc, 0, v102, vcc
	global_load_dwordx2 v[66:67], v[4:5], off
.LBB98_81:                              ;   in Loop: Header=BB98_74 Depth=1
	s_or_b64 exec, exec, s[4:5]
	v_cmp_gt_i32_e32 vcc, s17, v140
	s_and_saveexec_b64 s[4:5], vcc
	s_cbranch_execz .LBB98_83
; %bb.82:                               ;   in Loop: Header=BB98_74 Depth=1
	v_add_co_u32_e32 v4, vcc, v103, v94
	v_addc_co_u32_e32 v5, vcc, 0, v104, vcc
	global_load_dwordx2 v[68:69], v[4:5], off
.LBB98_83:                              ;   in Loop: Header=BB98_74 Depth=1
	s_or_b64 exec, exec, s[4:5]
	s_mov_b64 s[4:5], 0
.LBB98_84:                              ;   in Loop: Header=BB98_74 Depth=1
	s_and_b64 vcc, exec, s[4:5]
	s_cbranch_vccz .LBB98_86
; %bb.85:                               ;   in Loop: Header=BB98_74 Depth=1
	global_load_dwordx2 v[62:63], v[2:3], off
	v_add_co_u32_e32 v2, vcc, v105, v94
	v_addc_co_u32_e32 v3, vcc, 0, v106, vcc
	global_load_dwordx2 v[64:65], v[2:3], off
	v_add_co_u32_e32 v2, vcc, v101, v94
	v_addc_co_u32_e32 v3, vcc, 0, v102, vcc
	;; [unrolled: 3-line block ×3, first 2 shown]
	global_load_dwordx2 v[68:69], v[2:3], off
.LBB98_86:                              ;   in Loop: Header=BB98_74 Depth=1
	ds_read_b64 v[2:3], v136
	v_add_co_u32_e32 v18, vcc, v107, v94
	v_addc_co_u32_e32 v19, vcc, 0, v108, vcc
	s_waitcnt vmcnt(0) lgkmcnt(0)
	v_mul_f64 v[10:11], v[62:63], v[2:3]
	v_mul_f64 v[12:13], v[64:65], v[2:3]
	;; [unrolled: 1-line block ×4, first 2 shown]
	ds_read_b128 v[6:9], v134
	ds_read_b128 v[2:5], v134 offset:16
	v_cndmask_b32_e64 v20, 0, 1, s[12:13]
	v_cmp_ne_u32_e64 s[4:5], 1, v20
	s_andn2_b64 vcc, exec, s[12:13]
	ds_write2_b64 v137, v[10:11], v[12:13] offset1:67
	ds_write2_b64 v137, v[14:15], v[16:17] offset0:134 offset1:201
	s_waitcnt lgkmcnt(0)
	s_barrier
	ds_read2_b64 v[14:17], v98 offset1:1
	ds_read2_b64 v[10:13], v98 offset0:2 offset1:3
	s_mov_b64 s[12:13], -1
	s_waitcnt lgkmcnt(0)
	s_barrier
                                        ; implicit-def: $vgpr76_vgpr77
                                        ; implicit-def: $vgpr74_vgpr75
                                        ; implicit-def: $vgpr72_vgpr73
                                        ; implicit-def: $vgpr70_vgpr71
	s_cbranch_vccnz .LBB98_96
; %bb.87:                               ;   in Loop: Header=BB98_74 Depth=1
	v_mov_b32_e32 v72, 0
	v_mov_b32_e32 v70, 0
	;; [unrolled: 1-line block ×4, first 2 shown]
	v_cmp_gt_i32_e32 vcc, s17, v141
	s_and_saveexec_b64 s[12:13], vcc
	s_cbranch_execz .LBB98_89
; %bb.88:                               ;   in Loop: Header=BB98_74 Depth=1
	global_load_dwordx2 v[70:71], v[18:19], off
.LBB98_89:                              ;   in Loop: Header=BB98_74 Depth=1
	s_or_b64 exec, exec, s[12:13]
	v_cmp_gt_i32_e32 vcc, s17, v142
	s_and_saveexec_b64 s[12:13], vcc
	s_cbranch_execz .LBB98_91
; %bb.90:                               ;   in Loop: Header=BB98_74 Depth=1
	v_add_co_u32_e32 v20, vcc, v109, v94
	v_addc_co_u32_e32 v21, vcc, 0, v110, vcc
	global_load_dwordx2 v[72:73], v[20:21], off
.LBB98_91:                              ;   in Loop: Header=BB98_74 Depth=1
	s_or_b64 exec, exec, s[12:13]
	v_mov_b32_e32 v76, 0
	v_mov_b32_e32 v74, 0
	;; [unrolled: 1-line block ×4, first 2 shown]
	v_cmp_gt_i32_e32 vcc, s17, v143
	s_and_saveexec_b64 s[12:13], vcc
	s_cbranch_execz .LBB98_93
; %bb.92:                               ;   in Loop: Header=BB98_74 Depth=1
	v_add_co_u32_e32 v20, vcc, v111, v94
	v_addc_co_u32_e32 v21, vcc, 0, v112, vcc
	global_load_dwordx2 v[74:75], v[20:21], off
.LBB98_93:                              ;   in Loop: Header=BB98_74 Depth=1
	s_or_b64 exec, exec, s[12:13]
	v_cmp_gt_i32_e32 vcc, s17, v144
	s_and_saveexec_b64 s[12:13], vcc
	s_cbranch_execz .LBB98_95
; %bb.94:                               ;   in Loop: Header=BB98_74 Depth=1
	v_add_co_u32_e32 v20, vcc, v113, v94
	v_addc_co_u32_e32 v21, vcc, 0, v114, vcc
	global_load_dwordx2 v[76:77], v[20:21], off
.LBB98_95:                              ;   in Loop: Header=BB98_74 Depth=1
	s_or_b64 exec, exec, s[12:13]
	s_mov_b64 s[12:13], 0
.LBB98_96:                              ;   in Loop: Header=BB98_74 Depth=1
	s_and_b64 vcc, exec, s[12:13]
	s_cbranch_vccz .LBB98_98
; %bb.97:                               ;   in Loop: Header=BB98_74 Depth=1
	global_load_dwordx2 v[70:71], v[18:19], off
	v_add_co_u32_e32 v18, vcc, v109, v94
	v_addc_co_u32_e32 v19, vcc, 0, v110, vcc
	global_load_dwordx2 v[72:73], v[18:19], off
	v_add_co_u32_e32 v18, vcc, v111, v94
	v_addc_co_u32_e32 v19, vcc, 0, v112, vcc
	;; [unrolled: 3-line block ×3, first 2 shown]
	global_load_dwordx2 v[76:77], v[18:19], off
.LBB98_98:                              ;   in Loop: Header=BB98_74 Depth=1
	ds_read_b64 v[18:19], v136
	s_mov_b64 s[12:13], -1
                                        ; implicit-def: $vgpr82_vgpr83
                                        ; implicit-def: $vgpr84_vgpr85
                                        ; implicit-def: $vgpr80_vgpr81
                                        ; implicit-def: $vgpr78_vgpr79
	s_waitcnt vmcnt(0) lgkmcnt(0)
	v_mul_f64 v[26:27], v[70:71], v[18:19]
	v_mul_f64 v[28:29], v[72:73], v[18:19]
	;; [unrolled: 1-line block ×4, first 2 shown]
	ds_read_b128 v[22:25], v134 offset:128
	ds_read_b128 v[18:21], v134 offset:144
	ds_write2_b64 v137, v[26:27], v[28:29] offset1:67
	ds_write2_b64 v137, v[30:31], v[32:33] offset0:134 offset1:201
	s_waitcnt lgkmcnt(0)
	s_barrier
	ds_read2_b64 v[38:41], v98 offset1:1
	ds_read2_b64 v[34:37], v98 offset0:2 offset1:3
	v_add_co_u32_e32 v26, vcc, v115, v94
	v_addc_co_u32_e32 v27, vcc, 0, v116, vcc
	s_and_b64 vcc, exec, s[4:5]
	s_waitcnt lgkmcnt(0)
	s_barrier
	s_cbranch_vccnz .LBB98_108
; %bb.99:                               ;   in Loop: Header=BB98_74 Depth=1
	v_mov_b32_e32 v80, 0
	v_mov_b32_e32 v78, 0
	v_mov_b32_e32 v81, 0
	v_mov_b32_e32 v79, 0
	v_cmp_gt_i32_e32 vcc, s17, v145
	s_and_saveexec_b64 s[12:13], vcc
	s_cbranch_execz .LBB98_101
; %bb.100:                              ;   in Loop: Header=BB98_74 Depth=1
	global_load_dwordx2 v[78:79], v[26:27], off
.LBB98_101:                             ;   in Loop: Header=BB98_74 Depth=1
	s_or_b64 exec, exec, s[12:13]
	v_cmp_gt_i32_e32 vcc, s17, v146
	s_and_saveexec_b64 s[12:13], vcc
	s_cbranch_execz .LBB98_103
; %bb.102:                              ;   in Loop: Header=BB98_74 Depth=1
	v_add_co_u32_e32 v28, vcc, v117, v94
	v_addc_co_u32_e32 v29, vcc, 0, v118, vcc
	global_load_dwordx2 v[80:81], v[28:29], off
.LBB98_103:                             ;   in Loop: Header=BB98_74 Depth=1
	s_or_b64 exec, exec, s[12:13]
	v_mov_b32_e32 v82, 0
	v_mov_b32_e32 v84, 0
	;; [unrolled: 1-line block ×4, first 2 shown]
	v_cmp_gt_i32_e32 vcc, s17, v147
	s_and_saveexec_b64 s[12:13], vcc
	s_cbranch_execz .LBB98_105
; %bb.104:                              ;   in Loop: Header=BB98_74 Depth=1
	v_add_co_u32_e32 v28, vcc, v119, v94
	v_addc_co_u32_e32 v29, vcc, 0, v120, vcc
	global_load_dwordx2 v[84:85], v[28:29], off
.LBB98_105:                             ;   in Loop: Header=BB98_74 Depth=1
	s_or_b64 exec, exec, s[12:13]
	v_cmp_gt_i32_e32 vcc, s17, v148
	s_and_saveexec_b64 s[12:13], vcc
	s_cbranch_execz .LBB98_107
; %bb.106:                              ;   in Loop: Header=BB98_74 Depth=1
	v_add_co_u32_e32 v28, vcc, v121, v94
	v_addc_co_u32_e32 v29, vcc, 0, v122, vcc
	global_load_dwordx2 v[82:83], v[28:29], off
.LBB98_107:                             ;   in Loop: Header=BB98_74 Depth=1
	s_or_b64 exec, exec, s[12:13]
	s_mov_b64 s[12:13], 0
.LBB98_108:                             ;   in Loop: Header=BB98_74 Depth=1
	s_and_b64 vcc, exec, s[12:13]
	s_cbranch_vccz .LBB98_110
; %bb.109:                              ;   in Loop: Header=BB98_74 Depth=1
	global_load_dwordx2 v[78:79], v[26:27], off
	v_add_co_u32_e32 v26, vcc, v117, v94
	v_addc_co_u32_e32 v27, vcc, 0, v118, vcc
	global_load_dwordx2 v[80:81], v[26:27], off
	v_add_co_u32_e32 v26, vcc, v119, v94
	v_addc_co_u32_e32 v27, vcc, 0, v120, vcc
	;; [unrolled: 3-line block ×3, first 2 shown]
	global_load_dwordx2 v[82:83], v[26:27], off
.LBB98_110:                             ;   in Loop: Header=BB98_74 Depth=1
	ds_read_b64 v[26:27], v136
                                        ; implicit-def: $vgpr90_vgpr91
                                        ; implicit-def: $vgpr92_vgpr93
                                        ; implicit-def: $vgpr86_vgpr87
                                        ; implicit-def: $vgpr88_vgpr89
	s_waitcnt vmcnt(0) lgkmcnt(0)
	v_mul_f64 v[42:43], v[78:79], v[26:27]
	v_mul_f64 v[44:45], v[80:81], v[26:27]
	;; [unrolled: 1-line block ×4, first 2 shown]
	ds_read_b128 v[30:33], v134 offset:256
	ds_read_b128 v[26:29], v134 offset:272
	ds_write2_b64 v137, v[42:43], v[44:45] offset1:67
	ds_write2_b64 v137, v[46:47], v[48:49] offset0:134 offset1:201
	s_waitcnt lgkmcnt(0)
	s_barrier
	ds_read2_b64 v[54:57], v98 offset1:1
	ds_read2_b64 v[50:53], v98 offset0:2 offset1:3
	v_add_co_u32_e32 v42, vcc, v123, v94
	v_addc_co_u32_e32 v43, vcc, 0, v124, vcc
	s_and_b64 vcc, exec, s[4:5]
	s_mov_b64 s[4:5], -1
	s_waitcnt lgkmcnt(0)
	s_barrier
	s_cbranch_vccnz .LBB98_120
; %bb.111:                              ;   in Loop: Header=BB98_74 Depth=1
	v_mov_b32_e32 v86, 0
	v_mov_b32_e32 v88, 0
	;; [unrolled: 1-line block ×4, first 2 shown]
	v_cmp_gt_i32_e32 vcc, s17, v149
	s_and_saveexec_b64 s[4:5], vcc
	s_cbranch_execz .LBB98_113
; %bb.112:                              ;   in Loop: Header=BB98_74 Depth=1
	global_load_dwordx2 v[88:89], v[42:43], off
.LBB98_113:                             ;   in Loop: Header=BB98_74 Depth=1
	s_or_b64 exec, exec, s[4:5]
	v_cmp_gt_i32_e32 vcc, s17, v150
	s_and_saveexec_b64 s[4:5], vcc
	s_cbranch_execz .LBB98_115
; %bb.114:                              ;   in Loop: Header=BB98_74 Depth=1
	v_add_co_u32_e32 v44, vcc, v125, v94
	v_addc_co_u32_e32 v45, vcc, 0, v126, vcc
	global_load_dwordx2 v[86:87], v[44:45], off
.LBB98_115:                             ;   in Loop: Header=BB98_74 Depth=1
	s_or_b64 exec, exec, s[4:5]
	v_mov_b32_e32 v90, 0
	v_mov_b32_e32 v92, 0
	;; [unrolled: 1-line block ×4, first 2 shown]
	v_cmp_gt_i32_e32 vcc, s17, v151
	s_and_saveexec_b64 s[4:5], vcc
	s_cbranch_execz .LBB98_117
; %bb.116:                              ;   in Loop: Header=BB98_74 Depth=1
	v_add_co_u32_e32 v44, vcc, v127, v94
	v_addc_co_u32_e32 v45, vcc, 0, v128, vcc
	global_load_dwordx2 v[92:93], v[44:45], off
.LBB98_117:                             ;   in Loop: Header=BB98_74 Depth=1
	s_or_b64 exec, exec, s[4:5]
	v_cmp_gt_i32_e32 vcc, s17, v152
	s_and_saveexec_b64 s[4:5], vcc
	s_cbranch_execz .LBB98_119
; %bb.118:                              ;   in Loop: Header=BB98_74 Depth=1
	v_add_co_u32_e32 v44, vcc, v129, v94
	v_addc_co_u32_e32 v45, vcc, 0, v130, vcc
	global_load_dwordx2 v[90:91], v[44:45], off
.LBB98_119:                             ;   in Loop: Header=BB98_74 Depth=1
	s_or_b64 exec, exec, s[4:5]
	s_mov_b64 s[4:5], 0
.LBB98_120:                             ;   in Loop: Header=BB98_74 Depth=1
	s_and_b64 vcc, exec, s[4:5]
	s_cbranch_vccz .LBB98_122
; %bb.121:                              ;   in Loop: Header=BB98_74 Depth=1
	global_load_dwordx2 v[88:89], v[42:43], off
	v_add_co_u32_e32 v42, vcc, v125, v94
	v_addc_co_u32_e32 v43, vcc, 0, v126, vcc
	global_load_dwordx2 v[86:87], v[42:43], off
	v_add_co_u32_e32 v42, vcc, v127, v94
	v_addc_co_u32_e32 v43, vcc, 0, v128, vcc
	global_load_dwordx2 v[92:93], v[42:43], off
	v_add_co_u32_e32 v42, vcc, v129, v94
	v_addc_co_u32_e32 v43, vcc, 0, v130, vcc
	global_load_dwordx2 v[90:91], v[42:43], off
.LBB98_122:                             ;   in Loop: Header=BB98_74 Depth=1
	ds_read_b64 v[42:43], v136
	v_add_f64 v[38:39], v[38:39], 0
	v_add_f64 v[14:15], v[14:15], 0
	;; [unrolled: 1-line block ×3, first 2 shown]
	v_cmp_gt_i32_e32 vcc, s17, v0
	s_waitcnt vmcnt(0) lgkmcnt(0)
	v_mul_f64 v[153:154], v[88:89], v[42:43]
	v_mul_f64 v[155:156], v[86:87], v[42:43]
	;; [unrolled: 1-line block ×4, first 2 shown]
	ds_read_b128 v[46:49], v134 offset:384
	ds_read_b128 v[42:45], v134 offset:400
	v_add_f64 v[38:39], v[38:39], v[40:41]
	v_add_f64 v[14:15], v[14:15], v[16:17]
	v_add_f64 v[54:55], v[54:55], v[56:57]
	ds_write2_b64 v137, v[153:154], v[155:156] offset1:67
	ds_write2_b64 v137, v[157:158], v[159:160] offset0:134 offset1:201
	s_waitcnt lgkmcnt(0)
	s_barrier
	ds_read2_b64 v[153:156], v98 offset1:1
	ds_read2_b64 v[157:160], v98 offset0:2 offset1:3
	v_add_f64 v[34:35], v[38:39], v[34:35]
	v_add_f64 v[10:11], v[14:15], v[10:11]
	;; [unrolled: 1-line block ×3, first 2 shown]
	s_waitcnt lgkmcnt(1)
	v_add_f64 v[153:154], v[153:154], 0
	s_or_b64 s[4:5], s[10:11], vcc
	s_and_b64 s[10:11], s[2:3], s[4:5]
	s_waitcnt lgkmcnt(0)
	s_barrier
	v_add_f64 v[34:35], v[34:35], v[36:37]
	v_add_f64 v[10:11], v[10:11], v[12:13]
	;; [unrolled: 1-line block ×6, first 2 shown]
	ds_write2_b64 v135, v[10:11], v[34:35] offset1:16
	ds_write2_b64 v135, v[16:17], v[12:13] offset0:32 offset1:48
	s_waitcnt lgkmcnt(0)
	s_barrier
	s_and_saveexec_b64 s[4:5], s[10:11]
	s_cbranch_execz .LBB98_124
; %bb.123:                              ;   in Loop: Header=BB98_74 Depth=1
	ds_read2_b64 v[10:13], v131 offset1:1
	ds_read2_b64 v[14:17], v131 offset0:2 offset1:3
	s_waitcnt lgkmcnt(1)
	v_add_f64 v[10:11], v[10:11], v[12:13]
	s_waitcnt lgkmcnt(0)
	v_add_f64 v[10:11], v[10:11], v[14:15]
	v_add_f64 v[34:35], v[10:11], v[16:17]
	ds_read2_b64 v[10:13], v131 offset0:4 offset1:5
	ds_read2_b64 v[14:17], v131 offset0:6 offset1:7
	s_waitcnt lgkmcnt(1)
	v_add_f64 v[10:11], v[34:35], v[10:11]
	v_add_f64 v[10:11], v[10:11], v[12:13]
	s_waitcnt lgkmcnt(0)
	v_add_f64 v[10:11], v[10:11], v[14:15]
	v_add_f64 v[34:35], v[10:11], v[16:17]
	ds_read2_b64 v[10:13], v131 offset0:8 offset1:9
	ds_read2_b64 v[14:17], v131 offset0:10 offset1:11
	s_waitcnt lgkmcnt(1)
	v_add_f64 v[10:11], v[34:35], v[10:11]
	v_add_f64 v[10:11], v[10:11], v[12:13]
	s_waitcnt lgkmcnt(0)
	v_add_f64 v[10:11], v[10:11], v[14:15]
	v_add_f64 v[14:15], v[10:11], v[16:17]
	ds_read2_b64 v[10:13], v131 offset0:12 offset1:13
	ds_read_b64 v[16:17], v131 offset:112
	s_waitcnt lgkmcnt(1)
	v_add_f64 v[10:11], v[14:15], v[10:11]
	v_mov_b32_e32 v14, s14
	v_add_f64 v[10:11], v[10:11], v[12:13]
	ds_read_b64 v[12:13], v132
	s_waitcnt lgkmcnt(1)
	v_add_f64 v[10:11], v[10:11], v[16:17]
	s_waitcnt lgkmcnt(0)
	v_add_f64 v[10:11], v[10:11], v[12:13]
	v_add_u32_e32 v12, s16, v0
	v_ashrrev_i32_e32 v13, 31, v12
	v_lshlrev_b64 v[12:13], 3, v[12:13]
	v_add_co_u32_e32 v12, vcc, s7, v12
	v_addc_co_u32_e32 v13, vcc, v14, v13, vcc
	global_store_dwordx2 v[12:13], v[10:11], off
.LBB98_124:                             ;   in Loop: Header=BB98_74 Depth=1
	s_or_b64 exec, exec, s[4:5]
	v_fma_f64 v[6:7], v[62:63], v[6:7], v[60:61]
	v_add_co_u32_e32 v99, vcc, s8, v99
	s_add_i32 s4, s6, 1
	s_add_i32 s16, s16, 64
	;; [unrolled: 1-line block ×3, first 2 shown]
	s_cmp_ge_u32 s5, s33
	v_fma_f64 v[6:7], v[64:65], v[8:9], v[6:7]
	s_waitcnt vmcnt(0)
	s_barrier
	v_fma_f64 v[2:3], v[66:67], v[2:3], v[6:7]
	v_fma_f64 v[2:3], v[68:69], v[4:5], v[2:3]
	v_mov_b32_e32 v4, s9
	v_addc_co_u32_e32 v100, vcc, v100, v4, vcc
	v_add_co_u32_e32 v101, vcc, s8, v101
	v_addc_co_u32_e32 v102, vcc, v102, v4, vcc
	v_fma_f64 v[2:3], v[70:71], v[22:23], v[2:3]
	v_add_co_u32_e32 v103, vcc, s8, v103
	v_addc_co_u32_e32 v104, vcc, v104, v4, vcc
	v_add_co_u32_e32 v105, vcc, s8, v105
	v_addc_co_u32_e32 v106, vcc, v106, v4, vcc
	v_fma_f64 v[2:3], v[72:73], v[24:25], v[2:3]
	v_add_co_u32_e32 v107, vcc, s8, v107
	;; [unrolled: 5-line block ×7, first 2 shown]
	v_addc_co_u32_e32 v128, vcc, v128, v4, vcc
	v_add_co_u32_e32 v129, vcc, s8, v129
	v_addc_co_u32_e32 v130, vcc, v130, v4, vcc
	v_fma_f64 v[2:3], v[82:83], v[28:29], v[2:3]
	v_fma_f64 v[2:3], v[88:89], v[46:47], v[2:3]
	;; [unrolled: 1-line block ×5, first 2 shown]
	s_cbranch_scc1 .LBB98_126
; %bb.125:                              ;   in Loop: Header=BB98_74 Depth=1
	s_mov_b32 s6, s4
	s_cmp_eq_u32 s15, s6
	s_cselect_b32 s17, s36, 0
	s_and_saveexec_b64 s[4:5], s[0:1]
	s_cbranch_execnz .LBB98_71
	s_branch .LBB98_74
.LBB98_126:
	s_movk_i32 s2, 0x218
	v_cmp_gt_i32_e32 vcc, s24, v0
	v_mad_u32_u24 v1, v1, s2, v94
	s_or_b64 s[2:3], s[18:19], vcc
	s_and_b64 s[0:1], s[0:1], s[2:3]
	ds_write_b64 v1, v[60:61]
	s_waitcnt lgkmcnt(0)
	s_barrier
	s_and_saveexec_b64 s[2:3], s[0:1]
	s_cbranch_execz .LBB98_128
; %bb.127:
	ds_read2_b64 v[0:3], v94 offset1:67
	s_waitcnt lgkmcnt(0)
	v_add_f64 v[4:5], v[0:1], v[2:3]
	ds_read2_b64 v[0:3], v94 offset0:134 offset1:201
	s_waitcnt lgkmcnt(0)
	v_add_f64 v[0:1], v[4:5], v[0:1]
	v_mov_b32_e32 v4, s14
	v_add_f64 v[0:1], v[0:1], v[2:3]
	v_lshlrev_b64 v[2:3], 3, v[58:59]
	v_add_co_u32_e32 v2, vcc, s7, v2
	v_addc_co_u32_e32 v3, vcc, v4, v3, vcc
	global_store_dwordx2 v[2:3], v[0:1], off
.LBB98_128:
	s_endpgm
	.section	.rodata,"a",@progbits
	.p2align	6, 0x0
	.amdhsa_kernel _ZL26rocblas_hemvn_kernel_upperILb0ELi64ELi4ELi33ELi32ELi16EldPKdPdEviT6_lT7_lT5_lS4_lS5_lS3_lT8_i
		.amdhsa_group_segment_fixed_size 9600
		.amdhsa_private_segment_fixed_size 0
		.amdhsa_kernarg_size 376
		.amdhsa_user_sgpr_count 6
		.amdhsa_user_sgpr_private_segment_buffer 1
		.amdhsa_user_sgpr_dispatch_ptr 0
		.amdhsa_user_sgpr_queue_ptr 0
		.amdhsa_user_sgpr_kernarg_segment_ptr 1
		.amdhsa_user_sgpr_dispatch_id 0
		.amdhsa_user_sgpr_flat_scratch_init 0
		.amdhsa_user_sgpr_private_segment_size 0
		.amdhsa_uses_dynamic_stack 0
		.amdhsa_system_sgpr_private_segment_wavefront_offset 0
		.amdhsa_system_sgpr_workgroup_id_x 1
		.amdhsa_system_sgpr_workgroup_id_y 0
		.amdhsa_system_sgpr_workgroup_id_z 1
		.amdhsa_system_sgpr_workgroup_info 0
		.amdhsa_system_vgpr_workitem_id 1
		.amdhsa_next_free_vgpr 161
		.amdhsa_next_free_sgpr 93
		.amdhsa_reserve_vcc 1
		.amdhsa_reserve_flat_scratch 0
		.amdhsa_float_round_mode_32 0
		.amdhsa_float_round_mode_16_64 0
		.amdhsa_float_denorm_mode_32 3
		.amdhsa_float_denorm_mode_16_64 3
		.amdhsa_dx10_clamp 1
		.amdhsa_ieee_mode 1
		.amdhsa_fp16_overflow 0
		.amdhsa_exception_fp_ieee_invalid_op 0
		.amdhsa_exception_fp_denorm_src 0
		.amdhsa_exception_fp_ieee_div_zero 0
		.amdhsa_exception_fp_ieee_overflow 0
		.amdhsa_exception_fp_ieee_underflow 0
		.amdhsa_exception_fp_ieee_inexact 0
		.amdhsa_exception_int_div_zero 0
	.end_amdhsa_kernel
	.section	.text._ZL26rocblas_hemvn_kernel_upperILb0ELi64ELi4ELi33ELi32ELi16EldPKdPdEviT6_lT7_lT5_lS4_lS5_lS3_lT8_i,"axG",@progbits,_ZL26rocblas_hemvn_kernel_upperILb0ELi64ELi4ELi33ELi32ELi16EldPKdPdEviT6_lT7_lT5_lS4_lS5_lS3_lT8_i,comdat
.Lfunc_end98:
	.size	_ZL26rocblas_hemvn_kernel_upperILb0ELi64ELi4ELi33ELi32ELi16EldPKdPdEviT6_lT7_lT5_lS4_lS5_lS3_lT8_i, .Lfunc_end98-_ZL26rocblas_hemvn_kernel_upperILb0ELi64ELi4ELi33ELi32ELi16EldPKdPdEviT6_lT7_lT5_lS4_lS5_lS3_lT8_i
                                        ; -- End function
	.set _ZL26rocblas_hemvn_kernel_upperILb0ELi64ELi4ELi33ELi32ELi16EldPKdPdEviT6_lT7_lT5_lS4_lS5_lS3_lT8_i.num_vgpr, 161
	.set _ZL26rocblas_hemvn_kernel_upperILb0ELi64ELi4ELi33ELi32ELi16EldPKdPdEviT6_lT7_lT5_lS4_lS5_lS3_lT8_i.num_agpr, 0
	.set _ZL26rocblas_hemvn_kernel_upperILb0ELi64ELi4ELi33ELi32ELi16EldPKdPdEviT6_lT7_lT5_lS4_lS5_lS3_lT8_i.numbered_sgpr, 42
	.set _ZL26rocblas_hemvn_kernel_upperILb0ELi64ELi4ELi33ELi32ELi16EldPKdPdEviT6_lT7_lT5_lS4_lS5_lS3_lT8_i.num_named_barrier, 0
	.set _ZL26rocblas_hemvn_kernel_upperILb0ELi64ELi4ELi33ELi32ELi16EldPKdPdEviT6_lT7_lT5_lS4_lS5_lS3_lT8_i.private_seg_size, 0
	.set _ZL26rocblas_hemvn_kernel_upperILb0ELi64ELi4ELi33ELi32ELi16EldPKdPdEviT6_lT7_lT5_lS4_lS5_lS3_lT8_i.uses_vcc, 1
	.set _ZL26rocblas_hemvn_kernel_upperILb0ELi64ELi4ELi33ELi32ELi16EldPKdPdEviT6_lT7_lT5_lS4_lS5_lS3_lT8_i.uses_flat_scratch, 0
	.set _ZL26rocblas_hemvn_kernel_upperILb0ELi64ELi4ELi33ELi32ELi16EldPKdPdEviT6_lT7_lT5_lS4_lS5_lS3_lT8_i.has_dyn_sized_stack, 0
	.set _ZL26rocblas_hemvn_kernel_upperILb0ELi64ELi4ELi33ELi32ELi16EldPKdPdEviT6_lT7_lT5_lS4_lS5_lS3_lT8_i.has_recursion, 0
	.set _ZL26rocblas_hemvn_kernel_upperILb0ELi64ELi4ELi33ELi32ELi16EldPKdPdEviT6_lT7_lT5_lS4_lS5_lS3_lT8_i.has_indirect_call, 0
	.section	.AMDGPU.csdata,"",@progbits
; Kernel info:
; codeLenInByte = 7252
; TotalNumSgprs: 46
; NumVgprs: 161
; ScratchSize: 0
; MemoryBound: 0
; FloatMode: 240
; IeeeMode: 1
; LDSByteSize: 9600 bytes/workgroup (compile time only)
; SGPRBlocks: 12
; VGPRBlocks: 40
; NumSGPRsForWavesPerEU: 97
; NumVGPRsForWavesPerEU: 161
; Occupancy: 1
; WaveLimiterHint : 1
; COMPUTE_PGM_RSRC2:SCRATCH_EN: 0
; COMPUTE_PGM_RSRC2:USER_SGPR: 6
; COMPUTE_PGM_RSRC2:TRAP_HANDLER: 0
; COMPUTE_PGM_RSRC2:TGID_X_EN: 1
; COMPUTE_PGM_RSRC2:TGID_Y_EN: 0
; COMPUTE_PGM_RSRC2:TGID_Z_EN: 1
; COMPUTE_PGM_RSRC2:TIDIG_COMP_CNT: 1
	.section	.text._ZL36rocblas_hemvn_kernel_upper_block_sumILi64EldPddEviT1_lS1_lT2_lT0_lPT3_i,"axG",@progbits,_ZL36rocblas_hemvn_kernel_upper_block_sumILi64EldPddEviT1_lS1_lT2_lT0_lPT3_i,comdat
	.globl	_ZL36rocblas_hemvn_kernel_upper_block_sumILi64EldPddEviT1_lS1_lT2_lT0_lPT3_i ; -- Begin function _ZL36rocblas_hemvn_kernel_upper_block_sumILi64EldPddEviT1_lS1_lT2_lT0_lPT3_i
	.p2align	8
	.type	_ZL36rocblas_hemvn_kernel_upper_block_sumILi64EldPddEviT1_lS1_lT2_lT0_lPT3_i,@function
_ZL36rocblas_hemvn_kernel_upper_block_sumILi64EldPddEviT1_lS1_lT2_lT0_lPT3_i: ; @_ZL36rocblas_hemvn_kernel_upper_block_sumILi64EldPddEviT1_lS1_lT2_lT0_lPT3_i
; %bb.0:
	s_load_dwordx2 s[2:3], s[4:5], 0x8
	s_load_dwordx2 s[16:17], s[4:5], 0x18
	s_waitcnt lgkmcnt(0)
	v_cmp_eq_f64_e64 s[0:1], s[2:3], 0
	v_cmp_eq_f64_e64 s[8:9], s[16:17], 1.0
	s_and_b64 s[0:1], s[0:1], s[8:9]
	s_and_b64 vcc, exec, s[0:1]
	s_cbranch_vccnz .LBB99_19
; %bb.1:
	s_load_dwordx8 s[8:15], s[4:5], 0x30
	s_load_dwordx2 s[0:1], s[4:5], 0x28
	s_load_dword s18, s[4:5], 0x0
	v_cmp_neq_f64_e64 s[20:21], s[2:3], 0
	v_lshl_or_b32 v0, s6, 6, v0
	s_waitcnt lgkmcnt(0)
	s_mul_i32 s13, s13, s7
	s_mul_hi_u32 s19, s12, s7
	s_mul_i32 s12, s12, s7
	s_add_i32 s13, s19, s13
	s_lshl_b64 s[12:13], s[12:13], 3
	s_add_u32 s12, s0, s12
	s_addc_u32 s13, s1, s13
	s_lshl_b64 s[0:1], s[8:9], 3
	s_add_u32 s22, s12, s0
	s_addc_u32 s23, s13, s1
	s_mov_b64 s[8:9], 0
	s_and_b64 vcc, exec, s[20:21]
	v_cmp_gt_i32_e64 s[0:1], s18, v0
	s_cbranch_vccnz .LBB99_6
; %bb.2:
	s_mov_b64 s[12:13], 0
                                        ; implicit-def: $vgpr3_vgpr4
                                        ; implicit-def: $vgpr1_vgpr2
	s_and_saveexec_b64 s[20:21], s[0:1]
	s_cbranch_execz .LBB99_7
; %bb.3:
	v_cmp_eq_f64_e64 s[0:1], s[16:17], 0
	v_ashrrev_i32_e32 v1, 31, v0
	v_mul_lo_u32 v5, s11, v0
	v_mul_lo_u32 v6, s10, v1
	v_mad_u64_u32 v[1:2], s[8:9], s10, v0, 0
	v_mov_b32_e32 v3, 0
	v_mov_b32_e32 v4, 0
	v_add3_u32 v2, v2, v6, v5
	s_and_b64 vcc, exec, s[0:1]
	s_cbranch_vccnz .LBB99_5
; %bb.4:
	v_lshlrev_b64 v[3:4], 3, v[1:2]
	v_mov_b32_e32 v5, s23
	v_add_co_u32_e32 v3, vcc, s22, v3
	v_addc_co_u32_e32 v4, vcc, v5, v4, vcc
	global_load_dwordx2 v[3:4], v[3:4], off
	s_waitcnt vmcnt(0)
	v_mul_f64 v[3:4], s[16:17], v[3:4]
.LBB99_5:
	s_mov_b64 s[8:9], exec
	s_or_b64 exec, exec, s[20:21]
	s_and_b64 vcc, exec, s[12:13]
	s_cbranch_vccnz .LBB99_8
	s_branch .LBB99_17
.LBB99_6:
                                        ; implicit-def: $vgpr3_vgpr4
                                        ; implicit-def: $vgpr1_vgpr2
	s_cbranch_execnz .LBB99_8
	s_branch .LBB99_17
.LBB99_7:
	s_or_b64 exec, exec, s[20:21]
	s_and_b64 vcc, exec, s[12:13]
	s_cbranch_vccz .LBB99_17
.LBB99_8:
	v_cmp_gt_i32_e32 vcc, s18, v0
                                        ; implicit-def: $vgpr3_vgpr4
                                        ; implicit-def: $vgpr1_vgpr2
	s_and_saveexec_b64 s[0:1], vcc
	s_cbranch_execz .LBB99_16
; %bb.9:
	v_mov_b32_e32 v5, 0
	v_mov_b32_e32 v6, 0
	s_cmp_lt_i32 s6, 0
	v_ashrrev_i32_e32 v1, 31, v0
	s_cbranch_scc1 .LBB99_12
; %bb.10:
	s_load_dword s4, s[4:5], 0x58
	s_ashr_i32 s19, s18, 31
	s_mul_hi_u32 s5, s18, s7
	s_mul_i32 s12, s19, s7
	s_add_i32 s5, s5, s12
	s_mul_i32 s7, s18, s7
	s_waitcnt lgkmcnt(0)
	s_mul_i32 s5, s5, s4
	s_mul_hi_u32 s12, s7, s4
	s_add_i32 s5, s12, s5
	s_mul_i32 s4, s7, s4
	s_lshl_b64 s[4:5], s[4:5], 3
	s_add_u32 s4, s14, s4
	v_lshlrev_b64 v[2:3], 3, v[0:1]
	s_addc_u32 s5, s15, s5
	v_mov_b32_e32 v4, s5
	v_add_co_u32_e32 v2, vcc, s4, v2
	s_lshl_b64 s[4:5], s[18:19], 3
	v_mov_b32_e32 v5, 0
	v_addc_co_u32_e32 v3, vcc, v4, v3, vcc
	s_add_i32 s6, s6, 1
	v_mov_b32_e32 v6, 0
	v_mov_b32_e32 v4, s5
.LBB99_11:                              ; =>This Inner Loop Header: Depth=1
	global_load_dwordx2 v[7:8], v[2:3], off
	s_add_i32 s6, s6, -1
	v_add_co_u32_e32 v2, vcc, s4, v2
	s_cmp_eq_u32 s6, 0
	v_addc_co_u32_e32 v3, vcc, v3, v4, vcc
	s_waitcnt vmcnt(0)
	v_add_f64 v[5:6], v[5:6], v[7:8]
	s_cbranch_scc0 .LBB99_11
.LBB99_12:
	v_cmp_eq_f64_e64 s[6:7], s[16:17], 0
	v_mul_lo_u32 v7, s11, v0
	v_mul_lo_u32 v8, s10, v1
	s_mov_b64 s[4:5], 0
	s_and_b64 vcc, exec, s[6:7]
	s_cbranch_vccz .LBB99_20
; %bb.13:
	v_mad_u64_u32 v[1:2], s[6:7], s10, v0, 0
	v_mul_f64 v[3:4], s[2:3], v[5:6]
	v_add3_u32 v2, v2, v8, v7
	s_andn2_b64 vcc, exec, s[4:5]
	s_cbranch_vccnz .LBB99_15
.LBB99_14:
	v_mad_u64_u32 v[1:2], s[4:5], s10, v0, 0
	v_mov_b32_e32 v0, s23
	v_add3_u32 v2, v2, v8, v7
	v_lshlrev_b64 v[3:4], 3, v[1:2]
	v_add_co_u32_e32 v3, vcc, s22, v3
	v_addc_co_u32_e32 v4, vcc, v0, v4, vcc
	global_load_dwordx2 v[3:4], v[3:4], off
	s_waitcnt vmcnt(0)
	v_mul_f64 v[3:4], s[16:17], v[3:4]
	v_fma_f64 v[3:4], s[2:3], v[5:6], v[3:4]
.LBB99_15:
	s_or_b64 s[8:9], s[8:9], exec
.LBB99_16:
	s_or_b64 exec, exec, s[0:1]
.LBB99_17:
	s_and_saveexec_b64 s[0:1], s[8:9]
	s_cbranch_execz .LBB99_19
; %bb.18:
	v_lshlrev_b64 v[0:1], 3, v[1:2]
	v_mov_b32_e32 v2, s23
	v_add_co_u32_e32 v0, vcc, s22, v0
	v_addc_co_u32_e32 v1, vcc, v2, v1, vcc
	global_store_dwordx2 v[0:1], v[3:4], off
.LBB99_19:
	s_endpgm
.LBB99_20:
                                        ; implicit-def: $vgpr3_vgpr4
                                        ; implicit-def: $vgpr1_vgpr2
	s_branch .LBB99_14
	.section	.rodata,"a",@progbits
	.p2align	6, 0x0
	.amdhsa_kernel _ZL36rocblas_hemvn_kernel_upper_block_sumILi64EldPddEviT1_lS1_lT2_lT0_lPT3_i
		.amdhsa_group_segment_fixed_size 0
		.amdhsa_private_segment_fixed_size 0
		.amdhsa_kernarg_size 344
		.amdhsa_user_sgpr_count 6
		.amdhsa_user_sgpr_private_segment_buffer 1
		.amdhsa_user_sgpr_dispatch_ptr 0
		.amdhsa_user_sgpr_queue_ptr 0
		.amdhsa_user_sgpr_kernarg_segment_ptr 1
		.amdhsa_user_sgpr_dispatch_id 0
		.amdhsa_user_sgpr_flat_scratch_init 0
		.amdhsa_user_sgpr_private_segment_size 0
		.amdhsa_uses_dynamic_stack 0
		.amdhsa_system_sgpr_private_segment_wavefront_offset 0
		.amdhsa_system_sgpr_workgroup_id_x 1
		.amdhsa_system_sgpr_workgroup_id_y 0
		.amdhsa_system_sgpr_workgroup_id_z 1
		.amdhsa_system_sgpr_workgroup_info 0
		.amdhsa_system_vgpr_workitem_id 0
		.amdhsa_next_free_vgpr 9
		.amdhsa_next_free_sgpr 24
		.amdhsa_reserve_vcc 1
		.amdhsa_reserve_flat_scratch 0
		.amdhsa_float_round_mode_32 0
		.amdhsa_float_round_mode_16_64 0
		.amdhsa_float_denorm_mode_32 3
		.amdhsa_float_denorm_mode_16_64 3
		.amdhsa_dx10_clamp 1
		.amdhsa_ieee_mode 1
		.amdhsa_fp16_overflow 0
		.amdhsa_exception_fp_ieee_invalid_op 0
		.amdhsa_exception_fp_denorm_src 0
		.amdhsa_exception_fp_ieee_div_zero 0
		.amdhsa_exception_fp_ieee_overflow 0
		.amdhsa_exception_fp_ieee_underflow 0
		.amdhsa_exception_fp_ieee_inexact 0
		.amdhsa_exception_int_div_zero 0
	.end_amdhsa_kernel
	.section	.text._ZL36rocblas_hemvn_kernel_upper_block_sumILi64EldPddEviT1_lS1_lT2_lT0_lPT3_i,"axG",@progbits,_ZL36rocblas_hemvn_kernel_upper_block_sumILi64EldPddEviT1_lS1_lT2_lT0_lPT3_i,comdat
.Lfunc_end99:
	.size	_ZL36rocblas_hemvn_kernel_upper_block_sumILi64EldPddEviT1_lS1_lT2_lT0_lPT3_i, .Lfunc_end99-_ZL36rocblas_hemvn_kernel_upper_block_sumILi64EldPddEviT1_lS1_lT2_lT0_lPT3_i
                                        ; -- End function
	.set _ZL36rocblas_hemvn_kernel_upper_block_sumILi64EldPddEviT1_lS1_lT2_lT0_lPT3_i.num_vgpr, 9
	.set _ZL36rocblas_hemvn_kernel_upper_block_sumILi64EldPddEviT1_lS1_lT2_lT0_lPT3_i.num_agpr, 0
	.set _ZL36rocblas_hemvn_kernel_upper_block_sumILi64EldPddEviT1_lS1_lT2_lT0_lPT3_i.numbered_sgpr, 24
	.set _ZL36rocblas_hemvn_kernel_upper_block_sumILi64EldPddEviT1_lS1_lT2_lT0_lPT3_i.num_named_barrier, 0
	.set _ZL36rocblas_hemvn_kernel_upper_block_sumILi64EldPddEviT1_lS1_lT2_lT0_lPT3_i.private_seg_size, 0
	.set _ZL36rocblas_hemvn_kernel_upper_block_sumILi64EldPddEviT1_lS1_lT2_lT0_lPT3_i.uses_vcc, 1
	.set _ZL36rocblas_hemvn_kernel_upper_block_sumILi64EldPddEviT1_lS1_lT2_lT0_lPT3_i.uses_flat_scratch, 0
	.set _ZL36rocblas_hemvn_kernel_upper_block_sumILi64EldPddEviT1_lS1_lT2_lT0_lPT3_i.has_dyn_sized_stack, 0
	.set _ZL36rocblas_hemvn_kernel_upper_block_sumILi64EldPddEviT1_lS1_lT2_lT0_lPT3_i.has_recursion, 0
	.set _ZL36rocblas_hemvn_kernel_upper_block_sumILi64EldPddEviT1_lS1_lT2_lT0_lPT3_i.has_indirect_call, 0
	.section	.AMDGPU.csdata,"",@progbits
; Kernel info:
; codeLenInByte = 660
; TotalNumSgprs: 28
; NumVgprs: 9
; ScratchSize: 0
; MemoryBound: 0
; FloatMode: 240
; IeeeMode: 1
; LDSByteSize: 0 bytes/workgroup (compile time only)
; SGPRBlocks: 3
; VGPRBlocks: 2
; NumSGPRsForWavesPerEU: 28
; NumVGPRsForWavesPerEU: 9
; Occupancy: 10
; WaveLimiterHint : 0
; COMPUTE_PGM_RSRC2:SCRATCH_EN: 0
; COMPUTE_PGM_RSRC2:USER_SGPR: 6
; COMPUTE_PGM_RSRC2:TRAP_HANDLER: 0
; COMPUTE_PGM_RSRC2:TGID_X_EN: 1
; COMPUTE_PGM_RSRC2:TGID_Y_EN: 0
; COMPUTE_PGM_RSRC2:TGID_Z_EN: 1
; COMPUTE_PGM_RSRC2:TIDIG_COMP_CNT: 0
	.section	.text._ZL26rocblas_hemvn_kernel_upperILb0ELi64ELi4ELi33ELi32ELi16EidPKdPdEviT6_lT7_lT5_lS4_lS5_lS3_lT8_i,"axG",@progbits,_ZL26rocblas_hemvn_kernel_upperILb0ELi64ELi4ELi33ELi32ELi16EidPKdPdEviT6_lT7_lT5_lS4_lS5_lS3_lT8_i,comdat
	.globl	_ZL26rocblas_hemvn_kernel_upperILb0ELi64ELi4ELi33ELi32ELi16EidPKdPdEviT6_lT7_lT5_lS4_lS5_lS3_lT8_i ; -- Begin function _ZL26rocblas_hemvn_kernel_upperILb0ELi64ELi4ELi33ELi32ELi16EidPKdPdEviT6_lT7_lT5_lS4_lS5_lS3_lT8_i
	.p2align	8
	.type	_ZL26rocblas_hemvn_kernel_upperILb0ELi64ELi4ELi33ELi32ELi16EidPKdPdEviT6_lT7_lT5_lS4_lS5_lS3_lT8_i,@function
_ZL26rocblas_hemvn_kernel_upperILb0ELi64ELi4ELi33ELi32ELi16EidPKdPdEviT6_lT7_lT5_lS4_lS5_lS3_lT8_i: ; @_ZL26rocblas_hemvn_kernel_upperILb0ELi64ELi4ELi33ELi32ELi16EidPKdPdEviT6_lT7_lT5_lS4_lS5_lS3_lT8_i
; %bb.0:
	s_load_dwordx2 s[0:1], s[4:5], 0x84
	s_add_u32 s12, s4, 0x78
	s_addc_u32 s13, s5, 0
	s_waitcnt lgkmcnt(0)
	s_lshr_b32 s2, s0, 16
	s_and_b32 s0, s0, 0xffff
	s_and_b32 s1, s1, 0xffff
	s_mul_i32 s0, s2, s0
	s_mul_i32 s0, s0, s1
	s_cmpk_lg_i32 s0, 0x100
	s_cbranch_scc1 .LBB100_128
; %bb.1:
	s_load_dwordx2 s[8:9], s[4:5], 0x8
	s_load_dwordx4 s[0:3], s[4:5], 0x50
	s_waitcnt lgkmcnt(0)
	v_cmp_eq_f64_e64 s[8:9], s[8:9], 0
	v_cmp_eq_f64_e64 s[2:3], s[2:3], 1.0
	s_and_b64 s[2:3], s[8:9], s[2:3]
	s_and_b64 vcc, exec, s[2:3]
	s_cbranch_vccnz .LBB100_128
; %bb.2:
	s_and_b64 vcc, exec, s[8:9]
	s_cbranch_vccnz .LBB100_128
; %bb.3:
	s_load_dword s33, s[12:13], 0x0
	s_load_dword s40, s[4:5], 0x0
	s_load_dwordx4 s[8:11], s[4:5], 0x30
	s_load_dwordx2 s[2:3], s[4:5], 0x40
	s_load_dword s39, s[4:5], 0x48
	s_mul_i32 s1, s1, s7
	s_mul_hi_u32 s12, s0, s7
	s_add_i32 s1, s12, s1
	s_mul_i32 s0, s0, s7
	s_lshl_b64 s[0:1], s[0:1], 3
	s_waitcnt lgkmcnt(0)
	s_add_u32 s10, s10, s0
	s_addc_u32 s11, s11, s1
	s_lshl_b64 s[0:1], s[2:3], 3
	s_add_u32 s0, s10, s0
	s_addc_u32 s1, s11, s1
	s_lshl_b32 s24, s6, 6
	v_add_u32_e32 v58, s24, v0
	v_mul_lo_u32 v2, s39, v58
	s_ashr_i32 s41, s40, 31
	s_lshr_b32 s3, s41, 26
	s_add_i32 s3, s40, s3
	v_ashrrev_i32_e32 v3, 31, v2
	s_andn2_b32 s3, s3, 63
	v_lshlrev_b64 v[2:3], 3, v[2:3]
	s_add_i32 s2, s33, -1
	s_sub_i32 s38, s40, s3
	s_cmp_eq_u32 s6, s2
	v_mov_b32_e32 v4, s1
	v_add_co_u32_e32 v16, vcc, s0, v2
	s_cselect_b32 s18, s38, 0
	v_addc_co_u32_e32 v17, vcc, v4, v3, vcc
	v_cmp_eq_u32_e64 s[0:1], 0, v1
	s_and_saveexec_b64 s[2:3], s[0:1]
	s_cbranch_execz .LBB100_7
; %bb.4:
	s_cmp_eq_u32 s18, 0
	s_cselect_b64 s[10:11], -1, 0
	v_cmp_gt_i32_e32 vcc, s18, v0
	v_mov_b32_e32 v2, 0
	v_mov_b32_e32 v3, 0
	s_or_b64 s[12:13], s[10:11], vcc
	s_and_saveexec_b64 s[10:11], s[12:13]
	s_cbranch_execz .LBB100_6
; %bb.5:
	global_load_dwordx2 v[2:3], v[16:17], off
.LBB100_6:
	s_or_b64 exec, exec, s[10:11]
	v_lshlrev_b32_e32 v4, 3, v0
	s_waitcnt vmcnt(0)
	ds_write_b64 v4, v[2:3] offset:9088
.LBB100_7:
	s_or_b64 exec, exec, s[2:3]
	s_load_dwordx4 s[12:15], s[4:5], 0x18
	s_load_dword s22, s[4:5], 0x28
	s_mul_i32 s2, s9, s7
	s_mul_hi_u32 s3, s8, s7
	s_add_i32 s3, s3, s2
	s_mul_i32 s2, s8, s7
	s_lshl_b64 s[2:3], s[2:3], 3
	s_waitcnt lgkmcnt(0)
	s_add_u32 s8, s12, s2
	v_lshl_add_u32 v24, v1, 6, v0
	s_addc_u32 s9, s13, s3
	s_lshl_b64 s[2:3], s[14:15], 3
	v_and_b32_e32 v2, 31, v0
	v_lshrrev_b32_e32 v13, 5, v24
	s_add_u32 s8, s8, s2
	s_addc_u32 s9, s9, s3
	v_mad_u64_u32 v[3:4], s[2:3], s22, v13, v[2:3]
	s_ashr_i32 s25, s24, 31
	s_lshl_b64 s[2:3], s[24:25], 3
	v_ashrrev_i32_e32 v4, 31, v3
	v_lshlrev_b64 v[14:15], 3, v[3:4]
	s_add_u32 s2, s8, s2
	s_addc_u32 s3, s9, s3
	v_add_co_u32_e32 v4, vcc, s2, v14
	s_mul_i32 s2, s22, s24
	v_mov_b32_e32 v3, s3
	s_ashr_i32 s3, s2, 31
	s_lshl_b64 s[2:3], s[2:3], 3
	v_addc_co_u32_e32 v5, vcc, v3, v15, vcc
	s_cmp_eq_u32 s18, 0
	v_mov_b32_e32 v6, s3
	v_add_co_u32_e32 v3, vcc, s2, v4
	s_cselect_b64 s[20:21], -1, 0
	s_cmp_lg_u32 s18, 0
	v_addc_co_u32_e32 v4, vcc, v5, v6, vcc
	s_cselect_b64 s[30:31], -1, 0
	s_and_b64 vcc, exec, s[30:31]
	v_cmp_gt_i32_e64 s[2:3], s18, v2
	v_lshlrev_b32_e32 v20, 3, v2
	s_cbranch_vccz .LBB100_17
; %bb.8:
	v_sub_co_u32_e32 v5, vcc, v3, v20
	s_ashr_i32 s19, s18, 31
	v_subbrev_co_u32_e32 v6, vcc, 0, v4, vcc
	s_lshl_b64 s[8:9], s[18:19], 3
	v_mov_b32_e32 v7, s9
	v_add_co_u32_e32 v5, vcc, s8, v5
	v_addc_co_u32_e32 v6, vcc, v6, v7, vcc
	v_add_co_u32_e32 v5, vcc, -8, v5
	v_addc_co_u32_e32 v6, vcc, -1, v6, vcc
	v_mov_b32_e32 v7, 0
	v_mov_b32_e32 v9, 0
	v_cndmask_b32_e64 v6, v6, v4, s[2:3]
	v_cndmask_b32_e64 v5, v5, v3, s[2:3]
	v_mov_b32_e32 v8, 0
	v_mov_b32_e32 v10, 0
	v_cmp_gt_i32_e32 vcc, s18, v13
	s_and_saveexec_b64 s[10:11], vcc
	s_cbranch_execz .LBB100_10
; %bb.9:
	global_load_dwordx2 v[9:10], v[5:6], off
.LBB100_10:
	s_or_b64 exec, exec, s[10:11]
	s_movk_i32 s10, 0x108
	v_mad_u32_u24 v12, v13, s10, v20
	s_waitcnt vmcnt(0)
	ds_write_b64 v12, v[9:10]
	v_add_u32_e32 v9, 8, v13
	v_mul_u32_u24_e32 v11, 0x108, v13
	v_cmp_gt_i32_e32 vcc, s18, v9
	s_and_saveexec_b64 s[10:11], vcc
	s_cbranch_execz .LBB100_12
; %bb.11:
	s_lshl_b32 s12, s22, 3
	s_ashr_i32 s13, s12, 31
	s_lshl_b64 s[12:13], s[12:13], 3
	v_mov_b32_e32 v8, s13
	v_add_co_u32_e32 v7, vcc, s12, v5
	v_addc_co_u32_e32 v8, vcc, v6, v8, vcc
	global_load_dwordx2 v[7:8], v[7:8], off
.LBB100_12:
	s_or_b64 exec, exec, s[10:11]
	v_add_u32_e32 v11, v11, v20
	s_waitcnt vmcnt(0)
	ds_write_b64 v11, v[7:8] offset:2112
	v_add_u32_e32 v12, 16, v13
	v_mov_b32_e32 v7, 0
	v_mov_b32_e32 v9, 0
	;; [unrolled: 1-line block ×4, first 2 shown]
	v_cmp_gt_i32_e32 vcc, s18, v12
	s_and_saveexec_b64 s[10:11], vcc
	s_cbranch_execz .LBB100_14
; %bb.13:
	s_lshl_b32 s12, s22, 4
	s_ashr_i32 s13, s12, 31
	s_lshl_b64 s[12:13], s[12:13], 3
	v_mov_b32_e32 v10, s13
	v_add_co_u32_e32 v9, vcc, s12, v5
	v_addc_co_u32_e32 v10, vcc, v6, v10, vcc
	global_load_dwordx2 v[9:10], v[9:10], off
.LBB100_14:
	s_or_b64 exec, exec, s[10:11]
	s_waitcnt vmcnt(0)
	ds_write_b64 v11, v[9:10] offset:4224
	v_add_u32_e32 v9, 24, v13
	v_cmp_gt_i32_e32 vcc, s18, v9
	s_and_saveexec_b64 s[10:11], vcc
	s_cbranch_execz .LBB100_16
; %bb.15:
	s_mul_i32 s12, s22, 24
	s_ashr_i32 s13, s12, 31
	s_lshl_b64 s[12:13], s[12:13], 3
	v_mov_b32_e32 v8, s13
	v_add_co_u32_e32 v7, vcc, s12, v5
	v_addc_co_u32_e32 v8, vcc, v6, v8, vcc
	global_load_dwordx2 v[7:8], v[7:8], off
.LBB100_16:
	s_or_b64 exec, exec, s[10:11]
	v_add_co_u32_e32 v5, vcc, v5, v20
	v_addc_co_u32_e32 v6, vcc, 0, v6, vcc
	s_waitcnt vmcnt(0)
	ds_write_b64 v11, v[7:8] offset:6336
	v_mov_b32_e32 v7, s9
	v_subrev_co_u32_e32 v5, vcc, s8, v5
	v_subb_co_u32_e32 v6, vcc, v6, v7, vcc
	v_add_co_u32_e32 v5, vcc, 8, v5
	v_addc_co_u32_e32 v6, vcc, 0, v6, vcc
	v_cndmask_b32_e64 v6, v6, v4, s[2:3]
	v_cndmask_b32_e64 v5, v5, v3, s[2:3]
	s_branch .LBB100_19
.LBB100_17:
                                        ; implicit-def: $vgpr5_vgpr6
	s_cbranch_execz .LBB100_19
; %bb.18:
	s_lshl_b32 s2, s22, 3
	s_ashr_i32 s3, s2, 31
	s_lshl_b64 s[2:3], s[2:3], 3
	v_mov_b32_e32 v6, s3
	v_add_co_u32_e32 v5, vcc, s2, v3
	s_ashr_i32 s23, s22, 31
	v_addc_co_u32_e32 v6, vcc, v4, v6, vcc
	s_lshl_b64 s[2:3], s[22:23], 6
	v_mov_b32_e32 v10, s3
	v_add_co_u32_e32 v7, vcc, s2, v5
	v_addc_co_u32_e32 v8, vcc, v6, v10, vcc
	v_add_co_u32_e32 v9, vcc, s2, v7
	v_addc_co_u32_e32 v10, vcc, v8, v10, vcc
	global_load_dwordx2 v[11:12], v[3:4], off
	global_load_dwordx2 v[18:19], v[5:6], off
	;; [unrolled: 1-line block ×4, first 2 shown]
	v_mul_u32_u24_e32 v5, 0x108, v13
	v_lshl_add_u32 v5, v2, 3, v5
	s_waitcnt vmcnt(3)
	ds_write_b64 v5, v[11:12]
	s_waitcnt vmcnt(2)
	ds_write_b64 v5, v[18:19] offset:2112
	s_waitcnt vmcnt(1)
	ds_write_b64 v5, v[21:22] offset:4224
	;; [unrolled: 2-line block ×3, first 2 shown]
	v_mov_b32_e32 v6, v4
	v_mov_b32_e32 v5, v3
.LBB100_19:
	v_lshlrev_b32_e32 v18, 2, v13
	v_lshl_or_b32 v3, v2, 8, v20
	v_cmp_gt_u32_e64 s[16:17], v18, v2
	v_lshl_add_u32 v3, v18, 3, v3
	s_waitcnt lgkmcnt(0)
	s_barrier
	s_and_saveexec_b64 s[2:3], s[16:17]
	s_cbranch_execz .LBB100_21
; %bb.20:
	s_movk_i32 s8, 0x420
	v_mad_u32_u24 v4, v13, s8, v20
	ds_read_b64 v[7:8], v4
	s_waitcnt lgkmcnt(0)
	ds_write_b64 v3, v[7:8]
.LBB100_21:
	s_or_b64 exec, exec, s[2:3]
	v_or_b32_e32 v19, 1, v18
	v_cmp_ge_u32_e64 s[8:9], v18, v2
	s_and_saveexec_b64 s[2:3], s[8:9]
	s_cbranch_execz .LBB100_23
; %bb.22:
	s_movk_i32 s10, 0x108
	v_mad_u32_u24 v4, v19, s10, v20
	ds_read_b64 v[7:8], v4
	s_waitcnt lgkmcnt(0)
	ds_write_b64 v3, v[7:8] offset:8
.LBB100_23:
	s_or_b64 exec, exec, s[2:3]
	v_or_b32_e32 v4, 2, v18
	v_cmp_gt_u32_e64 s[10:11], v4, v2
	s_and_saveexec_b64 s[2:3], s[10:11]
	s_cbranch_execz .LBB100_25
; %bb.24:
	s_movk_i32 s12, 0x108
	v_mad_u32_u24 v4, v4, s12, v20
	ds_read_b64 v[7:8], v4
	s_waitcnt lgkmcnt(0)
	ds_write_b64 v3, v[7:8] offset:16
.LBB100_25:
	s_or_b64 exec, exec, s[2:3]
	v_or_b32_e32 v7, 3, v18
	v_cmp_gt_u32_e64 s[12:13], v7, v2
	v_cmp_le_u32_e32 vcc, v7, v2
                                        ; implicit-def: $vgpr4
	s_and_saveexec_b64 s[2:3], vcc
	s_xor_b64 s[2:3], exec, s[2:3]
; %bb.26:
	v_mul_u32_u24_e32 v4, 0x108, v7
                                        ; implicit-def: $vgpr7
                                        ; implicit-def: $vgpr3
; %bb.27:
	s_andn2_saveexec_b64 s[2:3], s[2:3]
	s_cbranch_execz .LBB100_29
; %bb.28:
	s_movk_i32 s14, 0x108
	v_mad_u32_u24 v4, v7, s14, v20
	ds_read_b64 v[8:9], v4
	v_mul_u32_u24_e32 v4, 0x108, v7
	s_waitcnt lgkmcnt(0)
	ds_write_b64 v3, v[8:9] offset:24
.LBB100_29:
	s_or_b64 exec, exec, s[2:3]
	s_movk_i32 s2, 0x420
	v_mad_u32_u24 v3, v13, s2, v20
	s_waitcnt lgkmcnt(0)
	s_barrier
	v_lshlrev_b32_e32 v23, 3, v18
	ds_read_b64 v[11:12], v3
	ds_read_b128 v[7:10], v23 offset:9088
	s_movk_i32 s2, 0x108
	v_mad_u32_u24 v3, v19, s2, v20
	ds_read2_b64 v[25:28], v3 offset1:33
	v_add_u32_e32 v21, v20, v4
	s_waitcnt lgkmcnt(1)
	v_fma_f64 v[7:8], v[11:12], v[7:8], 0
	v_mov_b32_e32 v59, 0
	v_mov_b32_e32 v60, 0
	v_cmp_gt_u32_e64 s[2:3], 32, v24
	ds_read_b64 v[3:4], v21
	s_waitcnt lgkmcnt(1)
	v_fma_f64 v[11:12], v[25:26], v[9:10], v[7:8]
	ds_read_b128 v[7:10], v23 offset:9104
	s_waitcnt lgkmcnt(0)
	s_barrier
	v_fma_f64 v[7:8], v[27:28], v[7:8], v[11:12]
	v_fma_f64 v[3:4], v[3:4], v[9:10], v[7:8]
	v_mul_u32_u24_e32 v7, 33, v2
	v_lshlrev_b32_e32 v25, 3, v7
	v_lshl_add_u32 v26, v13, 3, v25
	ds_write_b64 v26, v[3:4]
	s_waitcnt lgkmcnt(0)
	s_barrier
	s_and_saveexec_b64 s[14:15], s[2:3]
	s_cbranch_execz .LBB100_31
; %bb.30:
	ds_read2_b64 v[7:10], v25 offset1:1
	ds_read2_b64 v[27:30], v25 offset0:2 offset1:3
	s_waitcnt lgkmcnt(1)
	v_add_f64 v[3:4], v[7:8], v[9:10]
	s_waitcnt lgkmcnt(0)
	v_add_f64 v[3:4], v[3:4], v[27:28]
	v_add_f64 v[3:4], v[3:4], v[29:30]
	ds_read2_b64 v[7:10], v25 offset0:4 offset1:5
	ds_read2_b64 v[27:30], v25 offset0:6 offset1:7
	s_waitcnt lgkmcnt(1)
	v_add_f64 v[3:4], v[3:4], v[7:8]
	v_add_f64 v[3:4], v[3:4], v[9:10]
	s_waitcnt lgkmcnt(0)
	v_add_f64 v[3:4], v[3:4], v[27:28]
	v_add_f64 v[59:60], v[3:4], v[29:30]
.LBB100_31:
	s_or_b64 exec, exec, s[14:15]
	s_lshl_b32 s28, s22, 5
	s_ashr_i32 s29, s28, 31
	s_lshl_b64 s[26:27], s[28:29], 3
	v_mov_b32_e32 v3, s27
	v_add_co_u32_e32 v7, vcc, s26, v5
	v_addc_co_u32_e32 v8, vcc, v6, v3, vcc
	v_add_co_u32_e32 v5, vcc, 0x100, v7
	v_addc_co_u32_e32 v6, vcc, 0, v8, vcc
	s_and_b64 vcc, exec, s[30:31]
	s_barrier
	s_cbranch_vccz .LBB100_41
; %bb.32:
	v_sub_co_u32_e32 v4, vcc, v7, v20
	s_ashr_i32 s19, s18, 31
	v_subbrev_co_u32_e32 v9, vcc, 0, v8, vcc
	s_lshl_b64 s[34:35], s[18:19], 3
	v_mov_b32_e32 v10, s35
	v_add_co_u32_e32 v4, vcc, s34, v4
	v_or_b32_e32 v3, 32, v2
	v_addc_co_u32_e32 v9, vcc, v9, v10, vcc
	v_add_co_u32_e32 v10, vcc, -8, v4
	v_cmp_gt_i32_e64 s[14:15], s18, v3
	v_addc_co_u32_e32 v4, vcc, -1, v9, vcc
	v_cndmask_b32_e64 v3, v10, v5, s[14:15]
	s_sub_i32 s19, s18, 32
	v_mov_b32_e32 v9, 0
	v_mov_b32_e32 v11, 0
	v_cndmask_b32_e64 v4, v4, v6, s[14:15]
	v_mov_b32_e32 v10, 0
	v_mov_b32_e32 v12, 0
	v_cmp_gt_i32_e32 vcc, s19, v13
	s_and_saveexec_b64 s[36:37], vcc
	s_cbranch_execz .LBB100_34
; %bb.33:
	global_load_dwordx2 v[11:12], v[3:4], off
.LBB100_34:
	s_or_b64 exec, exec, s[36:37]
	s_movk_i32 s23, 0x108
	v_mad_u32_u24 v27, v13, s23, v20
	s_waitcnt vmcnt(0)
	ds_write_b64 v27, v[11:12]
	v_add_u32_e32 v11, 8, v13
	v_mul_u32_u24_e32 v22, 0x108, v13
	v_cmp_gt_i32_e32 vcc, s19, v11
	s_and_saveexec_b64 s[36:37], vcc
	s_cbranch_execz .LBB100_36
; %bb.35:
	s_lshl_b32 s42, s22, 3
	s_ashr_i32 s43, s42, 31
	s_lshl_b64 s[42:43], s[42:43], 3
	v_mov_b32_e32 v10, s43
	v_add_co_u32_e32 v9, vcc, s42, v3
	v_addc_co_u32_e32 v10, vcc, v4, v10, vcc
	global_load_dwordx2 v[9:10], v[9:10], off
.LBB100_36:
	s_or_b64 exec, exec, s[36:37]
	v_add_u32_e32 v22, v22, v20
	s_waitcnt vmcnt(0)
	ds_write_b64 v22, v[9:10] offset:2112
	v_add_u32_e32 v27, 16, v13
	v_mov_b32_e32 v9, 0
	v_mov_b32_e32 v11, 0
	;; [unrolled: 1-line block ×4, first 2 shown]
	v_cmp_gt_i32_e32 vcc, s19, v27
	s_and_saveexec_b64 s[36:37], vcc
	s_cbranch_execz .LBB100_38
; %bb.37:
	s_lshl_b32 s42, s22, 4
	s_ashr_i32 s43, s42, 31
	s_lshl_b64 s[42:43], s[42:43], 3
	v_mov_b32_e32 v12, s43
	v_add_co_u32_e32 v11, vcc, s42, v3
	v_addc_co_u32_e32 v12, vcc, v4, v12, vcc
	global_load_dwordx2 v[11:12], v[11:12], off
.LBB100_38:
	s_or_b64 exec, exec, s[36:37]
	s_waitcnt vmcnt(0)
	ds_write_b64 v22, v[11:12] offset:4224
	v_add_u32_e32 v11, 24, v13
	v_cmp_gt_i32_e32 vcc, s19, v11
	s_and_saveexec_b64 s[36:37], vcc
	s_cbranch_execz .LBB100_40
; %bb.39:
	s_mul_i32 s42, s22, 24
	s_ashr_i32 s43, s42, 31
	s_lshl_b64 s[42:43], s[42:43], 3
	v_mov_b32_e32 v10, s43
	v_add_co_u32_e32 v9, vcc, s42, v3
	v_addc_co_u32_e32 v10, vcc, v4, v10, vcc
	global_load_dwordx2 v[9:10], v[9:10], off
.LBB100_40:
	s_or_b64 exec, exec, s[36:37]
	v_add_co_u32_e32 v3, vcc, v3, v20
	v_addc_co_u32_e32 v4, vcc, 0, v4, vcc
	s_waitcnt vmcnt(0)
	ds_write_b64 v22, v[9:10] offset:6336
	v_mov_b32_e32 v9, s35
	v_subrev_co_u32_e32 v3, vcc, s34, v3
	v_subb_co_u32_e32 v4, vcc, v4, v9, vcc
	v_add_co_u32_e32 v3, vcc, 0x108, v3
	v_addc_co_u32_e32 v4, vcc, 0, v4, vcc
	v_cndmask_b32_e64 v4, v4, v6, s[14:15]
	v_cndmask_b32_e64 v3, v3, v5, s[14:15]
	v_mul_u32_u24_e32 v9, 0x420, v13
	s_branch .LBB100_43
.LBB100_41:
                                        ; implicit-def: $vgpr3_vgpr4
	v_mul_u32_u24_e32 v9, 0x420, v13
	s_cbranch_execz .LBB100_43
; %bb.42:
	s_lshl_b32 s14, s22, 3
	s_ashr_i32 s15, s14, 31
	s_lshl_b64 s[14:15], s[14:15], 3
	v_mov_b32_e32 v4, s15
	v_add_co_u32_e32 v3, vcc, s14, v7
	s_ashr_i32 s23, s22, 31
	v_addc_co_u32_e32 v4, vcc, v8, v4, vcc
	s_lshl_b64 s[14:15], s[22:23], 6
	v_mov_b32_e32 v12, s15
	v_add_co_u32_e32 v10, vcc, s14, v3
	v_addc_co_u32_e32 v11, vcc, v4, v12, vcc
	v_add_co_u32_e32 v27, vcc, s14, v10
	v_addc_co_u32_e32 v28, vcc, v11, v12, vcc
	global_load_dwordx2 v[29:30], v[7:8], off offset:256
	global_load_dwordx2 v[31:32], v[3:4], off offset:256
	;; [unrolled: 1-line block ×4, first 2 shown]
	s_movk_i32 s14, 0x108
	v_mad_u32_u24 v3, v13, s14, v20
	s_waitcnt vmcnt(3)
	ds_write_b64 v3, v[29:30]
	s_waitcnt vmcnt(2)
	ds_write_b64 v3, v[31:32] offset:2112
	s_waitcnt vmcnt(1)
	ds_write_b64 v3, v[33:34] offset:4224
	;; [unrolled: 2-line block ×3, first 2 shown]
	v_mov_b32_e32 v3, v5
	v_mov_b32_e32 v4, v6
.LBB100_43:
	v_mul_u32_u24_e32 v6, 0x108, v19
	v_add_u32_e32 v22, v20, v9
	v_lshl_add_u32 v5, v18, 3, v25
	s_waitcnt lgkmcnt(0)
	s_barrier
	s_and_saveexec_b64 s[14:15], s[16:17]
	s_cbranch_execnz .LBB100_60
; %bb.44:
	s_or_b64 exec, exec, s[14:15]
	v_add_u32_e32 v27, v20, v6
	s_and_saveexec_b64 s[14:15], s[8:9]
	s_cbranch_execnz .LBB100_61
.LBB100_45:
	s_or_b64 exec, exec, s[14:15]
	s_and_saveexec_b64 s[8:9], s[10:11]
	s_cbranch_execnz .LBB100_62
.LBB100_46:
	s_or_b64 exec, exec, s[8:9]
	v_add_u32_e32 v28, 0x2380, v23
	s_and_saveexec_b64 s[8:9], s[12:13]
	s_cbranch_execz .LBB100_48
.LBB100_47:
	ds_read_b64 v[6:7], v21
	s_waitcnt lgkmcnt(0)
	ds_write_b64 v5, v[6:7] offset:24
.LBB100_48:
	s_or_b64 exec, exec, s[8:9]
	s_waitcnt lgkmcnt(0)
	s_barrier
	ds_read_b64 v[18:19], v22
	ds_read_b128 v[5:8], v28 offset:256
	ds_read_b128 v[9:12], v28 offset:272
	ds_read_b64 v[33:34], v21
	ds_read2_b64 v[29:32], v27 offset1:33
	v_cmp_eq_u32_e64 s[8:9], 1, v13
	s_waitcnt lgkmcnt(3)
	v_fma_f64 v[5:6], v[18:19], v[5:6], 0
	s_waitcnt lgkmcnt(0)
	s_barrier
	v_fma_f64 v[5:6], v[29:30], v[7:8], v[5:6]
	v_fma_f64 v[5:6], v[31:32], v[9:10], v[5:6]
	;; [unrolled: 1-line block ×3, first 2 shown]
	ds_write_b64 v26, v[5:6]
	s_waitcnt lgkmcnt(0)
	s_barrier
	s_and_saveexec_b64 s[10:11], s[8:9]
	s_cbranch_execz .LBB100_50
; %bb.49:
	ds_read2_b64 v[5:8], v25 offset1:1
	ds_read2_b64 v[9:12], v25 offset0:2 offset1:3
	s_waitcnt lgkmcnt(1)
	v_add_f64 v[5:6], v[5:6], v[7:8]
	s_waitcnt lgkmcnt(0)
	v_add_f64 v[5:6], v[5:6], v[9:10]
	v_add_f64 v[18:19], v[5:6], v[11:12]
	ds_read2_b64 v[5:8], v25 offset0:4 offset1:5
	ds_read2_b64 v[9:12], v25 offset0:6 offset1:7
	s_waitcnt lgkmcnt(1)
	v_add_f64 v[5:6], v[18:19], v[5:6]
	v_add_f64 v[5:6], v[5:6], v[7:8]
	s_waitcnt lgkmcnt(0)
	v_add_f64 v[5:6], v[5:6], v[9:10]
	v_add_f64 v[59:60], v[5:6], v[11:12]
.LBB100_50:
	s_or_b64 exec, exec, s[10:11]
	v_add_co_u32_e32 v5, vcc, 0xffffff00, v3
	v_addc_co_u32_e32 v6, vcc, -1, v4, vcc
	s_and_b64 vcc, exec, s[30:31]
	s_barrier
	s_cbranch_vccz .LBB100_63
; %bb.51:
	v_sub_co_u32_e32 v7, vcc, v3, v20
	s_ashr_i32 s19, s18, 31
	v_subbrev_co_u32_e32 v8, vcc, 0, v4, vcc
	s_lshl_b64 s[12:13], s[18:19], 3
	v_mov_b32_e32 v9, s13
	v_add_co_u32_e32 v7, vcc, s12, v7
	v_addc_co_u32_e32 v8, vcc, v8, v9, vcc
	v_add_co_u32_e32 v7, vcc, 0xfffffef8, v7
	v_addc_co_u32_e32 v8, vcc, -1, v8, vcc
	v_cmp_gt_i32_e32 vcc, s18, v2
	s_sub_i32 s16, s18, 32
	v_mov_b32_e32 v9, 0
	v_mov_b32_e32 v11, 0
	v_cndmask_b32_e32 v8, v8, v6, vcc
	v_cndmask_b32_e32 v7, v7, v5, vcc
	v_mov_b32_e32 v10, 0
	v_mov_b32_e32 v12, 0
	v_cmp_gt_i32_e64 s[10:11], s16, v13
	s_and_saveexec_b64 s[14:15], s[10:11]
	s_cbranch_execz .LBB100_53
; %bb.52:
	global_load_dwordx2 v[11:12], v[7:8], off
.LBB100_53:
	s_or_b64 exec, exec, s[14:15]
	s_movk_i32 s10, 0x108
	v_mad_u32_u24 v2, v13, s10, v20
	s_waitcnt vmcnt(0)
	ds_write_b64 v2, v[11:12]
	v_add_u32_e32 v2, 8, v13
	v_mul_u32_u24_e32 v18, 0x108, v13
	v_cmp_gt_i32_e64 s[10:11], s16, v2
	s_and_saveexec_b64 s[14:15], s[10:11]
	s_cbranch_execz .LBB100_55
; %bb.54:
	s_lshl_b32 s10, s22, 3
	s_ashr_i32 s11, s10, 31
	s_lshl_b64 s[10:11], s[10:11], 3
	v_mov_b32_e32 v10, s11
	v_add_co_u32_e64 v9, s[10:11], s10, v7
	v_addc_co_u32_e64 v10, s[10:11], v8, v10, s[10:11]
	global_load_dwordx2 v[9:10], v[9:10], off
.LBB100_55:
	s_or_b64 exec, exec, s[14:15]
	v_add_u32_e32 v18, v18, v20
	s_waitcnt vmcnt(0)
	ds_write_b64 v18, v[9:10] offset:2112
	v_add_u32_e32 v23, 16, v13
	v_mov_b32_e32 v9, 0
	v_mov_b32_e32 v11, 0
	;; [unrolled: 1-line block ×4, first 2 shown]
	v_cmp_gt_i32_e64 s[10:11], s16, v23
	s_and_saveexec_b64 s[14:15], s[10:11]
	s_cbranch_execz .LBB100_57
; %bb.56:
	s_lshl_b32 s10, s22, 4
	s_ashr_i32 s11, s10, 31
	s_lshl_b64 s[10:11], s[10:11], 3
	v_mov_b32_e32 v12, s11
	v_add_co_u32_e64 v11, s[10:11], s10, v7
	v_addc_co_u32_e64 v12, s[10:11], v8, v12, s[10:11]
	global_load_dwordx2 v[11:12], v[11:12], off
.LBB100_57:
	s_or_b64 exec, exec, s[14:15]
	s_waitcnt vmcnt(0)
	ds_write_b64 v18, v[11:12] offset:4224
	v_add_u32_e32 v11, 24, v13
	v_cmp_gt_i32_e64 s[10:11], s16, v11
	s_and_saveexec_b64 s[14:15], s[10:11]
	s_cbranch_execz .LBB100_59
; %bb.58:
	s_mul_i32 s10, s22, 24
	s_ashr_i32 s11, s10, 31
	s_lshl_b64 s[10:11], s[10:11], 3
	v_mov_b32_e32 v10, s11
	v_add_co_u32_e64 v9, s[10:11], s10, v7
	v_addc_co_u32_e64 v10, s[10:11], v8, v10, s[10:11]
	global_load_dwordx2 v[9:10], v[9:10], off
.LBB100_59:
	s_or_b64 exec, exec, s[14:15]
	v_add_co_u32_e64 v7, s[10:11], v7, v20
	v_addc_co_u32_e64 v8, s[10:11], 0, v8, s[10:11]
	s_waitcnt vmcnt(0)
	ds_write_b64 v18, v[9:10] offset:6336
	v_mov_b32_e32 v9, s13
	v_subrev_co_u32_e64 v7, s[10:11], s12, v7
	v_subb_co_u32_e64 v8, s[10:11], v8, v9, s[10:11]
	v_add_co_u32_e64 v7, s[10:11], 8, v7
	v_addc_co_u32_e64 v8, s[10:11], 0, v8, s[10:11]
	v_cndmask_b32_e32 v19, v8, v6, vcc
	v_cndmask_b32_e32 v18, v7, v5, vcc
	s_branch .LBB100_65
.LBB100_60:
	ds_read_b64 v[7:8], v22
	s_waitcnt lgkmcnt(0)
	ds_write_b64 v5, v[7:8]
	s_or_b64 exec, exec, s[14:15]
	v_add_u32_e32 v27, v20, v6
	s_and_saveexec_b64 s[14:15], s[8:9]
	s_cbranch_execz .LBB100_45
.LBB100_61:
	ds_read_b64 v[6:7], v27
	s_waitcnt lgkmcnt(0)
	ds_write_b64 v5, v[6:7] offset:8
	s_or_b64 exec, exec, s[14:15]
	s_and_saveexec_b64 s[8:9], s[10:11]
	s_cbranch_execz .LBB100_46
.LBB100_62:
	ds_read_b64 v[6:7], v27 offset:264
	s_waitcnt lgkmcnt(0)
	ds_write_b64 v5, v[6:7] offset:16
	s_or_b64 exec, exec, s[8:9]
	v_add_u32_e32 v28, 0x2380, v23
	s_and_saveexec_b64 s[8:9], s[12:13]
	s_cbranch_execnz .LBB100_47
	s_branch .LBB100_48
.LBB100_63:
                                        ; implicit-def: $vgpr18_vgpr19
                                        ; implicit-def: $vgpr2
                                        ; implicit-def: $vgpr23
                                        ; implicit-def: $vgpr11
	s_cbranch_execz .LBB100_65
; %bb.64:
	s_lshl_b32 s10, s22, 3
	s_ashr_i32 s11, s10, 31
	s_lshl_b64 s[10:11], s[10:11], 3
	v_mov_b32_e32 v2, s11
	v_add_co_u32_e32 v7, vcc, s10, v3
	s_ashr_i32 s23, s22, 31
	v_addc_co_u32_e32 v8, vcc, v4, v2, vcc
	s_lshl_b64 s[10:11], s[22:23], 6
	v_mov_b32_e32 v2, s11
	v_add_co_u32_e32 v9, vcc, s10, v7
	v_addc_co_u32_e32 v10, vcc, v8, v2, vcc
	v_add_co_u32_e32 v11, vcc, s10, v9
	v_addc_co_u32_e32 v12, vcc, v10, v2, vcc
	global_load_dwordx2 v[18:19], v[3:4], off offset:-256
	global_load_dwordx2 v[29:30], v[7:8], off offset:-256
	;; [unrolled: 1-line block ×4, first 2 shown]
	s_movk_i32 s10, 0x108
	v_mad_u32_u24 v3, v13, s10, v20
	v_add_u32_e32 v2, 8, v13
	v_add_u32_e32 v23, 16, v13
	;; [unrolled: 1-line block ×3, first 2 shown]
	s_waitcnt vmcnt(3)
	ds_write_b64 v3, v[18:19]
	s_waitcnt vmcnt(2)
	ds_write_b64 v3, v[29:30] offset:2112
	s_waitcnt vmcnt(1)
	ds_write_b64 v3, v[31:32] offset:4224
	;; [unrolled: 2-line block ×3, first 2 shown]
	v_mov_b32_e32 v19, v6
	v_mov_b32_e32 v18, v5
.LBB100_65:
	v_lshlrev_b32_e32 v6, 3, v13
	v_add_u32_e32 v3, v25, v6
	s_waitcnt lgkmcnt(0)
	s_barrier
	v_lshlrev_b32_e32 v8, 3, v2
	ds_read_b64 v[2:3], v3
	ds_read_b64 v[4:5], v8 offset:9088
	ds_read_b64 v[6:7], v6 offset:9088
	ds_read_b64 v[20:21], v21
	v_lshlrev_b32_e32 v12, 3, v23
	v_lshlrev_b32_e32 v13, 3, v11
	s_waitcnt lgkmcnt(1)
	v_fma_f64 v[2:3], v[2:3], v[6:7], 0
	v_add_u32_e32 v6, v25, v8
	ds_read_b64 v[6:7], v6
	ds_read_b64 v[8:9], v13 offset:9088
	ds_read_b64 v[10:11], v12 offset:9088
	s_waitcnt lgkmcnt(2)
	v_fma_f64 v[2:3], v[6:7], v[4:5], v[2:3]
	v_add_u32_e32 v4, v25, v12
	ds_read_b64 v[4:5], v4
	s_waitcnt lgkmcnt(0)
	v_fma_f64 v[2:3], v[4:5], v[10:11], v[2:3]
	v_add_u32_e32 v4, v25, v13
	ds_read_b64 v[4:5], v4
	ds_read_b64 v[22:23], v22
	s_waitcnt lgkmcnt(1)
	v_fma_f64 v[29:30], v[4:5], v[8:9], v[2:3]
	ds_read_b128 v[10:13], v28 offset:256
	ds_read_b128 v[2:5], v28 offset:272
	ds_read2_b64 v[6:9], v27 offset1:33
	s_waitcnt lgkmcnt(0)
	s_barrier
	ds_write_b64 v26, v[29:30]
	s_waitcnt lgkmcnt(0)
	s_barrier
	s_and_saveexec_b64 s[10:11], s[8:9]
	s_cbranch_execz .LBB100_67
; %bb.66:
	ds_read2_b64 v[27:30], v25 offset1:1
	ds_read2_b64 v[31:34], v25 offset0:2 offset1:3
	s_waitcnt lgkmcnt(1)
	v_add_f64 v[27:28], v[59:60], v[27:28]
	v_add_f64 v[27:28], v[27:28], v[29:30]
	s_waitcnt lgkmcnt(0)
	v_add_f64 v[27:28], v[27:28], v[31:32]
	v_add_f64 v[35:36], v[27:28], v[33:34]
	ds_read2_b64 v[27:30], v25 offset0:4 offset1:5
	ds_read2_b64 v[31:34], v25 offset0:6 offset1:7
	s_waitcnt lgkmcnt(1)
	v_add_f64 v[27:28], v[35:36], v[27:28]
	v_add_f64 v[27:28], v[27:28], v[29:30]
	s_waitcnt lgkmcnt(0)
	v_add_f64 v[27:28], v[27:28], v[31:32]
	v_add_f64 v[59:60], v[27:28], v[33:34]
.LBB100_67:
	s_or_b64 exec, exec, s[10:11]
	v_fma_f64 v[10:11], v[22:23], v[10:11], 0
	s_barrier
	v_fma_f64 v[6:7], v[6:7], v[12:13], v[10:11]
	v_fma_f64 v[2:3], v[8:9], v[2:3], v[6:7]
	;; [unrolled: 1-line block ×3, first 2 shown]
	ds_write_b64 v26, v[2:3]
	s_waitcnt lgkmcnt(0)
	s_barrier
	s_and_saveexec_b64 s[8:9], s[2:3]
	s_cbranch_execz .LBB100_69
; %bb.68:
	ds_read2_b64 v[2:5], v25 offset1:1
	ds_read2_b64 v[6:9], v25 offset0:2 offset1:3
	s_waitcnt lgkmcnt(1)
	v_add_f64 v[2:3], v[59:60], v[2:3]
	v_add_f64 v[2:3], v[2:3], v[4:5]
	s_waitcnt lgkmcnt(0)
	v_add_f64 v[2:3], v[2:3], v[6:7]
	v_add_f64 v[10:11], v[2:3], v[8:9]
	ds_read2_b64 v[2:5], v25 offset0:4 offset1:5
	ds_read2_b64 v[6:9], v25 offset0:6 offset1:7
	s_waitcnt lgkmcnt(1)
	v_add_f64 v[2:3], v[10:11], v[2:3]
	v_add_f64 v[2:3], v[2:3], v[4:5]
	s_waitcnt lgkmcnt(0)
	v_add_f64 v[2:3], v[2:3], v[6:7]
	v_add_f64 v[59:60], v[2:3], v[8:9]
.LBB100_69:
	s_or_b64 exec, exec, s[8:9]
	s_load_dwordx2 s[2:3], s[4:5], 0x68
	s_mul_hi_u32 s4, s40, s7
	s_mul_i32 s41, s41, s7
	s_add_i32 s4, s4, s41
	s_mul_i32 s7, s40, s7
	s_mul_i32 s4, s4, s33
	s_mul_hi_u32 s5, s7, s33
	s_add_i32 s5, s5, s4
	s_mul_i32 s4, s7, s33
	s_lshl_b64 s[4:5], s[4:5], 3
	s_waitcnt lgkmcnt(0)
	s_add_u32 s4, s2, s4
	s_addc_u32 s5, s3, s5
	s_mul_hi_i32 s3, s40, s6
	s_mul_i32 s2, s40, s6
	s_lshl_b64 s[2:3], s[2:3], 3
	s_add_u32 s7, s4, s2
	s_addc_u32 s19, s5, s3
	s_add_i32 s4, s6, 1
	s_cmp_ge_u32 s4, s33
	v_lshlrev_b32_e32 v95, 3, v0
	s_barrier
	s_cbranch_scc1 .LBB100_126
; %bb.70:
	s_mul_i32 s2, s39, s24
	s_ashr_i32 s3, s2, 31
	s_lshl_b64 s[2:3], s[2:3], 3
	v_lshlrev_b32_e32 v96, 2, v1
	v_subrev_co_u32_e32 v97, vcc, s2, v16
	s_lshl_b32 s2, s22, 4
	v_mov_b32_e32 v4, s3
	v_mad_u64_u32 v[2:3], s[8:9], s22, v96, v[0:1]
	s_lshl_b32 s25, s39, 6
	s_ashr_i32 s3, s2, 31
	s_ashr_i32 s23, s22, 31
	s_lshl_b32 s14, s22, 1
	s_mul_i32 s16, s22, 3
	s_mul_i32 s39, s39, s4
	s_add_i32 s24, s33, -2
	s_ashr_i32 s15, s14, 31
	s_ashr_i32 s17, s16, 31
	s_lshl_b64 s[12:13], s[22:23], 3
	s_lshl_b32 s8, s39, 6
	s_lshl_b64 s[10:11], s[2:3], 5
	s_lshl_b64 s[4:5], s[22:23], 4
	s_add_u32 s9, s4, s26
	s_addc_u32 s30, s5, s27
	s_add_u32 s37, s12, s26
	s_addc_u32 s39, s13, s27
	s_lshl_b64 s[14:15], s[14:15], 3
	s_add_u32 s40, s26, s14
	s_addc_u32 s41, s27, s15
	s_lshl_b64 s[16:17], s[16:17], 3
	;; [unrolled: 3-line block ×3, first 2 shown]
	s_add_u32 s44, s26, s34
	s_addc_u32 s45, s27, s35
	s_add_u32 s46, s37, s34
	s_addc_u32 s47, s39, s35
	s_add_u32 s48, s44, s14
	v_subb_co_u32_e32 v98, vcc, v17, v4, vcc
	s_addc_u32 s49, s45, s15
	v_ashrrev_i32_e32 v3, 31, v2
	v_mov_b32_e32 v5, s29
	v_add_co_u32_e32 v4, vcc, s28, v2
	s_add_u32 s50, s44, s16
	v_addc_co_u32_e32 v5, vcc, v5, v3, vcc
	s_addc_u32 s51, s45, s17
	v_lshlrev_b64 v[4:5], 3, v[4:5]
	s_add_u32 s34, s9, s34
	s_mul_hi_i32 s31, s22, 24
	s_mul_i32 s36, s22, 24
	s_addc_u32 s35, s30, s35
	v_mov_b32_e32 v6, s31
	v_add_co_u32_e32 v8, vcc, s36, v4
	s_add_u32 s28, s28, s2
	v_addc_co_u32_e32 v9, vcc, v6, v5, vcc
	s_addc_u32 s29, s29, s3
	v_mov_b32_e32 v7, s29
	v_add_co_u32_e32 v6, vcc, s28, v2
	s_lshl_b64 s[28:29], s[2:3], 4
	s_add_u32 s52, s28, s26
	s_addc_u32 s53, s29, s27
	s_add_u32 s54, s52, s12
	s_addc_u32 s55, s53, s13
	;; [unrolled: 2-line block ×3, first 2 shown]
	s_add_u32 s58, s52, s16
	v_addc_co_u32_e32 v7, vcc, v7, v3, vcc
	s_addc_u32 s59, s53, s17
	v_lshlrev_b64 v[6:7], 3, v[6:7]
	s_add_u32 s60, s9, s28
	s_addc_u32 s61, s30, s29
	v_mov_b32_e32 v10, s31
	v_add_co_u32_e32 v11, vcc, s36, v6
	s_add_u32 s28, s36, s28
	v_addc_co_u32_e32 v10, vcc, v10, v7, vcc
	s_addc_u32 s29, s31, s29
	v_mov_b32_e32 v6, s29
	v_add_co_u32_e32 v12, vcc, s28, v4
	v_addc_co_u32_e32 v13, vcc, v6, v5, vcc
	v_mad_i64_i32 v[6:7], s[28:29], s2, 24, v[4:5]
	v_mov_b32_e32 v16, s13
	s_mul_i32 s28, s22, 0x180
	v_add_co_u32_e32 v99, vcc, v18, v6
	v_addc_co_u32_e32 v100, vcc, v19, v7, vcc
	v_add_co_u32_e32 v17, vcc, s12, v6
	v_addc_co_u32_e32 v16, vcc, v7, v16, vcc
	s_mul_hi_i32 s29, s2, 24
	v_mov_b32_e32 v20, s15
	v_add_co_u32_e32 v21, vcc, s14, v6
	s_add_u32 s12, s28, s4
	v_addc_co_u32_e32 v20, vcc, v7, v20, vcc
	s_addc_u32 s4, s29, s5
	v_mov_b32_e32 v22, s17
	v_add_co_u32_e32 v23, vcc, s16, v6
	s_add_u32 s2, s22, s2
	v_addc_co_u32_e32 v22, vcc, v7, v22, vcc
	v_mov_b32_e32 v25, s4
	v_mad_u64_u32 v[6:7], s[4:5], s2, 24, v[4:5]
	v_add_co_u32_e32 v26, vcc, s12, v4
	s_addc_u32 s2, s23, s3
	v_mov_b32_e32 v4, v7
	v_addc_co_u32_e32 v25, vcc, v25, v5, vcc
	v_mad_u64_u32 v[4:5], s[2:3], s2, 24, v[4:5]
	v_add_co_u32_e32 v101, vcc, v18, v6
	v_addc_co_u32_e32 v102, vcc, v19, v4, vcc
	v_mov_b32_e32 v5, s27
	v_add_co_u32_e32 v103, vcc, s26, v18
	v_addc_co_u32_e32 v104, vcc, v19, v5, vcc
	v_mov_b32_e32 v4, s30
	v_add_co_u32_e32 v105, vcc, s9, v18
	v_addc_co_u32_e32 v106, vcc, v19, v4, vcc
	v_add_co_u32_e32 v107, vcc, v18, v8
	v_addc_co_u32_e32 v108, vcc, v19, v9, vcc
	v_mov_b32_e32 v4, s39
	v_add_co_u32_e32 v109, vcc, s37, v18
	v_addc_co_u32_e32 v110, vcc, v19, v4, vcc
	v_mov_b32_e32 v4, s41
	;; [unrolled: 3-line block ×8, first 2 shown]
	v_add_co_u32_e32 v123, vcc, s34, v18
	v_addc_co_u32_e32 v124, vcc, v19, v4, vcc
	v_add_co_u32_e32 v125, vcc, v18, v11
	v_addc_co_u32_e32 v126, vcc, v19, v10, vcc
	v_mov_b32_e32 v4, s53
	v_add_co_u32_e32 v127, vcc, s52, v18
	v_addc_co_u32_e32 v128, vcc, v19, v4, vcc
	v_mov_b32_e32 v4, s55
	v_add_co_u32_e32 v129, vcc, s54, v18
	v_addc_co_u32_e32 v130, vcc, v19, v4, vcc
	v_mov_b32_e32 v4, s57
	v_add_co_u32_e32 v131, vcc, s56, v18
	v_addc_co_u32_e32 v132, vcc, v19, v4, vcc
	v_mov_b32_e32 v4, s59
	v_add_co_u32_e32 v133, vcc, s58, v18
	v_addc_co_u32_e32 v134, vcc, v19, v4, vcc
	v_mov_b32_e32 v4, s61
	v_add_co_u32_e32 v135, vcc, s60, v18
	v_addc_co_u32_e32 v136, vcc, v19, v4, vcc
	v_add_co_u32_e32 v137, vcc, v18, v12
	v_addc_co_u32_e32 v138, vcc, v19, v13, vcc
	;; [unrolled: 2-line block ×5, first 2 shown]
	v_lshrrev_b32_e32 v4, 4, v24
	v_add_co_u32_e32 v145, vcc, v18, v26
	s_movk_i32 s4, 0x218
	v_and_b32_e32 v5, 15, v0
	v_lshlrev_b32_e32 v6, 5, v4
	v_lshlrev_b64 v[2:3], 3, v[2:3]
	v_addc_co_u32_e32 v146, vcc, v19, v25, vcc
	v_mad_u32_u24 v147, v5, s4, v6
	v_and_b32_e32 v6, 48, v0
	v_lshlrev_b32_e32 v6, 3, v6
	v_sub_co_u32_e32 v150, vcc, v2, v14
	v_mad_u32_u24 v148, v5, s4, v6
	v_or_b32_e32 v6, 0x78, v95
	v_subb_co_u32_e32 v151, vcc, v3, v15, vcc
	v_mov_b32_e32 v2, 0x2180
	v_mad_u32_u24 v149, v5, s4, v6
	v_sub_co_u32_e32 v152, vcc, 0, v14
	v_lshl_add_u32 v154, v1, 5, v2
	s_movk_i32 s4, 0x860
	v_mul_i32_i24_e32 v2, 0xffffffe8, v4
	v_cmp_gt_u32_e64 s[2:3], 64, v24
	v_subb_co_u32_e32 v153, vcc, 0, v15, vcc
	v_add_u32_e32 v155, v147, v2
	v_add_u32_e32 v156, 0x2180, v95
	;; [unrolled: 1-line block ×3, first 2 shown]
	v_mad_u32_u24 v158, v1, s4, v95
	v_or_b32_e32 v159, 1, v96
	v_or_b32_e32 v160, 2, v96
	;; [unrolled: 1-line block ×3, first 2 shown]
	v_add_u32_e32 v162, 16, v96
	v_add_u32_e32 v163, 17, v96
	;; [unrolled: 1-line block ×13, first 2 shown]
	s_cmp_eq_u32 s24, s6
	s_cselect_b32 s16, s38, 0
	s_and_saveexec_b64 s[4:5], s[0:1]
	s_cbranch_execz .LBB100_74
.LBB100_71:
	s_cmp_eq_u32 s16, 0
	s_cselect_b64 s[12:13], -1, 0
	v_cmp_gt_i32_e32 vcc, s16, v0
	v_mov_b32_e32 v2, 0
	v_mov_b32_e32 v3, 0
	s_or_b64 s[14:15], s[12:13], vcc
	s_and_saveexec_b64 s[12:13], s[14:15]
	s_cbranch_execz .LBB100_73
; %bb.72:
	s_ashr_i32 s9, s8, 31
	s_lshl_b64 s[14:15], s[8:9], 3
	v_mov_b32_e32 v3, s15
	v_add_co_u32_e32 v2, vcc, s14, v97
	v_addc_co_u32_e32 v3, vcc, v98, v3, vcc
	global_load_dwordx2 v[2:3], v[2:3], off
.LBB100_73:
	s_or_b64 exec, exec, s[12:13]
	s_waitcnt vmcnt(0)
	ds_write_b64 v156, v[2:3]
.LBB100_74:                             ; =>This Inner Loop Header: Depth=1
	s_or_b64 exec, exec, s[4:5]
	s_cmp_eq_u32 s16, 0
	v_add_co_u32_e32 v2, vcc, v103, v150
	s_cselect_b64 s[12:13], -1, 0
	s_cmp_lg_u32 s16, 0
	v_addc_co_u32_e32 v3, vcc, v104, v151, vcc
	s_cselect_b64 s[14:15], -1, 0
	s_mov_b64 s[4:5], -1
	s_and_b64 vcc, exec, s[14:15]
	s_waitcnt lgkmcnt(0)
	s_barrier
                                        ; implicit-def: $vgpr67_vgpr68
                                        ; implicit-def: $vgpr69_vgpr70
                                        ; implicit-def: $vgpr65_vgpr66
                                        ; implicit-def: $vgpr63_vgpr64
	s_cbranch_vccz .LBB100_84
; %bb.75:                               ;   in Loop: Header=BB100_74 Depth=1
	v_mov_b32_e32 v65, 0
	v_mov_b32_e32 v63, 0
	;; [unrolled: 1-line block ×4, first 2 shown]
	v_cmp_gt_i32_e32 vcc, s16, v96
	s_and_saveexec_b64 s[4:5], vcc
	s_cbranch_execz .LBB100_77
; %bb.76:                               ;   in Loop: Header=BB100_74 Depth=1
	global_load_dwordx2 v[63:64], v[2:3], off
.LBB100_77:                             ;   in Loop: Header=BB100_74 Depth=1
	s_or_b64 exec, exec, s[4:5]
	v_cmp_gt_i32_e32 vcc, s16, v159
	s_and_saveexec_b64 s[4:5], vcc
	s_cbranch_execz .LBB100_79
; %bb.78:                               ;   in Loop: Header=BB100_74 Depth=1
	v_add_co_u32_e32 v4, vcc, v109, v150
	v_addc_co_u32_e32 v5, vcc, v110, v151, vcc
	global_load_dwordx2 v[65:66], v[4:5], off
.LBB100_79:                             ;   in Loop: Header=BB100_74 Depth=1
	s_or_b64 exec, exec, s[4:5]
	v_mov_b32_e32 v67, 0
	v_mov_b32_e32 v69, 0
	;; [unrolled: 1-line block ×4, first 2 shown]
	v_cmp_gt_i32_e32 vcc, s16, v160
	s_and_saveexec_b64 s[4:5], vcc
	s_cbranch_execz .LBB100_81
; %bb.80:                               ;   in Loop: Header=BB100_74 Depth=1
	v_add_co_u32_e32 v4, vcc, v111, v150
	v_addc_co_u32_e32 v5, vcc, v112, v151, vcc
	global_load_dwordx2 v[69:70], v[4:5], off
.LBB100_81:                             ;   in Loop: Header=BB100_74 Depth=1
	s_or_b64 exec, exec, s[4:5]
	v_cmp_gt_i32_e32 vcc, s16, v161
	s_and_saveexec_b64 s[4:5], vcc
	s_cbranch_execz .LBB100_83
; %bb.82:                               ;   in Loop: Header=BB100_74 Depth=1
	v_add_co_u32_e32 v4, vcc, v113, v150
	v_addc_co_u32_e32 v5, vcc, v114, v151, vcc
	global_load_dwordx2 v[67:68], v[4:5], off
.LBB100_83:                             ;   in Loop: Header=BB100_74 Depth=1
	s_or_b64 exec, exec, s[4:5]
	s_mov_b64 s[4:5], 0
.LBB100_84:                             ;   in Loop: Header=BB100_74 Depth=1
	s_and_b64 vcc, exec, s[4:5]
	s_cbranch_vccz .LBB100_86
; %bb.85:                               ;   in Loop: Header=BB100_74 Depth=1
	global_load_dwordx2 v[63:64], v[2:3], off
	v_add_co_u32_e32 v2, vcc, v109, v150
	v_addc_co_u32_e32 v3, vcc, v110, v151, vcc
	global_load_dwordx2 v[65:66], v[2:3], off
	v_add_co_u32_e32 v2, vcc, v105, v150
	v_addc_co_u32_e32 v3, vcc, v106, v151, vcc
	;; [unrolled: 3-line block ×3, first 2 shown]
	global_load_dwordx2 v[67:68], v[2:3], off
.LBB100_86:                             ;   in Loop: Header=BB100_74 Depth=1
	ds_read_b64 v[2:3], v157
                                        ; implicit-def: $vgpr75_vgpr76
                                        ; implicit-def: $vgpr77_vgpr78
                                        ; implicit-def: $vgpr73_vgpr74
                                        ; implicit-def: $vgpr71_vgpr72
	s_waitcnt vmcnt(0) lgkmcnt(0)
	v_mul_f64 v[10:11], v[63:64], v[2:3]
	v_mul_f64 v[12:13], v[65:66], v[2:3]
	;; [unrolled: 1-line block ×4, first 2 shown]
	ds_read_b128 v[6:9], v154
	ds_read_b128 v[2:5], v154 offset:16
	ds_write2_b64 v158, v[10:11], v[12:13] offset1:67
	ds_write2_b64 v158, v[14:15], v[16:17] offset0:134 offset1:201
	s_waitcnt lgkmcnt(0)
	s_barrier
	ds_read2_b64 v[22:25], v147 offset1:1
	ds_read2_b64 v[18:21], v147 offset0:2 offset1:3
	v_add_co_u32_e32 v10, vcc, v115, v150
	v_addc_co_u32_e32 v11, vcc, v116, v151, vcc
	v_cndmask_b32_e64 v12, 0, 1, s[14:15]
	v_cmp_ne_u32_e64 s[4:5], 1, v12
	s_andn2_b64 vcc, exec, s[14:15]
	s_mov_b64 s[14:15], -1
	s_waitcnt lgkmcnt(0)
	s_barrier
	s_cbranch_vccnz .LBB100_96
; %bb.87:                               ;   in Loop: Header=BB100_74 Depth=1
	v_mov_b32_e32 v73, 0
	v_mov_b32_e32 v71, 0
	v_mov_b32_e32 v74, 0
	v_mov_b32_e32 v72, 0
	v_cmp_gt_i32_e32 vcc, s16, v162
	s_and_saveexec_b64 s[14:15], vcc
	s_cbranch_execz .LBB100_89
; %bb.88:                               ;   in Loop: Header=BB100_74 Depth=1
	global_load_dwordx2 v[71:72], v[10:11], off
.LBB100_89:                             ;   in Loop: Header=BB100_74 Depth=1
	s_or_b64 exec, exec, s[14:15]
	v_cmp_gt_i32_e32 vcc, s16, v163
	s_and_saveexec_b64 s[14:15], vcc
	s_cbranch_execz .LBB100_91
; %bb.90:                               ;   in Loop: Header=BB100_74 Depth=1
	v_add_co_u32_e32 v12, vcc, v117, v150
	v_addc_co_u32_e32 v13, vcc, v118, v151, vcc
	global_load_dwordx2 v[73:74], v[12:13], off
.LBB100_91:                             ;   in Loop: Header=BB100_74 Depth=1
	s_or_b64 exec, exec, s[14:15]
	v_mov_b32_e32 v75, 0
	v_mov_b32_e32 v77, 0
	;; [unrolled: 1-line block ×4, first 2 shown]
	v_cmp_gt_i32_e32 vcc, s16, v164
	s_and_saveexec_b64 s[14:15], vcc
	s_cbranch_execz .LBB100_93
; %bb.92:                               ;   in Loop: Header=BB100_74 Depth=1
	v_add_co_u32_e32 v12, vcc, v119, v150
	v_addc_co_u32_e32 v13, vcc, v120, v151, vcc
	global_load_dwordx2 v[77:78], v[12:13], off
.LBB100_93:                             ;   in Loop: Header=BB100_74 Depth=1
	s_or_b64 exec, exec, s[14:15]
	v_cmp_gt_i32_e32 vcc, s16, v165
	s_and_saveexec_b64 s[14:15], vcc
	s_cbranch_execz .LBB100_95
; %bb.94:                               ;   in Loop: Header=BB100_74 Depth=1
	v_add_co_u32_e32 v12, vcc, v121, v150
	v_addc_co_u32_e32 v13, vcc, v122, v151, vcc
	global_load_dwordx2 v[75:76], v[12:13], off
.LBB100_95:                             ;   in Loop: Header=BB100_74 Depth=1
	s_or_b64 exec, exec, s[14:15]
	s_mov_b64 s[14:15], 0
.LBB100_96:                             ;   in Loop: Header=BB100_74 Depth=1
	s_and_b64 vcc, exec, s[14:15]
	s_cbranch_vccz .LBB100_98
; %bb.97:                               ;   in Loop: Header=BB100_74 Depth=1
	global_load_dwordx2 v[71:72], v[10:11], off
	v_add_co_u32_e32 v10, vcc, v117, v150
	v_addc_co_u32_e32 v11, vcc, v118, v151, vcc
	global_load_dwordx2 v[73:74], v[10:11], off
	v_add_co_u32_e32 v10, vcc, v123, v150
	v_addc_co_u32_e32 v11, vcc, v124, v151, vcc
	;; [unrolled: 3-line block ×3, first 2 shown]
	global_load_dwordx2 v[75:76], v[10:11], off
.LBB100_98:                             ;   in Loop: Header=BB100_74 Depth=1
	ds_read_b64 v[10:11], v157
	s_mov_b64 s[14:15], -1
                                        ; implicit-def: $vgpr83_vgpr84
                                        ; implicit-def: $vgpr85_vgpr86
                                        ; implicit-def: $vgpr79_vgpr80
                                        ; implicit-def: $vgpr81_vgpr82
	s_waitcnt vmcnt(0) lgkmcnt(0)
	v_mul_f64 v[26:27], v[71:72], v[10:11]
	v_mul_f64 v[28:29], v[73:74], v[10:11]
	;; [unrolled: 1-line block ×4, first 2 shown]
	ds_read_b128 v[14:17], v154 offset:128
	ds_read_b128 v[10:13], v154 offset:144
	ds_write2_b64 v158, v[26:27], v[28:29] offset1:67
	ds_write2_b64 v158, v[30:31], v[32:33] offset0:134 offset1:201
	s_waitcnt lgkmcnt(0)
	s_barrier
	ds_read2_b64 v[38:41], v147 offset1:1
	ds_read2_b64 v[34:37], v147 offset0:2 offset1:3
	v_add_co_u32_e32 v26, vcc, v127, v150
	v_addc_co_u32_e32 v27, vcc, v128, v151, vcc
	s_and_b64 vcc, exec, s[4:5]
	s_waitcnt lgkmcnt(0)
	s_barrier
	s_cbranch_vccnz .LBB100_108
; %bb.99:                               ;   in Loop: Header=BB100_74 Depth=1
	v_mov_b32_e32 v79, 0
	v_mov_b32_e32 v81, 0
	;; [unrolled: 1-line block ×4, first 2 shown]
	v_cmp_gt_i32_e32 vcc, s16, v166
	s_and_saveexec_b64 s[14:15], vcc
	s_cbranch_execz .LBB100_101
; %bb.100:                              ;   in Loop: Header=BB100_74 Depth=1
	global_load_dwordx2 v[81:82], v[26:27], off
.LBB100_101:                            ;   in Loop: Header=BB100_74 Depth=1
	s_or_b64 exec, exec, s[14:15]
	v_cmp_gt_i32_e32 vcc, s16, v167
	s_and_saveexec_b64 s[14:15], vcc
	s_cbranch_execz .LBB100_103
; %bb.102:                              ;   in Loop: Header=BB100_74 Depth=1
	v_add_co_u32_e32 v28, vcc, v129, v150
	v_addc_co_u32_e32 v29, vcc, v130, v151, vcc
	global_load_dwordx2 v[79:80], v[28:29], off
.LBB100_103:                            ;   in Loop: Header=BB100_74 Depth=1
	s_or_b64 exec, exec, s[14:15]
	v_mov_b32_e32 v83, 0
	v_mov_b32_e32 v85, 0
	v_mov_b32_e32 v84, 0
	v_mov_b32_e32 v86, 0
	v_cmp_gt_i32_e32 vcc, s16, v168
	s_and_saveexec_b64 s[14:15], vcc
	s_cbranch_execz .LBB100_105
; %bb.104:                              ;   in Loop: Header=BB100_74 Depth=1
	v_add_co_u32_e32 v28, vcc, v131, v150
	v_addc_co_u32_e32 v29, vcc, v132, v151, vcc
	global_load_dwordx2 v[85:86], v[28:29], off
.LBB100_105:                            ;   in Loop: Header=BB100_74 Depth=1
	s_or_b64 exec, exec, s[14:15]
	v_cmp_gt_i32_e32 vcc, s16, v169
	s_and_saveexec_b64 s[14:15], vcc
	s_cbranch_execz .LBB100_107
; %bb.106:                              ;   in Loop: Header=BB100_74 Depth=1
	v_add_co_u32_e32 v28, vcc, v133, v150
	v_addc_co_u32_e32 v29, vcc, v134, v151, vcc
	global_load_dwordx2 v[83:84], v[28:29], off
.LBB100_107:                            ;   in Loop: Header=BB100_74 Depth=1
	s_or_b64 exec, exec, s[14:15]
	s_mov_b64 s[14:15], 0
.LBB100_108:                            ;   in Loop: Header=BB100_74 Depth=1
	s_and_b64 vcc, exec, s[14:15]
	s_cbranch_vccz .LBB100_110
; %bb.109:                              ;   in Loop: Header=BB100_74 Depth=1
	global_load_dwordx2 v[81:82], v[26:27], off
	v_add_co_u32_e32 v26, vcc, v129, v150
	v_addc_co_u32_e32 v27, vcc, v130, v151, vcc
	global_load_dwordx2 v[79:80], v[26:27], off
	v_add_co_u32_e32 v26, vcc, v135, v150
	v_addc_co_u32_e32 v27, vcc, v136, v151, vcc
	;; [unrolled: 3-line block ×3, first 2 shown]
	global_load_dwordx2 v[83:84], v[26:27], off
.LBB100_110:                            ;   in Loop: Header=BB100_74 Depth=1
	ds_read_b64 v[26:27], v157
                                        ; implicit-def: $vgpr91_vgpr92
                                        ; implicit-def: $vgpr93_vgpr94
                                        ; implicit-def: $vgpr87_vgpr88
                                        ; implicit-def: $vgpr89_vgpr90
	s_waitcnt vmcnt(0) lgkmcnt(0)
	v_mul_f64 v[42:43], v[81:82], v[26:27]
	v_mul_f64 v[44:45], v[79:80], v[26:27]
	;; [unrolled: 1-line block ×4, first 2 shown]
	ds_read_b128 v[30:33], v154 offset:256
	ds_read_b128 v[26:29], v154 offset:272
	ds_write2_b64 v158, v[42:43], v[44:45] offset1:67
	ds_write2_b64 v158, v[46:47], v[48:49] offset0:134 offset1:201
	s_waitcnt lgkmcnt(0)
	s_barrier
	ds_read2_b64 v[54:57], v147 offset1:1
	ds_read2_b64 v[50:53], v147 offset0:2 offset1:3
	v_add_co_u32_e32 v42, vcc, v99, v152
	v_addc_co_u32_e32 v43, vcc, v100, v153, vcc
	s_and_b64 vcc, exec, s[4:5]
	s_mov_b64 s[4:5], -1
	s_waitcnt lgkmcnt(0)
	s_barrier
	s_cbranch_vccnz .LBB100_120
; %bb.111:                              ;   in Loop: Header=BB100_74 Depth=1
	v_mov_b32_e32 v87, 0
	v_mov_b32_e32 v89, 0
	;; [unrolled: 1-line block ×4, first 2 shown]
	v_cmp_gt_i32_e32 vcc, s16, v170
	s_and_saveexec_b64 s[4:5], vcc
	s_cbranch_execz .LBB100_113
; %bb.112:                              ;   in Loop: Header=BB100_74 Depth=1
	global_load_dwordx2 v[89:90], v[42:43], off
.LBB100_113:                            ;   in Loop: Header=BB100_74 Depth=1
	s_or_b64 exec, exec, s[4:5]
	v_cmp_gt_i32_e32 vcc, s16, v171
	s_and_saveexec_b64 s[4:5], vcc
	s_cbranch_execz .LBB100_115
; %bb.114:                              ;   in Loop: Header=BB100_74 Depth=1
	v_add_co_u32_e32 v44, vcc, v139, v152
	v_addc_co_u32_e32 v45, vcc, v140, v153, vcc
	global_load_dwordx2 v[87:88], v[44:45], off
.LBB100_115:                            ;   in Loop: Header=BB100_74 Depth=1
	s_or_b64 exec, exec, s[4:5]
	v_mov_b32_e32 v91, 0
	v_mov_b32_e32 v93, 0
	;; [unrolled: 1-line block ×4, first 2 shown]
	v_cmp_gt_i32_e32 vcc, s16, v172
	s_and_saveexec_b64 s[4:5], vcc
	s_cbranch_execz .LBB100_117
; %bb.116:                              ;   in Loop: Header=BB100_74 Depth=1
	v_add_co_u32_e32 v44, vcc, v141, v152
	v_addc_co_u32_e32 v45, vcc, v142, v153, vcc
	global_load_dwordx2 v[93:94], v[44:45], off
.LBB100_117:                            ;   in Loop: Header=BB100_74 Depth=1
	s_or_b64 exec, exec, s[4:5]
	v_cmp_gt_i32_e32 vcc, s16, v173
	s_and_saveexec_b64 s[4:5], vcc
	s_cbranch_execz .LBB100_119
; %bb.118:                              ;   in Loop: Header=BB100_74 Depth=1
	v_add_co_u32_e32 v44, vcc, v143, v152
	v_addc_co_u32_e32 v45, vcc, v144, v153, vcc
	global_load_dwordx2 v[91:92], v[44:45], off
.LBB100_119:                            ;   in Loop: Header=BB100_74 Depth=1
	s_or_b64 exec, exec, s[4:5]
	s_mov_b64 s[4:5], 0
.LBB100_120:                            ;   in Loop: Header=BB100_74 Depth=1
	s_and_b64 vcc, exec, s[4:5]
	s_cbranch_vccz .LBB100_122
; %bb.121:                              ;   in Loop: Header=BB100_74 Depth=1
	global_load_dwordx2 v[89:90], v[42:43], off
	v_add_co_u32_e32 v42, vcc, v139, v152
	v_addc_co_u32_e32 v43, vcc, v140, v153, vcc
	global_load_dwordx2 v[87:88], v[42:43], off
	v_add_co_u32_e32 v42, vcc, v145, v152
	v_addc_co_u32_e32 v43, vcc, v146, v153, vcc
	;; [unrolled: 3-line block ×3, first 2 shown]
	global_load_dwordx2 v[91:92], v[42:43], off
.LBB100_122:                            ;   in Loop: Header=BB100_74 Depth=1
	ds_read_b64 v[42:43], v157
	v_add_f64 v[38:39], v[38:39], 0
	v_add_f64 v[22:23], v[22:23], 0
	v_add_f64 v[54:55], v[54:55], 0
	v_cmp_gt_i32_e32 vcc, s16, v0
	s_waitcnt vmcnt(0) lgkmcnt(0)
	v_mul_f64 v[174:175], v[89:90], v[42:43]
	v_mul_f64 v[176:177], v[87:88], v[42:43]
	v_mul_f64 v[178:179], v[93:94], v[42:43]
	v_mul_f64 v[180:181], v[91:92], v[42:43]
	ds_read_b128 v[46:49], v154 offset:384
	ds_read_b128 v[42:45], v154 offset:400
	v_add_f64 v[38:39], v[38:39], v[40:41]
	v_add_f64 v[22:23], v[22:23], v[24:25]
	;; [unrolled: 1-line block ×3, first 2 shown]
	ds_write2_b64 v158, v[174:175], v[176:177] offset1:67
	ds_write2_b64 v158, v[178:179], v[180:181] offset0:134 offset1:201
	s_waitcnt lgkmcnt(0)
	s_barrier
	ds_read2_b64 v[174:177], v147 offset1:1
	ds_read2_b64 v[178:181], v147 offset0:2 offset1:3
	v_add_f64 v[34:35], v[38:39], v[34:35]
	v_add_f64 v[18:19], v[22:23], v[18:19]
	;; [unrolled: 1-line block ×3, first 2 shown]
	s_waitcnt lgkmcnt(1)
	v_add_f64 v[174:175], v[174:175], 0
	s_or_b64 s[4:5], s[12:13], vcc
	s_and_b64 s[12:13], s[2:3], s[4:5]
	s_waitcnt lgkmcnt(0)
	s_barrier
	v_add_f64 v[34:35], v[34:35], v[36:37]
	v_add_f64 v[18:19], v[18:19], v[20:21]
	v_add_f64 v[24:25], v[174:175], v[176:177]
	v_add_f64 v[22:23], v[24:25], v[178:179]
	v_add_f64 v[24:25], v[40:41], v[52:53]
	v_add_f64 v[20:21], v[22:23], v[180:181]
	ds_write2_b64 v155, v[18:19], v[34:35] offset1:16
	ds_write2_b64 v155, v[24:25], v[20:21] offset0:32 offset1:48
	s_waitcnt lgkmcnt(0)
	s_barrier
	s_and_saveexec_b64 s[4:5], s[12:13]
	s_cbranch_execz .LBB100_124
; %bb.123:                              ;   in Loop: Header=BB100_74 Depth=1
	ds_read2_b64 v[18:21], v148 offset1:1
	ds_read2_b64 v[22:25], v148 offset0:2 offset1:3
	v_ashrrev_i32_e32 v62, 31, v61
	s_waitcnt lgkmcnt(1)
	v_add_f64 v[18:19], v[18:19], v[20:21]
	s_waitcnt lgkmcnt(0)
	v_add_f64 v[18:19], v[18:19], v[22:23]
	v_add_f64 v[34:35], v[18:19], v[24:25]
	ds_read2_b64 v[18:21], v148 offset0:4 offset1:5
	ds_read2_b64 v[22:25], v148 offset0:6 offset1:7
	s_waitcnt lgkmcnt(1)
	v_add_f64 v[18:19], v[34:35], v[18:19]
	v_add_f64 v[18:19], v[18:19], v[20:21]
	s_waitcnt lgkmcnt(0)
	v_add_f64 v[18:19], v[18:19], v[22:23]
	v_add_f64 v[34:35], v[18:19], v[24:25]
	ds_read2_b64 v[18:21], v148 offset0:8 offset1:9
	ds_read2_b64 v[22:25], v148 offset0:10 offset1:11
	s_waitcnt lgkmcnt(1)
	v_add_f64 v[18:19], v[34:35], v[18:19]
	v_add_f64 v[18:19], v[18:19], v[20:21]
	s_waitcnt lgkmcnt(0)
	v_add_f64 v[18:19], v[18:19], v[22:23]
	v_add_f64 v[22:23], v[18:19], v[24:25]
	ds_read2_b64 v[18:21], v148 offset0:12 offset1:13
	ds_read_b64 v[24:25], v148 offset:112
	s_waitcnt lgkmcnt(1)
	v_add_f64 v[18:19], v[22:23], v[18:19]
	v_mov_b32_e32 v22, s19
	v_add_f64 v[18:19], v[18:19], v[20:21]
	ds_read_b64 v[20:21], v149
	s_waitcnt lgkmcnt(1)
	v_add_f64 v[18:19], v[18:19], v[24:25]
	s_waitcnt lgkmcnt(0)
	v_add_f64 v[18:19], v[18:19], v[20:21]
	v_lshlrev_b64 v[20:21], 3, v[61:62]
	v_add_co_u32_e32 v20, vcc, s7, v20
	v_addc_co_u32_e32 v21, vcc, v22, v21, vcc
	global_store_dwordx2 v[20:21], v[18:19], off
.LBB100_124:                            ;   in Loop: Header=BB100_74 Depth=1
	s_or_b64 exec, exec, s[4:5]
	v_fma_f64 v[6:7], v[63:64], v[6:7], v[59:60]
	v_add_co_u32_e32 v103, vcc, s10, v103
	s_add_i32 s4, s6, 1
	s_add_i32 s8, s8, s25
	;; [unrolled: 1-line block ×3, first 2 shown]
	v_add_u32_e32 v61, 64, v61
	s_cmp_ge_u32 s5, s33
	v_fma_f64 v[6:7], v[65:66], v[8:9], v[6:7]
	s_waitcnt vmcnt(0)
	s_barrier
	v_fma_f64 v[2:3], v[69:70], v[2:3], v[6:7]
	v_fma_f64 v[2:3], v[67:68], v[4:5], v[2:3]
	v_mov_b32_e32 v4, s11
	v_addc_co_u32_e32 v104, vcc, v104, v4, vcc
	v_add_co_u32_e32 v105, vcc, s10, v105
	v_addc_co_u32_e32 v106, vcc, v106, v4, vcc
	v_fma_f64 v[2:3], v[71:72], v[14:15], v[2:3]
	v_add_co_u32_e32 v107, vcc, s10, v107
	v_addc_co_u32_e32 v108, vcc, v108, v4, vcc
	v_add_co_u32_e32 v109, vcc, s10, v109
	v_addc_co_u32_e32 v110, vcc, v110, v4, vcc
	v_fma_f64 v[2:3], v[73:74], v[16:17], v[2:3]
	v_add_co_u32_e32 v111, vcc, s10, v111
	v_addc_co_u32_e32 v112, vcc, v112, v4, vcc
	v_add_co_u32_e32 v113, vcc, s10, v113
	v_addc_co_u32_e32 v114, vcc, v114, v4, vcc
	v_fma_f64 v[2:3], v[77:78], v[10:11], v[2:3]
	v_add_co_u32_e32 v115, vcc, s10, v115
	v_addc_co_u32_e32 v116, vcc, v116, v4, vcc
	v_add_co_u32_e32 v117, vcc, s10, v117
	v_addc_co_u32_e32 v118, vcc, v118, v4, vcc
	v_fma_f64 v[2:3], v[75:76], v[12:13], v[2:3]
	v_add_co_u32_e32 v119, vcc, s10, v119
	v_addc_co_u32_e32 v120, vcc, v120, v4, vcc
	v_add_co_u32_e32 v121, vcc, s10, v121
	v_addc_co_u32_e32 v122, vcc, v122, v4, vcc
	v_fma_f64 v[2:3], v[81:82], v[30:31], v[2:3]
	v_add_co_u32_e32 v123, vcc, s10, v123
	v_addc_co_u32_e32 v124, vcc, v124, v4, vcc
	v_add_co_u32_e32 v125, vcc, s10, v125
	v_addc_co_u32_e32 v126, vcc, v126, v4, vcc
	v_fma_f64 v[2:3], v[79:80], v[32:33], v[2:3]
	v_add_co_u32_e32 v127, vcc, s10, v127
	v_addc_co_u32_e32 v128, vcc, v128, v4, vcc
	v_add_co_u32_e32 v129, vcc, s10, v129
	v_addc_co_u32_e32 v130, vcc, v130, v4, vcc
	v_fma_f64 v[2:3], v[85:86], v[26:27], v[2:3]
	v_add_co_u32_e32 v131, vcc, s10, v131
	v_addc_co_u32_e32 v132, vcc, v132, v4, vcc
	v_add_co_u32_e32 v133, vcc, s10, v133
	v_addc_co_u32_e32 v134, vcc, v134, v4, vcc
	v_fma_f64 v[2:3], v[83:84], v[28:29], v[2:3]
	v_add_co_u32_e32 v135, vcc, s10, v135
	v_addc_co_u32_e32 v136, vcc, v136, v4, vcc
	v_add_co_u32_e32 v137, vcc, s10, v137
	v_addc_co_u32_e32 v138, vcc, v138, v4, vcc
	v_fma_f64 v[2:3], v[89:90], v[46:47], v[2:3]
	v_add_co_u32_e32 v99, vcc, s10, v99
	v_addc_co_u32_e32 v100, vcc, v100, v4, vcc
	v_add_co_u32_e32 v139, vcc, s10, v139
	v_addc_co_u32_e32 v140, vcc, v140, v4, vcc
	v_fma_f64 v[2:3], v[87:88], v[48:49], v[2:3]
	v_add_co_u32_e32 v141, vcc, s10, v141
	v_addc_co_u32_e32 v142, vcc, v142, v4, vcc
	v_add_co_u32_e32 v143, vcc, s10, v143
	v_addc_co_u32_e32 v144, vcc, v144, v4, vcc
	v_fma_f64 v[2:3], v[93:94], v[42:43], v[2:3]
	v_add_co_u32_e32 v145, vcc, s10, v145
	v_addc_co_u32_e32 v146, vcc, v146, v4, vcc
	v_add_co_u32_e32 v101, vcc, s10, v101
	v_addc_co_u32_e32 v102, vcc, v102, v4, vcc
	v_fma_f64 v[59:60], v[91:92], v[44:45], v[2:3]
	s_cbranch_scc1 .LBB100_126
; %bb.125:                              ;   in Loop: Header=BB100_74 Depth=1
	s_mov_b32 s6, s4
	s_cmp_eq_u32 s24, s6
	s_cselect_b32 s16, s38, 0
	s_and_saveexec_b64 s[4:5], s[0:1]
	s_cbranch_execnz .LBB100_71
	s_branch .LBB100_74
.LBB100_126:
	s_movk_i32 s2, 0x218
	v_cmp_gt_i32_e32 vcc, s18, v0
	v_mad_u32_u24 v1, v1, s2, v95
	s_or_b64 s[2:3], s[20:21], vcc
	s_and_b64 s[0:1], s[0:1], s[2:3]
	ds_write_b64 v1, v[59:60]
	s_waitcnt lgkmcnt(0)
	s_barrier
	s_and_saveexec_b64 s[2:3], s[0:1]
	s_cbranch_execz .LBB100_128
; %bb.127:
	ds_read2_b64 v[0:3], v95 offset1:67
	v_ashrrev_i32_e32 v59, 31, v58
	s_waitcnt lgkmcnt(0)
	v_add_f64 v[4:5], v[0:1], v[2:3]
	ds_read2_b64 v[0:3], v95 offset0:134 offset1:201
	s_waitcnt lgkmcnt(0)
	v_add_f64 v[0:1], v[4:5], v[0:1]
	v_mov_b32_e32 v4, s19
	v_add_f64 v[0:1], v[0:1], v[2:3]
	v_lshlrev_b64 v[2:3], 3, v[58:59]
	v_add_co_u32_e32 v2, vcc, s7, v2
	v_addc_co_u32_e32 v3, vcc, v4, v3, vcc
	global_store_dwordx2 v[2:3], v[0:1], off
.LBB100_128:
	s_endpgm
	.section	.rodata,"a",@progbits
	.p2align	6, 0x0
	.amdhsa_kernel _ZL26rocblas_hemvn_kernel_upperILb0ELi64ELi4ELi33ELi32ELi16EidPKdPdEviT6_lT7_lT5_lS4_lS5_lS3_lT8_i
		.amdhsa_group_segment_fixed_size 9600
		.amdhsa_private_segment_fixed_size 0
		.amdhsa_kernarg_size 376
		.amdhsa_user_sgpr_count 6
		.amdhsa_user_sgpr_private_segment_buffer 1
		.amdhsa_user_sgpr_dispatch_ptr 0
		.amdhsa_user_sgpr_queue_ptr 0
		.amdhsa_user_sgpr_kernarg_segment_ptr 1
		.amdhsa_user_sgpr_dispatch_id 0
		.amdhsa_user_sgpr_flat_scratch_init 0
		.amdhsa_user_sgpr_private_segment_size 0
		.amdhsa_uses_dynamic_stack 0
		.amdhsa_system_sgpr_private_segment_wavefront_offset 0
		.amdhsa_system_sgpr_workgroup_id_x 1
		.amdhsa_system_sgpr_workgroup_id_y 0
		.amdhsa_system_sgpr_workgroup_id_z 1
		.amdhsa_system_sgpr_workgroup_info 0
		.amdhsa_system_vgpr_workitem_id 1
		.amdhsa_next_free_vgpr 182
		.amdhsa_next_free_sgpr 93
		.amdhsa_reserve_vcc 1
		.amdhsa_reserve_flat_scratch 0
		.amdhsa_float_round_mode_32 0
		.amdhsa_float_round_mode_16_64 0
		.amdhsa_float_denorm_mode_32 3
		.amdhsa_float_denorm_mode_16_64 3
		.amdhsa_dx10_clamp 1
		.amdhsa_ieee_mode 1
		.amdhsa_fp16_overflow 0
		.amdhsa_exception_fp_ieee_invalid_op 0
		.amdhsa_exception_fp_denorm_src 0
		.amdhsa_exception_fp_ieee_div_zero 0
		.amdhsa_exception_fp_ieee_overflow 0
		.amdhsa_exception_fp_ieee_underflow 0
		.amdhsa_exception_fp_ieee_inexact 0
		.amdhsa_exception_int_div_zero 0
	.end_amdhsa_kernel
	.section	.text._ZL26rocblas_hemvn_kernel_upperILb0ELi64ELi4ELi33ELi32ELi16EidPKdPdEviT6_lT7_lT5_lS4_lS5_lS3_lT8_i,"axG",@progbits,_ZL26rocblas_hemvn_kernel_upperILb0ELi64ELi4ELi33ELi32ELi16EidPKdPdEviT6_lT7_lT5_lS4_lS5_lS3_lT8_i,comdat
.Lfunc_end100:
	.size	_ZL26rocblas_hemvn_kernel_upperILb0ELi64ELi4ELi33ELi32ELi16EidPKdPdEviT6_lT7_lT5_lS4_lS5_lS3_lT8_i, .Lfunc_end100-_ZL26rocblas_hemvn_kernel_upperILb0ELi64ELi4ELi33ELi32ELi16EidPKdPdEviT6_lT7_lT5_lS4_lS5_lS3_lT8_i
                                        ; -- End function
	.set _ZL26rocblas_hemvn_kernel_upperILb0ELi64ELi4ELi33ELi32ELi16EidPKdPdEviT6_lT7_lT5_lS4_lS5_lS3_lT8_i.num_vgpr, 182
	.set _ZL26rocblas_hemvn_kernel_upperILb0ELi64ELi4ELi33ELi32ELi16EidPKdPdEviT6_lT7_lT5_lS4_lS5_lS3_lT8_i.num_agpr, 0
	.set _ZL26rocblas_hemvn_kernel_upperILb0ELi64ELi4ELi33ELi32ELi16EidPKdPdEviT6_lT7_lT5_lS4_lS5_lS3_lT8_i.numbered_sgpr, 62
	.set _ZL26rocblas_hemvn_kernel_upperILb0ELi64ELi4ELi33ELi32ELi16EidPKdPdEviT6_lT7_lT5_lS4_lS5_lS3_lT8_i.num_named_barrier, 0
	.set _ZL26rocblas_hemvn_kernel_upperILb0ELi64ELi4ELi33ELi32ELi16EidPKdPdEviT6_lT7_lT5_lS4_lS5_lS3_lT8_i.private_seg_size, 0
	.set _ZL26rocblas_hemvn_kernel_upperILb0ELi64ELi4ELi33ELi32ELi16EidPKdPdEviT6_lT7_lT5_lS4_lS5_lS3_lT8_i.uses_vcc, 1
	.set _ZL26rocblas_hemvn_kernel_upperILb0ELi64ELi4ELi33ELi32ELi16EidPKdPdEviT6_lT7_lT5_lS4_lS5_lS3_lT8_i.uses_flat_scratch, 0
	.set _ZL26rocblas_hemvn_kernel_upperILb0ELi64ELi4ELi33ELi32ELi16EidPKdPdEviT6_lT7_lT5_lS4_lS5_lS3_lT8_i.has_dyn_sized_stack, 0
	.set _ZL26rocblas_hemvn_kernel_upperILb0ELi64ELi4ELi33ELi32ELi16EidPKdPdEviT6_lT7_lT5_lS4_lS5_lS3_lT8_i.has_recursion, 0
	.set _ZL26rocblas_hemvn_kernel_upperILb0ELi64ELi4ELi33ELi32ELi16EidPKdPdEviT6_lT7_lT5_lS4_lS5_lS3_lT8_i.has_indirect_call, 0
	.section	.AMDGPU.csdata,"",@progbits
; Kernel info:
; codeLenInByte = 7340
; TotalNumSgprs: 66
; NumVgprs: 182
; ScratchSize: 0
; MemoryBound: 0
; FloatMode: 240
; IeeeMode: 1
; LDSByteSize: 9600 bytes/workgroup (compile time only)
; SGPRBlocks: 12
; VGPRBlocks: 45
; NumSGPRsForWavesPerEU: 97
; NumVGPRsForWavesPerEU: 182
; Occupancy: 1
; WaveLimiterHint : 1
; COMPUTE_PGM_RSRC2:SCRATCH_EN: 0
; COMPUTE_PGM_RSRC2:USER_SGPR: 6
; COMPUTE_PGM_RSRC2:TRAP_HANDLER: 0
; COMPUTE_PGM_RSRC2:TGID_X_EN: 1
; COMPUTE_PGM_RSRC2:TGID_Y_EN: 0
; COMPUTE_PGM_RSRC2:TGID_Z_EN: 1
; COMPUTE_PGM_RSRC2:TIDIG_COMP_CNT: 1
	.section	.text._ZL36rocblas_hemvn_kernel_upper_block_sumILi64EidPddEviT1_lS1_lT2_lT0_lPT3_i,"axG",@progbits,_ZL36rocblas_hemvn_kernel_upper_block_sumILi64EidPddEviT1_lS1_lT2_lT0_lPT3_i,comdat
	.globl	_ZL36rocblas_hemvn_kernel_upper_block_sumILi64EidPddEviT1_lS1_lT2_lT0_lPT3_i ; -- Begin function _ZL36rocblas_hemvn_kernel_upper_block_sumILi64EidPddEviT1_lS1_lT2_lT0_lPT3_i
	.p2align	8
	.type	_ZL36rocblas_hemvn_kernel_upper_block_sumILi64EidPddEviT1_lS1_lT2_lT0_lPT3_i,@function
_ZL36rocblas_hemvn_kernel_upper_block_sumILi64EidPddEviT1_lS1_lT2_lT0_lPT3_i: ; @_ZL36rocblas_hemvn_kernel_upper_block_sumILi64EidPddEviT1_lS1_lT2_lT0_lPT3_i
; %bb.0:
	s_load_dwordx2 s[8:9], s[4:5], 0x8
	s_load_dwordx2 s[10:11], s[4:5], 0x18
	s_waitcnt lgkmcnt(0)
	v_cmp_eq_f64_e64 s[0:1], s[8:9], 0
	v_cmp_eq_f64_e64 s[2:3], s[10:11], 1.0
	s_and_b64 s[0:1], s[0:1], s[2:3]
	s_and_b64 vcc, exec, s[0:1]
	s_cbranch_vccnz .LBB101_19
; %bb.1:
	s_load_dwordx4 s[0:3], s[4:5], 0x40
	s_load_dwordx4 s[16:19], s[4:5], 0x28
	s_load_dword s22, s[4:5], 0x38
	s_load_dword s14, s[4:5], 0x0
	v_cmp_neq_f64_e64 s[24:25], s[8:9], 0
	s_waitcnt lgkmcnt(0)
	s_mul_i32 s1, s1, s7
	s_mul_hi_u32 s12, s0, s7
	s_add_i32 s1, s12, s1
	s_mul_i32 s0, s0, s7
	s_lshl_b64 s[0:1], s[0:1], 3
	s_add_u32 s12, s16, s0
	s_addc_u32 s13, s17, s1
	s_lshl_b64 s[0:1], s[18:19], 3
	s_add_u32 s20, s12, s0
	v_lshl_or_b32 v0, s6, 6, v0
	s_addc_u32 s21, s13, s1
	s_mov_b64 s[12:13], 0
	s_and_b64 vcc, exec, s[24:25]
	v_cmp_gt_i32_e64 s[0:1], s14, v0
	s_cbranch_vccnz .LBB101_6
; %bb.2:
	s_mov_b64 s[16:17], 0
                                        ; implicit-def: $vgpr3_vgpr4
                                        ; implicit-def: $vgpr1_vgpr2
	s_and_saveexec_b64 s[18:19], s[0:1]
	s_cbranch_execz .LBB101_7
; %bb.3:
	v_cmp_eq_f64_e64 s[0:1], s[10:11], 0
	v_mul_lo_u32 v1, s22, v0
	v_mov_b32_e32 v3, 0
	v_mov_b32_e32 v4, 0
	v_ashrrev_i32_e32 v2, 31, v1
	s_and_b64 vcc, exec, s[0:1]
	s_cbranch_vccnz .LBB101_5
; %bb.4:
	v_lshlrev_b64 v[3:4], 3, v[1:2]
	v_mov_b32_e32 v5, s21
	v_add_co_u32_e32 v3, vcc, s20, v3
	v_addc_co_u32_e32 v4, vcc, v5, v4, vcc
	global_load_dwordx2 v[3:4], v[3:4], off
	s_waitcnt vmcnt(0)
	v_mul_f64 v[3:4], s[10:11], v[3:4]
.LBB101_5:
	s_mov_b64 s[12:13], exec
	s_or_b64 exec, exec, s[18:19]
	s_and_b64 vcc, exec, s[16:17]
	s_cbranch_vccnz .LBB101_8
	s_branch .LBB101_17
.LBB101_6:
                                        ; implicit-def: $vgpr3_vgpr4
                                        ; implicit-def: $vgpr1_vgpr2
	s_cbranch_execnz .LBB101_8
	s_branch .LBB101_17
.LBB101_7:
	s_or_b64 exec, exec, s[18:19]
	s_and_b64 vcc, exec, s[16:17]
	s_cbranch_vccz .LBB101_17
.LBB101_8:
	v_cmp_gt_i32_e32 vcc, s14, v0
                                        ; implicit-def: $vgpr3_vgpr4
                                        ; implicit-def: $vgpr1_vgpr2
	s_and_saveexec_b64 s[0:1], vcc
	s_cbranch_execz .LBB101_16
; %bb.9:
	v_mov_b32_e32 v5, 0
	v_mov_b32_e32 v6, 0
	s_cmp_lt_i32 s6, 0
	s_cbranch_scc1 .LBB101_12
; %bb.10:
	s_load_dword s4, s[4:5], 0x58
	s_ashr_i32 s15, s14, 31
	s_mul_hi_u32 s5, s14, s7
	s_mul_i32 s16, s15, s7
	s_add_i32 s5, s5, s16
	s_mul_i32 s7, s14, s7
	s_waitcnt lgkmcnt(0)
	s_mul_i32 s5, s5, s4
	s_mul_hi_u32 s16, s7, s4
	s_add_i32 s5, s16, s5
	s_mul_i32 s4, s7, s4
	s_lshl_b64 s[4:5], s[4:5], 3
	v_mov_b32_e32 v1, 0
	s_add_u32 s2, s2, s4
	v_lshlrev_b64 v[1:2], 3, v[0:1]
	s_addc_u32 s3, s3, s5
	v_mov_b32_e32 v3, s3
	v_add_co_u32_e32 v1, vcc, s2, v1
	s_lshl_b64 s[2:3], s[14:15], 3
	v_mov_b32_e32 v5, 0
	v_addc_co_u32_e32 v2, vcc, v3, v2, vcc
	s_add_i32 s4, s6, 1
	v_mov_b32_e32 v6, 0
	v_mov_b32_e32 v3, s3
.LBB101_11:                             ; =>This Inner Loop Header: Depth=1
	global_load_dwordx2 v[7:8], v[1:2], off
	s_add_i32 s4, s4, -1
	v_add_co_u32_e32 v1, vcc, s2, v1
	s_cmp_eq_u32 s4, 0
	v_addc_co_u32_e32 v2, vcc, v2, v3, vcc
	s_waitcnt vmcnt(0)
	v_add_f64 v[5:6], v[5:6], v[7:8]
	s_cbranch_scc0 .LBB101_11
.LBB101_12:
	v_cmp_eq_f64_e64 s[4:5], s[10:11], 0
	v_mul_lo_u32 v1, s22, v0
	s_mov_b64 s[2:3], 0
	v_ashrrev_i32_e32 v2, 31, v1
	s_and_b64 vcc, exec, s[4:5]
	s_cbranch_vccz .LBB101_20
; %bb.13:
	v_mul_f64 v[3:4], s[8:9], v[5:6]
	s_andn2_b64 vcc, exec, s[2:3]
	s_cbranch_vccnz .LBB101_15
.LBB101_14:
	v_lshlrev_b64 v[3:4], 3, v[1:2]
	v_mov_b32_e32 v0, s21
	v_add_co_u32_e32 v3, vcc, s20, v3
	v_addc_co_u32_e32 v4, vcc, v0, v4, vcc
	global_load_dwordx2 v[3:4], v[3:4], off
	s_waitcnt vmcnt(0)
	v_mul_f64 v[3:4], s[10:11], v[3:4]
	v_fma_f64 v[3:4], s[8:9], v[5:6], v[3:4]
.LBB101_15:
	s_or_b64 s[12:13], s[12:13], exec
.LBB101_16:
	s_or_b64 exec, exec, s[0:1]
.LBB101_17:
	s_and_saveexec_b64 s[0:1], s[12:13]
	s_cbranch_execz .LBB101_19
; %bb.18:
	v_lshlrev_b64 v[0:1], 3, v[1:2]
	v_mov_b32_e32 v2, s21
	v_add_co_u32_e32 v0, vcc, s20, v0
	v_addc_co_u32_e32 v1, vcc, v2, v1, vcc
	global_store_dwordx2 v[0:1], v[3:4], off
.LBB101_19:
	s_endpgm
.LBB101_20:
                                        ; implicit-def: $vgpr3_vgpr4
	s_branch .LBB101_14
	.section	.rodata,"a",@progbits
	.p2align	6, 0x0
	.amdhsa_kernel _ZL36rocblas_hemvn_kernel_upper_block_sumILi64EidPddEviT1_lS1_lT2_lT0_lPT3_i
		.amdhsa_group_segment_fixed_size 0
		.amdhsa_private_segment_fixed_size 0
		.amdhsa_kernarg_size 344
		.amdhsa_user_sgpr_count 6
		.amdhsa_user_sgpr_private_segment_buffer 1
		.amdhsa_user_sgpr_dispatch_ptr 0
		.amdhsa_user_sgpr_queue_ptr 0
		.amdhsa_user_sgpr_kernarg_segment_ptr 1
		.amdhsa_user_sgpr_dispatch_id 0
		.amdhsa_user_sgpr_flat_scratch_init 0
		.amdhsa_user_sgpr_private_segment_size 0
		.amdhsa_uses_dynamic_stack 0
		.amdhsa_system_sgpr_private_segment_wavefront_offset 0
		.amdhsa_system_sgpr_workgroup_id_x 1
		.amdhsa_system_sgpr_workgroup_id_y 0
		.amdhsa_system_sgpr_workgroup_id_z 1
		.amdhsa_system_sgpr_workgroup_info 0
		.amdhsa_system_vgpr_workitem_id 0
		.amdhsa_next_free_vgpr 9
		.amdhsa_next_free_sgpr 26
		.amdhsa_reserve_vcc 1
		.amdhsa_reserve_flat_scratch 0
		.amdhsa_float_round_mode_32 0
		.amdhsa_float_round_mode_16_64 0
		.amdhsa_float_denorm_mode_32 3
		.amdhsa_float_denorm_mode_16_64 3
		.amdhsa_dx10_clamp 1
		.amdhsa_ieee_mode 1
		.amdhsa_fp16_overflow 0
		.amdhsa_exception_fp_ieee_invalid_op 0
		.amdhsa_exception_fp_denorm_src 0
		.amdhsa_exception_fp_ieee_div_zero 0
		.amdhsa_exception_fp_ieee_overflow 0
		.amdhsa_exception_fp_ieee_underflow 0
		.amdhsa_exception_fp_ieee_inexact 0
		.amdhsa_exception_int_div_zero 0
	.end_amdhsa_kernel
	.section	.text._ZL36rocblas_hemvn_kernel_upper_block_sumILi64EidPddEviT1_lS1_lT2_lT0_lPT3_i,"axG",@progbits,_ZL36rocblas_hemvn_kernel_upper_block_sumILi64EidPddEviT1_lS1_lT2_lT0_lPT3_i,comdat
.Lfunc_end101:
	.size	_ZL36rocblas_hemvn_kernel_upper_block_sumILi64EidPddEviT1_lS1_lT2_lT0_lPT3_i, .Lfunc_end101-_ZL36rocblas_hemvn_kernel_upper_block_sumILi64EidPddEviT1_lS1_lT2_lT0_lPT3_i
                                        ; -- End function
	.set _ZL36rocblas_hemvn_kernel_upper_block_sumILi64EidPddEviT1_lS1_lT2_lT0_lPT3_i.num_vgpr, 9
	.set _ZL36rocblas_hemvn_kernel_upper_block_sumILi64EidPddEviT1_lS1_lT2_lT0_lPT3_i.num_agpr, 0
	.set _ZL36rocblas_hemvn_kernel_upper_block_sumILi64EidPddEviT1_lS1_lT2_lT0_lPT3_i.numbered_sgpr, 26
	.set _ZL36rocblas_hemvn_kernel_upper_block_sumILi64EidPddEviT1_lS1_lT2_lT0_lPT3_i.num_named_barrier, 0
	.set _ZL36rocblas_hemvn_kernel_upper_block_sumILi64EidPddEviT1_lS1_lT2_lT0_lPT3_i.private_seg_size, 0
	.set _ZL36rocblas_hemvn_kernel_upper_block_sumILi64EidPddEviT1_lS1_lT2_lT0_lPT3_i.uses_vcc, 1
	.set _ZL36rocblas_hemvn_kernel_upper_block_sumILi64EidPddEviT1_lS1_lT2_lT0_lPT3_i.uses_flat_scratch, 0
	.set _ZL36rocblas_hemvn_kernel_upper_block_sumILi64EidPddEviT1_lS1_lT2_lT0_lPT3_i.has_dyn_sized_stack, 0
	.set _ZL36rocblas_hemvn_kernel_upper_block_sumILi64EidPddEviT1_lS1_lT2_lT0_lPT3_i.has_recursion, 0
	.set _ZL36rocblas_hemvn_kernel_upper_block_sumILi64EidPddEviT1_lS1_lT2_lT0_lPT3_i.has_indirect_call, 0
	.section	.AMDGPU.csdata,"",@progbits
; Kernel info:
; codeLenInByte = 608
; TotalNumSgprs: 30
; NumVgprs: 9
; ScratchSize: 0
; MemoryBound: 0
; FloatMode: 240
; IeeeMode: 1
; LDSByteSize: 0 bytes/workgroup (compile time only)
; SGPRBlocks: 3
; VGPRBlocks: 2
; NumSGPRsForWavesPerEU: 30
; NumVGPRsForWavesPerEU: 9
; Occupancy: 10
; WaveLimiterHint : 0
; COMPUTE_PGM_RSRC2:SCRATCH_EN: 0
; COMPUTE_PGM_RSRC2:USER_SGPR: 6
; COMPUTE_PGM_RSRC2:TRAP_HANDLER: 0
; COMPUTE_PGM_RSRC2:TGID_X_EN: 1
; COMPUTE_PGM_RSRC2:TGID_Y_EN: 0
; COMPUTE_PGM_RSRC2:TGID_Z_EN: 1
; COMPUTE_PGM_RSRC2:TIDIG_COMP_CNT: 0
	.section	.text._ZL50rocblas_symv_kernel_lower_double_buffered_diagonalILi32ELi4E24rocblas_internal_val_ptrIdEPKdPdEvbiT1_lT2_lllS6_lllS5_lT3_llli,"axG",@progbits,_ZL50rocblas_symv_kernel_lower_double_buffered_diagonalILi32ELi4E24rocblas_internal_val_ptrIdEPKdPdEvbiT1_lT2_lllS6_lllS5_lT3_llli,comdat
	.globl	_ZL50rocblas_symv_kernel_lower_double_buffered_diagonalILi32ELi4E24rocblas_internal_val_ptrIdEPKdPdEvbiT1_lT2_lllS6_lllS5_lT3_llli ; -- Begin function _ZL50rocblas_symv_kernel_lower_double_buffered_diagonalILi32ELi4E24rocblas_internal_val_ptrIdEPKdPdEvbiT1_lT2_lllS6_lllS5_lT3_llli
	.p2align	8
	.type	_ZL50rocblas_symv_kernel_lower_double_buffered_diagonalILi32ELi4E24rocblas_internal_val_ptrIdEPKdPdEvbiT1_lT2_lllS6_lllS5_lT3_llli,@function
_ZL50rocblas_symv_kernel_lower_double_buffered_diagonalILi32ELi4E24rocblas_internal_val_ptrIdEPKdPdEvbiT1_lT2_lllS6_lllS5_lT3_llli: ; @_ZL50rocblas_symv_kernel_lower_double_buffered_diagonalILi32ELi4E24rocblas_internal_val_ptrIdEPKdPdEvbiT1_lT2_lllS6_lllS5_lT3_llli
; %bb.0:
	s_load_dword s0, s[4:5], 0x0
	s_load_dwordx16 s[8:23], s[4:5], 0x8
	s_load_dwordx8 s[24:31], s[4:5], 0x48
	s_waitcnt lgkmcnt(0)
	s_bitcmp1_b32 s0, 0
	s_cselect_b64 s[2:3], -1, 0
	v_mov_b32_e32 v2, s8
	s_xor_b64 s[0:1], s[2:3], -1
	s_and_b64 vcc, exec, s[2:3]
	v_mov_b32_e32 v3, s9
	s_cbranch_vccnz .LBB102_2
; %bb.1:
	s_mul_i32 s2, s11, s7
	s_mul_hi_u32 s3, s10, s7
	s_add_i32 s3, s3, s2
	s_mul_i32 s2, s10, s7
	s_lshl_b64 s[2:3], s[2:3], 3
	s_add_u32 s2, s8, s2
	s_addc_u32 s3, s9, s3
	v_mov_b32_e32 v2, s2
	v_mov_b32_e32 v3, s3
	flat_load_dwordx2 v[2:3], v[2:3]
.LBB102_2:
	v_mov_b32_e32 v4, s28
	s_andn2_b64 vcc, exec, s[0:1]
	v_mov_b32_e32 v5, s29
	s_cbranch_vccnz .LBB102_4
; %bb.3:
	s_mul_i32 s0, s31, s7
	s_mul_hi_u32 s1, s30, s7
	s_add_i32 s1, s1, s0
	s_mul_i32 s0, s30, s7
	s_lshl_b64 s[0:1], s[0:1], 3
	s_add_u32 s0, s28, s0
	s_addc_u32 s1, s29, s1
	v_mov_b32_e32 v5, s1
	v_mov_b32_e32 v4, s0
	flat_load_dwordx2 v[4:5], v[4:5]
.LBB102_4:
	s_waitcnt vmcnt(0) lgkmcnt(0)
	v_cmp_neq_f64_e32 vcc, 0, v[2:3]
	v_cmp_neq_f64_e64 s[0:1], 1.0, v[4:5]
	s_or_b64 s[0:1], vcc, s[0:1]
	s_and_saveexec_b64 s[2:3], s[0:1]
	s_cbranch_execz .LBB102_33
; %bb.5:
	s_load_dwordx2 s[8:9], s[4:5], 0x80
	s_load_dwordx2 s[10:11], s[4:5], 0x68
	s_load_dwordx4 s[0:3], s[4:5], 0x70
	v_cmp_eq_f64_e32 vcc, 0, v[2:3]
	s_waitcnt lgkmcnt(0)
	s_mul_i32 s5, s9, s7
	s_mul_hi_u32 s9, s8, s7
	s_mul_i32 s4, s8, s7
	s_add_i32 s5, s9, s5
	s_lshl_b64 s[4:5], s[4:5], 3
	s_add_u32 s4, s10, s4
	s_addc_u32 s5, s11, s5
	s_lshl_b64 s[0:1], s[0:1], 3
	s_add_u32 s4, s4, s0
	s_addc_u32 s5, s5, s1
	s_lshl_b32 s6, s6, 5
	s_ashr_i32 s28, s6, 31
	s_mul_i32 s0, s2, s28
	s_mul_hi_u32 s1, s2, s6
	s_add_i32 s0, s1, s0
	s_mul_i32 s1, s3, s6
	s_add_i32 s1, s0, s1
	s_mul_i32 s0, s2, s6
	s_lshl_b64 s[0:1], s[0:1], 3
	s_add_u32 s10, s4, s0
	s_addc_u32 s11, s5, s1
	s_and_saveexec_b64 s[0:1], vcc
	s_xor_b64 s[0:1], exec, s[0:1]
	s_cbranch_execz .LBB102_9
; %bb.6:
	v_cmp_eq_u32_e32 vcc, 0, v1
	s_and_saveexec_b64 s[4:5], vcc
	s_cbranch_execz .LBB102_8
; %bb.7:
	v_mad_u64_u32 v[1:2], s[8:9], s2, v0, 0
	v_mad_u64_u32 v[2:3], s[8:9], s3, v0, v[2:3]
	v_mov_b32_e32 v3, s11
	v_lshlrev_b64 v[0:1], 3, v[1:2]
	v_add_co_u32_e32 v0, vcc, s10, v0
	v_addc_co_u32_e32 v1, vcc, v3, v1, vcc
	global_load_dwordx2 v[2:3], v[0:1], off
	s_waitcnt vmcnt(0)
	v_mul_f64 v[2:3], v[4:5], v[2:3]
	global_store_dwordx2 v[0:1], v[2:3], off
.LBB102_8:
	s_or_b64 exec, exec, s[4:5]
                                        ; implicit-def: $vgpr1
                                        ; implicit-def: $vgpr0
                                        ; implicit-def: $vgpr2_vgpr3
                                        ; implicit-def: $vgpr4_vgpr5
.LBB102_9:
	s_andn2_saveexec_b64 s[0:1], s[0:1]
	s_cbranch_execz .LBB102_33
; %bb.10:
	v_mov_b32_e32 v6, 0
	v_mov_b32_e32 v7, 0
	v_cmp_eq_u32_e32 vcc, 0, v1
	s_and_saveexec_b64 s[4:5], vcc
	s_cbranch_execz .LBB102_14
; %bb.11:
	v_cmp_neq_f64_e64 s[0:1], 0, v[4:5]
	v_mov_b32_e32 v6, 0
	v_mov_b32_e32 v7, 0
	s_and_saveexec_b64 s[8:9], s[0:1]
	s_cbranch_execz .LBB102_13
; %bb.12:
	v_mad_u64_u32 v[6:7], s[0:1], s2, v0, 0
	v_mad_u64_u32 v[7:8], s[0:1], s3, v0, v[7:8]
	v_mov_b32_e32 v8, s11
	v_lshlrev_b64 v[6:7], 3, v[6:7]
	v_add_co_u32_e64 v6, s[0:1], s10, v6
	v_addc_co_u32_e64 v7, s[0:1], v8, v7, s[0:1]
	global_load_dwordx2 v[6:7], v[6:7], off
	s_waitcnt vmcnt(0)
	v_mul_f64 v[6:7], v[4:5], v[6:7]
.LBB102_13:
	s_or_b64 exec, exec, s[8:9]
	s_mul_i32 s0, s27, s7
	s_mul_hi_u32 s1, s26, s7
	s_add_i32 s1, s1, s0
	s_mul_i32 s0, s26, s7
	s_lshl_b64 s[0:1], s[0:1], 3
	s_add_u32 s8, s20, s0
	s_addc_u32 s9, s21, s1
	s_lshl_b64 s[0:1], s[22:23], 3
	s_add_u32 s20, s8, s0
	s_addc_u32 s21, s9, s1
	s_mul_i32 s0, s24, s28
	s_mul_hi_u32 s1, s24, s6
	s_add_i32 s8, s1, s0
	v_mad_u64_u32 v[8:9], s[0:1], s24, v0, 0
	s_mul_i32 s0, s25, s6
	s_add_i32 s1, s8, s0
	v_mad_u64_u32 v[9:10], s[8:9], s25, v0, v[9:10]
	s_mul_i32 s0, s24, s6
	s_lshl_b64 s[0:1], s[0:1], 3
	s_add_u32 s0, s20, s0
	v_lshlrev_b64 v[8:9], 3, v[8:9]
	s_addc_u32 s1, s21, s1
	v_mov_b32_e32 v10, s1
	v_add_co_u32_e64 v8, s[0:1], s0, v8
	v_addc_co_u32_e64 v9, s[0:1], v10, v9, s[0:1]
	global_load_dwordx2 v[8:9], v[8:9], off
	v_lshlrev_b32_e32 v10, 3, v0
	s_waitcnt vmcnt(0)
	ds_write_b64 v10, v[8:9] offset:10240
.LBB102_14:
	s_or_b64 exec, exec, s[4:5]
	s_mul_i32 s0, s19, s7
	s_mul_hi_u32 s1, s18, s7
	s_add_i32 s1, s1, s0
	s_mul_i32 s0, s18, s7
	s_lshl_b64 s[0:1], s[0:1], 3
	s_add_u32 s4, s12, s0
	s_addc_u32 s5, s13, s1
	s_lshl_b64 s[0:1], s[14:15], 3
	s_add_u32 s7, s4, s0
	s_addc_u32 s8, s5, s1
	s_add_u32 s4, s16, 1
	s_mul_i32 s0, s4, s28
	s_mul_hi_u32 s1, s4, s6
	s_addc_u32 s5, s17, 0
	s_add_i32 s9, s1, s0
	v_mad_u64_u32 v[8:9], s[0:1], s16, v1, 0
	s_mul_i32 s5, s5, s6
	s_add_i32 s1, s9, s5
	s_mul_i32 s0, s4, s6
	v_mad_u64_u32 v[9:10], s[4:5], s17, v1, v[9:10]
	s_lshl_b64 s[0:1], s[0:1], 3
	s_add_u32 s0, s7, s0
	v_lshlrev_b64 v[8:9], 3, v[8:9]
	s_addc_u32 s1, s8, s1
	v_mov_b32_e32 v10, s1
	v_add_co_u32_e64 v8, s[0:1], s0, v8
	v_addc_co_u32_e64 v9, s[0:1], v10, v9, s[0:1]
	v_lshlrev_b32_e32 v10, 3, v0
	v_add_co_u32_e64 v11, s[0:1], v8, v10
	v_addc_co_u32_e64 v12, s[0:1], 0, v9, s[0:1]
	s_lshl_b64 s[4:5], s[16:17], 5
	v_mov_b32_e32 v9, s5
	v_add_co_u32_e64 v13, s[0:1], s4, v11
	v_addc_co_u32_e64 v14, s[0:1], v12, v9, s[0:1]
	v_add_co_u32_e64 v15, s[0:1], s4, v13
	v_addc_co_u32_e64 v16, s[0:1], v14, v9, s[0:1]
	;; [unrolled: 2-line block ×3, first 2 shown]
	global_load_dwordx2 v[17:18], v[11:12], off
	global_load_dwordx2 v[19:20], v[13:14], off
	;; [unrolled: 1-line block ×4, first 2 shown]
	v_lshlrev_b32_e32 v11, 8, v1
	v_add_u32_e32 v12, v10, v11
	v_add_u32_e32 v13, 0x400, v11
	;; [unrolled: 1-line block ×7, first 2 shown]
	v_cmp_lt_u32_e64 s[0:1], 15, v0
	s_waitcnt vmcnt(3)
	ds_write_b64 v12, v[17:18]
	s_waitcnt vmcnt(2)
	ds_write_b64 v14, v[19:20]
	;; [unrolled: 2-line block ×4, first 2 shown]
	s_and_saveexec_b64 s[6:7], s[0:1]
	s_cbranch_execz .LBB102_16
; %bb.15:
	v_mov_b32_e32 v21, s5
	v_add_co_u32_e64 v8, s[0:1], s4, v8
	s_lshl_b64 s[8:9], s[16:17], 2
	v_addc_co_u32_e64 v9, s[0:1], v9, v21, s[0:1]
	s_lshl_b64 s[0:1], s[8:9], 3
	v_mov_b32_e32 v16, s1
	v_add_co_u32_e64 v15, s[0:1], s0, v8
	v_addc_co_u32_e64 v16, s[0:1], v9, v16, s[0:1]
	global_load_dwordx2 v[17:18], v[8:9], off
	global_load_dwordx2 v[19:20], v[15:16], off
	v_add_co_u32_e64 v8, s[0:1], s4, v15
	v_addc_co_u32_e64 v9, s[0:1], v16, v21, s[0:1]
	global_load_dwordx2 v[15:16], v[8:9], off
	v_add_co_u32_e64 v8, s[0:1], s4, v8
	v_addc_co_u32_e64 v9, s[0:1], v9, v21, s[0:1]
	global_load_dwordx2 v[8:9], v[8:9], off
	s_waitcnt vmcnt(2)
	ds_write2st64_b64 v12, v[17:18], v[19:20] offset0:8 offset1:10
	s_waitcnt vmcnt(0)
	ds_write2st64_b64 v12, v[15:16], v[8:9] offset0:12 offset1:14
.LBB102_16:
	s_or_b64 exec, exec, s[6:7]
	v_cmp_ge_u32_e64 s[0:1], v0, v1
	v_lshlrev_b32_e32 v15, 8, v0
	s_waitcnt lgkmcnt(0)
	s_barrier
	s_and_saveexec_b64 s[4:5], s[0:1]
	s_xor_b64 s[0:1], exec, s[4:5]
; %bb.17:
	v_lshlrev_b32_e32 v15, 8, v0
; %bb.18:
	s_or_saveexec_b64 s[0:1], s[0:1]
	v_lshlrev_b32_e32 v8, 5, v1
	v_lshlrev_b32_e32 v9, 3, v1
	s_xor_b64 exec, exec, s[0:1]
	s_cbranch_execz .LBB102_20
; %bb.19:
	v_mul_u32_u24_e32 v16, 0xf8, v0
	v_add3_u32 v16, v10, v16, v9
	ds_read_b64 v[16:17], v16
	v_lshl_add_u32 v18, v8, 3, v10
	s_waitcnt lgkmcnt(0)
	ds_write_b64 v18, v[16:17]
.LBB102_20:
	s_or_b64 exec, exec, s[0:1]
	v_sub_u32_e32 v16, v0, v1
	v_sub_u32_e32 v17, 0, v16
	v_max_i32_e32 v16, v16, v17
	v_cmp_gt_u32_e64 s[0:1], 4, v16
	v_lshl_add_u32 v15, v1, 3, v15
	s_and_saveexec_b64 s[4:5], s[0:1]
	s_cbranch_execnz .LBB102_34
; %bb.21:
	s_or_b64 exec, exec, s[4:5]
	v_cmp_gt_u32_e64 s[0:1], 8, v16
	s_and_saveexec_b64 s[4:5], s[0:1]
	s_cbranch_execnz .LBB102_35
.LBB102_22:
	s_or_b64 exec, exec, s[4:5]
	v_cmp_gt_u32_e64 s[0:1], 12, v16
	s_and_saveexec_b64 s[4:5], s[0:1]
	s_cbranch_execnz .LBB102_36
.LBB102_23:
	s_or_b64 exec, exec, s[4:5]
	v_cmp_gt_u32_e64 s[0:1], 16, v16
	s_and_saveexec_b64 s[4:5], s[0:1]
	s_cbranch_execnz .LBB102_37
.LBB102_24:
	s_or_b64 exec, exec, s[4:5]
	v_cmp_gt_u32_e64 s[0:1], 20, v16
	s_and_saveexec_b64 s[4:5], s[0:1]
	s_cbranch_execnz .LBB102_38
.LBB102_25:
	s_or_b64 exec, exec, s[4:5]
	v_cmp_gt_u32_e64 s[0:1], 24, v16
	s_and_saveexec_b64 s[4:5], s[0:1]
	s_cbranch_execz .LBB102_27
.LBB102_26:
	ds_read_b64 v[17:18], v15 offset:192
	s_waitcnt lgkmcnt(0)
	ds_write_b64 v12, v[17:18] offset:6144
.LBB102_27:
	s_or_b64 exec, exec, s[4:5]
	v_cmp_lt_u32_e64 s[0:1], 27, v16
	v_add_u32_e32 v16, 28, v1
                                        ; implicit-def: $vgpr17
	s_and_saveexec_b64 s[4:5], s[0:1]
	s_xor_b64 s[0:1], exec, s[4:5]
; %bb.28:
	v_add_u32_e32 v16, 28, v1
	v_lshlrev_b32_e32 v17, 8, v16
                                        ; implicit-def: $vgpr15
; %bb.29:
	s_andn2_saveexec_b64 s[0:1], s[0:1]
	s_cbranch_execz .LBB102_31
; %bb.30:
	ds_read_b64 v[18:19], v15 offset:224
	v_lshlrev_b32_e32 v17, 8, v16
	v_add_u32_e32 v15, v10, v17
	s_waitcnt lgkmcnt(0)
	ds_write_b64 v15, v[18:19]
.LBB102_31:
	s_or_b64 exec, exec, s[0:1]
	v_add_u32_e32 v28, 0x2800, v9
	s_waitcnt lgkmcnt(0)
	s_barrier
	ds_read2_b64 v[18:21], v28 offset1:4
	ds_read_b64 v[22:23], v12
	ds_read_b64 v[14:15], v14
	;; [unrolled: 1-line block ×4, first 2 shown]
	v_lshl_add_u32 v1, v1, 8, v10
	s_waitcnt lgkmcnt(3)
	v_fma_f64 v[11:12], v[22:23], v[18:19], 0
	s_waitcnt lgkmcnt(2)
	v_fma_f64 v[18:19], v[14:15], v[20:21], v[11:12]
	ds_read2_b64 v[11:14], v28 offset0:8 offset1:12
	s_waitcnt lgkmcnt(0)
	v_fma_f64 v[11:12], v[24:25], v[11:12], v[18:19]
	v_fma_f64 v[22:23], v[26:27], v[13:14], v[11:12]
	ds_read2st64_b64 v[11:14], v1 offset0:8 offset1:10
	ds_read2_b64 v[18:21], v28 offset0:16 offset1:20
	s_waitcnt lgkmcnt(0)
	v_fma_f64 v[11:12], v[11:12], v[18:19], v[22:23]
	v_fma_f64 v[11:12], v[13:14], v[20:21], v[11:12]
	ds_read_b64 v[13:14], v9 offset:10432
	ds_read_b64 v[18:19], v1 offset:6144
	v_add_u32_e32 v1, v10, v17
	v_lshlrev_b32_e32 v9, 3, v16
	ds_read_b64 v[15:16], v1
	ds_read_b64 v[20:21], v9 offset:10240
	v_add_lshl_u32 v1, v8, v0, 3
	s_waitcnt lgkmcnt(2)
	v_fma_f64 v[11:12], v[18:19], v[13:14], v[11:12]
	s_waitcnt lgkmcnt(0)
	v_fma_f64 v[11:12], v[15:16], v[20:21], v[11:12]
	ds_write_b64 v1, v[11:12] offset:8192
	s_waitcnt lgkmcnt(0)
	s_barrier
	s_and_saveexec_b64 s[0:1], vcc
	s_cbranch_execz .LBB102_33
; %bb.32:
	v_add_u32_e32 v1, 0x2000, v10
	ds_read2_b64 v[8:11], v1 offset1:32
	v_cmp_neq_f64_e32 vcc, 0, v[4:5]
	v_mov_b32_e32 v4, s11
	s_waitcnt lgkmcnt(0)
	v_add_f64 v[8:9], v[8:9], 0
	v_add_f64 v[12:13], v[8:9], v[10:11]
	ds_read2_b64 v[8:11], v1 offset0:64 offset1:96
	s_waitcnt lgkmcnt(0)
	v_add_f64 v[8:9], v[12:13], v[8:9]
	v_add_f64 v[8:9], v[8:9], v[10:11]
	v_mad_u64_u32 v[10:11], s[0:1], s2, v0, 0
	v_mov_b32_e32 v1, v11
	v_mul_f64 v[12:13], v[2:3], v[8:9]
	v_fma_f64 v[2:3], v[2:3], v[8:9], v[6:7]
	v_mad_u64_u32 v[0:1], s[0:1], s3, v0, v[1:2]
	v_cndmask_b32_e32 v3, v13, v3, vcc
	v_cndmask_b32_e32 v2, v12, v2, vcc
	v_mov_b32_e32 v11, v0
	v_lshlrev_b64 v[0:1], 3, v[10:11]
	v_add_co_u32_e32 v0, vcc, s10, v0
	v_addc_co_u32_e32 v1, vcc, v4, v1, vcc
	global_store_dwordx2 v[0:1], v[2:3], off
.LBB102_33:
	s_endpgm
.LBB102_34:
	ds_read_b64 v[17:18], v15 offset:32
	s_waitcnt lgkmcnt(0)
	ds_write_b64 v14, v[17:18]
	s_or_b64 exec, exec, s[4:5]
	v_cmp_gt_u32_e64 s[0:1], 8, v16
	s_and_saveexec_b64 s[4:5], s[0:1]
	s_cbranch_execz .LBB102_22
.LBB102_35:
	ds_read_b64 v[17:18], v15 offset:64
	s_waitcnt lgkmcnt(0)
	ds_write_b64 v13, v[17:18]
	s_or_b64 exec, exec, s[4:5]
	v_cmp_gt_u32_e64 s[0:1], 12, v16
	s_and_saveexec_b64 s[4:5], s[0:1]
	s_cbranch_execz .LBB102_23
.LBB102_36:
	ds_read_b64 v[17:18], v15 offset:96
	s_waitcnt lgkmcnt(0)
	ds_write_b64 v11, v[17:18]
	s_or_b64 exec, exec, s[4:5]
	v_cmp_gt_u32_e64 s[0:1], 16, v16
	s_and_saveexec_b64 s[4:5], s[0:1]
	s_cbranch_execz .LBB102_24
.LBB102_37:
	ds_read_b64 v[17:18], v15 offset:128
	s_waitcnt lgkmcnt(0)
	ds_write_b64 v12, v[17:18] offset:4096
	s_or_b64 exec, exec, s[4:5]
	v_cmp_gt_u32_e64 s[0:1], 20, v16
	s_and_saveexec_b64 s[4:5], s[0:1]
	s_cbranch_execz .LBB102_25
.LBB102_38:
	ds_read_b64 v[17:18], v15 offset:160
	s_waitcnt lgkmcnt(0)
	ds_write_b64 v12, v[17:18] offset:5120
	s_or_b64 exec, exec, s[4:5]
	v_cmp_gt_u32_e64 s[0:1], 24, v16
	s_and_saveexec_b64 s[4:5], s[0:1]
	s_cbranch_execnz .LBB102_26
	s_branch .LBB102_27
	.section	.rodata,"a",@progbits
	.p2align	6, 0x0
	.amdhsa_kernel _ZL50rocblas_symv_kernel_lower_double_buffered_diagonalILi32ELi4E24rocblas_internal_val_ptrIdEPKdPdEvbiT1_lT2_lllS6_lllS5_lT3_llli
		.amdhsa_group_segment_fixed_size 10496
		.amdhsa_private_segment_fixed_size 0
		.amdhsa_kernarg_size 140
		.amdhsa_user_sgpr_count 6
		.amdhsa_user_sgpr_private_segment_buffer 1
		.amdhsa_user_sgpr_dispatch_ptr 0
		.amdhsa_user_sgpr_queue_ptr 0
		.amdhsa_user_sgpr_kernarg_segment_ptr 1
		.amdhsa_user_sgpr_dispatch_id 0
		.amdhsa_user_sgpr_flat_scratch_init 0
		.amdhsa_user_sgpr_private_segment_size 0
		.amdhsa_uses_dynamic_stack 0
		.amdhsa_system_sgpr_private_segment_wavefront_offset 0
		.amdhsa_system_sgpr_workgroup_id_x 1
		.amdhsa_system_sgpr_workgroup_id_y 0
		.amdhsa_system_sgpr_workgroup_id_z 1
		.amdhsa_system_sgpr_workgroup_info 0
		.amdhsa_system_vgpr_workitem_id 1
		.amdhsa_next_free_vgpr 65
		.amdhsa_next_free_sgpr 98
		.amdhsa_reserve_vcc 1
		.amdhsa_reserve_flat_scratch 0
		.amdhsa_float_round_mode_32 0
		.amdhsa_float_round_mode_16_64 0
		.amdhsa_float_denorm_mode_32 3
		.amdhsa_float_denorm_mode_16_64 3
		.amdhsa_dx10_clamp 1
		.amdhsa_ieee_mode 1
		.amdhsa_fp16_overflow 0
		.amdhsa_exception_fp_ieee_invalid_op 0
		.amdhsa_exception_fp_denorm_src 0
		.amdhsa_exception_fp_ieee_div_zero 0
		.amdhsa_exception_fp_ieee_overflow 0
		.amdhsa_exception_fp_ieee_underflow 0
		.amdhsa_exception_fp_ieee_inexact 0
		.amdhsa_exception_int_div_zero 0
	.end_amdhsa_kernel
	.section	.text._ZL50rocblas_symv_kernel_lower_double_buffered_diagonalILi32ELi4E24rocblas_internal_val_ptrIdEPKdPdEvbiT1_lT2_lllS6_lllS5_lT3_llli,"axG",@progbits,_ZL50rocblas_symv_kernel_lower_double_buffered_diagonalILi32ELi4E24rocblas_internal_val_ptrIdEPKdPdEvbiT1_lT2_lllS6_lllS5_lT3_llli,comdat
.Lfunc_end102:
	.size	_ZL50rocblas_symv_kernel_lower_double_buffered_diagonalILi32ELi4E24rocblas_internal_val_ptrIdEPKdPdEvbiT1_lT2_lllS6_lllS5_lT3_llli, .Lfunc_end102-_ZL50rocblas_symv_kernel_lower_double_buffered_diagonalILi32ELi4E24rocblas_internal_val_ptrIdEPKdPdEvbiT1_lT2_lllS6_lllS5_lT3_llli
                                        ; -- End function
	.set _ZL50rocblas_symv_kernel_lower_double_buffered_diagonalILi32ELi4E24rocblas_internal_val_ptrIdEPKdPdEvbiT1_lT2_lllS6_lllS5_lT3_llli.num_vgpr, 29
	.set _ZL50rocblas_symv_kernel_lower_double_buffered_diagonalILi32ELi4E24rocblas_internal_val_ptrIdEPKdPdEvbiT1_lT2_lllS6_lllS5_lT3_llli.num_agpr, 0
	.set _ZL50rocblas_symv_kernel_lower_double_buffered_diagonalILi32ELi4E24rocblas_internal_val_ptrIdEPKdPdEvbiT1_lT2_lllS6_lllS5_lT3_llli.numbered_sgpr, 32
	.set _ZL50rocblas_symv_kernel_lower_double_buffered_diagonalILi32ELi4E24rocblas_internal_val_ptrIdEPKdPdEvbiT1_lT2_lllS6_lllS5_lT3_llli.num_named_barrier, 0
	.set _ZL50rocblas_symv_kernel_lower_double_buffered_diagonalILi32ELi4E24rocblas_internal_val_ptrIdEPKdPdEvbiT1_lT2_lllS6_lllS5_lT3_llli.private_seg_size, 0
	.set _ZL50rocblas_symv_kernel_lower_double_buffered_diagonalILi32ELi4E24rocblas_internal_val_ptrIdEPKdPdEvbiT1_lT2_lllS6_lllS5_lT3_llli.uses_vcc, 1
	.set _ZL50rocblas_symv_kernel_lower_double_buffered_diagonalILi32ELi4E24rocblas_internal_val_ptrIdEPKdPdEvbiT1_lT2_lllS6_lllS5_lT3_llli.uses_flat_scratch, 0
	.set _ZL50rocblas_symv_kernel_lower_double_buffered_diagonalILi32ELi4E24rocblas_internal_val_ptrIdEPKdPdEvbiT1_lT2_lllS6_lllS5_lT3_llli.has_dyn_sized_stack, 0
	.set _ZL50rocblas_symv_kernel_lower_double_buffered_diagonalILi32ELi4E24rocblas_internal_val_ptrIdEPKdPdEvbiT1_lT2_lllS6_lllS5_lT3_llli.has_recursion, 0
	.set _ZL50rocblas_symv_kernel_lower_double_buffered_diagonalILi32ELi4E24rocblas_internal_val_ptrIdEPKdPdEvbiT1_lT2_lllS6_lllS5_lT3_llli.has_indirect_call, 0
	.section	.AMDGPU.csdata,"",@progbits
; Kernel info:
; codeLenInByte = 2076
; TotalNumSgprs: 36
; NumVgprs: 29
; ScratchSize: 0
; MemoryBound: 0
; FloatMode: 240
; IeeeMode: 1
; LDSByteSize: 10496 bytes/workgroup (compile time only)
; SGPRBlocks: 12
; VGPRBlocks: 16
; NumSGPRsForWavesPerEU: 102
; NumVGPRsForWavesPerEU: 65
; Occupancy: 3
; WaveLimiterHint : 0
; COMPUTE_PGM_RSRC2:SCRATCH_EN: 0
; COMPUTE_PGM_RSRC2:USER_SGPR: 6
; COMPUTE_PGM_RSRC2:TRAP_HANDLER: 0
; COMPUTE_PGM_RSRC2:TGID_X_EN: 1
; COMPUTE_PGM_RSRC2:TGID_Y_EN: 0
; COMPUTE_PGM_RSRC2:TGID_Z_EN: 1
; COMPUTE_PGM_RSRC2:TIDIG_COMP_CNT: 1
	.section	.text._ZL54rocblas_symv_kernel_lower_double_buffered_non_diagonalILi32ELi4ELi4E24rocblas_internal_val_ptrIdEPKdPdEvbiT2_lT3_lllS6_lllT4_llli,"axG",@progbits,_ZL54rocblas_symv_kernel_lower_double_buffered_non_diagonalILi32ELi4ELi4E24rocblas_internal_val_ptrIdEPKdPdEvbiT2_lT3_lllS6_lllT4_llli,comdat
	.globl	_ZL54rocblas_symv_kernel_lower_double_buffered_non_diagonalILi32ELi4ELi4E24rocblas_internal_val_ptrIdEPKdPdEvbiT2_lT3_lllS6_lllT4_llli ; -- Begin function _ZL54rocblas_symv_kernel_lower_double_buffered_non_diagonalILi32ELi4ELi4E24rocblas_internal_val_ptrIdEPKdPdEvbiT2_lT3_lllS6_lllT4_llli
	.p2align	8
	.type	_ZL54rocblas_symv_kernel_lower_double_buffered_non_diagonalILi32ELi4ELi4E24rocblas_internal_val_ptrIdEPKdPdEvbiT2_lT3_lllS6_lllT4_llli,@function
_ZL54rocblas_symv_kernel_lower_double_buffered_non_diagonalILi32ELi4ELi4E24rocblas_internal_val_ptrIdEPKdPdEvbiT2_lT3_lllS6_lllT4_llli: ; @_ZL54rocblas_symv_kernel_lower_double_buffered_non_diagonalILi32ELi4ELi4E24rocblas_internal_val_ptrIdEPKdPdEvbiT2_lT3_lllS6_lllT4_llli
; %bb.0:
	s_load_dword s0, s[4:5], 0x0
	s_load_dwordx16 s[12:27], s[4:5], 0x8
	s_waitcnt lgkmcnt(0)
	s_bitcmp1_b32 s0, 0
	s_cselect_b64 s[0:1], -1, 0
	v_mov_b32_e32 v5, s12
	s_and_b64 vcc, exec, s[0:1]
	v_mov_b32_e32 v6, s13
	s_cbranch_vccnz .LBB103_2
; %bb.1:
	s_mul_i32 s0, s15, s8
	s_mul_hi_u32 s1, s14, s8
	s_add_i32 s1, s1, s0
	s_mul_i32 s0, s14, s8
	s_lshl_b64 s[0:1], s[0:1], 3
	s_add_u32 s0, s12, s0
	s_addc_u32 s1, s13, s1
	v_mov_b32_e32 v3, s1
	v_mov_b32_e32 v2, s0
	flat_load_dwordx2 v[5:6], v[2:3]
.LBB103_2:
	s_waitcnt vmcnt(0) lgkmcnt(0)
	v_cmp_neq_f64_e32 vcc, 0, v[5:6]
	s_and_saveexec_b64 s[0:1], vcc
	s_cbranch_execz .LBB103_27
; %bb.3:
	s_load_dwordx2 s[2:3], s[4:5], 0x80
	s_waitcnt lgkmcnt(0)
	v_cvt_f32_u32_e32 v2, s3
	s_add_i32 s0, s2, -1
	s_cmp_eq_u32 s6, s0
	v_rcp_iflag_f32_e32 v2, v2
	v_mul_f32_e32 v2, 0x4f7ffffe, v2
	v_cvt_u32_f32_e32 v2, v2
	v_readfirstlane_b32 s0, v2
	s_cbranch_scc1 .LBB103_27
; %bb.4:
	s_not_b32 s1, s6
	s_load_dwordx4 s[12:15], s[4:5], 0x48
	s_add_i32 s2, s2, s1
	s_sub_i32 s1, 0, s3
	s_mul_i32 s1, s1, s0
	s_mul_hi_u32 s1, s0, s1
	s_add_i32 s0, s0, s1
	s_mul_hi_u32 s28, s2, s0
	s_waitcnt lgkmcnt(0)
	s_mul_i32 s0, s15, s8
	s_mul_hi_u32 s1, s14, s8
	s_add_i32 s1, s1, s0
	s_mul_i32 s0, s14, s8
	s_lshl_b64 s[0:1], s[0:1], 3
	s_add_u32 s9, s24, s0
	s_addc_u32 s10, s25, s1
	s_lshl_b64 s[0:1], s[26:27], 3
	s_add_u32 s11, s9, s0
	s_addc_u32 s10, s10, s1
	s_lshl_b32 s9, s6, 5
	s_ashr_i32 s27, s9, 31
	s_mul_i32 s0, s12, s27
	s_mul_hi_u32 s1, s12, s9
	s_add_i32 s0, s1, s0
	s_mul_i32 s1, s13, s9
	s_add_i32 s1, s0, s1
	s_mul_i32 s0, s12, s9
	s_lshl_b64 s[0:1], s[0:1], 3
	s_add_u32 s15, s11, s0
	s_addc_u32 s26, s10, s1
	v_cmp_eq_u32_e32 vcc, 0, v1
	s_and_saveexec_b64 s[10:11], vcc
	s_cbranch_execz .LBB103_6
; %bb.5:
	v_mad_u64_u32 v[2:3], s[0:1], s12, v0, 0
	v_mad_u64_u32 v[3:4], s[0:1], s13, v0, v[3:4]
	v_mov_b32_e32 v4, s26
	v_lshlrev_b64 v[2:3], 3, v[2:3]
	v_add_co_u32_e64 v2, s[0:1], s15, v2
	v_addc_co_u32_e64 v3, s[0:1], v4, v3, s[0:1]
	global_load_dwordx2 v[2:3], v[2:3], off
	v_lshlrev_b32_e32 v4, 3, v0
	s_waitcnt vmcnt(0)
	ds_write_b64 v4, v[2:3] offset:6144
.LBB103_6:
	s_or_b64 exec, exec, s[10:11]
	s_mul_i32 s0, s28, s3
	s_sub_i32 s0, s2, s0
	s_add_i32 s1, s28, 1
	s_sub_i32 s6, s0, s3
	s_cmp_ge_u32 s0, s3
	s_cselect_b32 s1, s1, s28
	s_cselect_b32 s0, s6, s0
	s_add_i32 s6, s1, 1
	s_cmp_ge_u32 s0, s3
	s_cselect_b32 s6, s6, s1
	s_add_i32 s0, s3, -1
	s_cmp_lg_u32 s7, s0
	s_mov_b32 s14, s6
	s_cbranch_scc1 .LBB103_8
; %bb.7:
	s_mul_i32 s0, s6, s3
	s_sub_i32 s0, s2, s0
	s_add_i32 s14, s0, s6
.LBB103_8:
	s_cmp_eq_u32 s14, 0
	s_cbranch_scc1 .LBB103_27
; %bb.9:
	s_load_dwordx2 s[10:11], s[4:5], 0x70
	s_load_dwordx2 s[24:25], s[4:5], 0x58
	s_load_dwordx4 s[0:3], s[4:5], 0x60
	v_lshl_add_u32 v1, v1, 5, v0
	v_and_b32_e32 v7, 15, v0
	s_waitcnt lgkmcnt(0)
	s_mul_i32 s5, s11, s8
	s_mul_hi_u32 s11, s10, s8
	s_mul_i32 s4, s10, s8
	s_add_i32 s5, s11, s5
	s_lshl_b64 s[4:5], s[4:5], 3
	s_add_u32 s4, s24, s4
	s_addc_u32 s5, s25, s5
	s_lshl_b64 s[0:1], s[0:1], 3
	s_add_u32 s4, s4, s0
	s_addc_u32 s5, s5, s1
	s_mul_i32 s0, s2, s27
	s_mul_hi_u32 s1, s2, s9
	s_add_i32 s0, s1, s0
	s_mul_i32 s1, s3, s9
	s_add_i32 s1, s0, s1
	s_mul_i32 s0, s2, s9
	s_lshl_b64 s[0:1], s[0:1], 3
	s_add_u32 s24, s4, s0
	s_addc_u32 s25, s5, s1
	v_lshrrev_b32_e32 v58, 4, v1
	s_cmp_lt_i32 s14, 1
	s_barrier
	s_cbranch_scc1 .LBB103_18
; %bb.10:
	s_mul_i32 s7, s7, s6
	s_mul_i32 s0, s23, s8
	s_mul_hi_u32 s1, s22, s8
	s_lshl_b32 s6, s7, 5
	s_add_i32 s1, s1, s0
	s_mul_i32 s0, s22, s8
	s_ashr_i32 s7, s6, 31
	s_lshl_b64 s[0:1], s[0:1], 3
	s_add_u32 s4, s16, s0
	s_addc_u32 s5, s17, s1
	s_lshl_b64 s[0:1], s[18:19], 3
	s_add_u32 s8, s4, s0
	s_addc_u32 s10, s5, s1
	s_add_u32 s0, s20, 1
	s_addc_u32 s1, s21, 0
	s_mul_i32 s4, s0, s27
	s_mul_hi_u32 s5, s0, s9
	s_add_i32 s4, s5, s4
	s_mul_i32 s1, s1, s9
	v_lshlrev_b32_e32 v3, 2, v58
	v_mov_b32_e32 v8, 0
	s_add_i32 s1, s4, s1
	v_mad_u64_u32 v[1:2], s[4:5], s20, v3, v[7:8]
	s_mul_i32 s0, s0, s9
	s_lshl_b64 s[0:1], s[0:1], 3
	s_add_u32 s4, s8, s0
	s_addc_u32 s5, s10, s1
	v_mad_u64_u32 v[2:3], s[0:1], s21, v3, v[2:3]
	s_lshl_b64 s[0:1], s[6:7], 3
	s_add_u32 s8, s4, s0
	v_lshlrev_b64 v[10:11], 3, v[1:2]
	s_addc_u32 s9, s5, s1
	v_mov_b32_e32 v2, s9
	v_add_co_u32_e64 v1, s[0:1], s8, v10
	v_addc_co_u32_e64 v2, s[0:1], v2, v11, s[0:1]
	s_lshl_b64 s[4:5], s[20:21], 3
	v_mov_b32_e32 v13, s5
	v_add_co_u32_e64 v3, s[0:1], s4, v1
	v_addc_co_u32_e64 v4, s[0:1], v2, v13, s[0:1]
	v_add_co_u32_e64 v8, s[0:1], s4, v3
	v_addc_co_u32_e64 v9, s[0:1], v4, v13, s[0:1]
	;; [unrolled: 2-line block ×3, first 2 shown]
	global_load_dwordx2 v[26:27], v[1:2], off offset:256
	global_load_dwordx2 v[28:29], v[3:4], off offset:256
	global_load_dwordx2 v[30:31], v[8:9], off offset:256
	global_load_dwordx2 v[32:33], v[12:13], off offset:256
	s_mul_i32 s0, s2, s7
	s_mul_hi_u32 s1, s2, s6
	s_add_i32 s0, s1, s0
	s_mul_i32 s1, s3, s6
	s_add_i32 s1, s0, s1
	s_mul_i32 s0, s2, s6
	s_lshl_b64 s[10:11], s[12:13], 8
	s_lshl_b64 s[0:1], s[0:1], 3
	s_add_u32 s0, s24, s0
	s_mul_i32 s7, s12, s7
	s_mul_hi_u32 s16, s12, s6
	s_addc_u32 s1, s25, s1
	s_add_i32 s7, s16, s7
	s_mul_i32 s16, s13, s6
	s_add_i32 s7, s7, s16
	s_mul_i32 s6, s12, s6
	s_lshl_b64 s[6:7], s[6:7], 3
	s_add_u32 s16, s15, s6
	v_or_b32_e32 v12, 16, v7
	s_addc_u32 s17, s26, s7
	v_mad_u64_u32 v[1:2], s[6:7], s12, v7, 0
	v_mad_u64_u32 v[3:4], s[6:7], s12, v12, 0
	v_mov_b32_e32 v14, 0x1000
	v_lshl_or_b32 v16, v7, 3, v14
	v_mad_u64_u32 v[8:9], s[6:7], s13, v7, v[2:3]
	v_mov_b32_e32 v2, v4
	v_mad_u64_u32 v[12:13], s[6:7], s13, v12, v[2:3]
	v_mov_b32_e32 v2, v8
	;; [unrolled: 2-line block ×3, first 2 shown]
	v_mov_b32_e32 v12, 0x1800
	v_lshl_add_u32 v61, v58, 5, v12
	v_mad_u64_u32 v[12:13], s[6:7], s3, v0, v[9:10]
	v_lshlrev_b32_e32 v17, 8, v58
	s_lshl_b64 s[6:7], s[2:3], 8
	v_lshl_or_b32 v59, v0, 3, v14
	v_mov_b32_e32 v14, 0
	v_lshlrev_b64 v[24:25], 3, v[1:2]
	v_lshlrev_b64 v[18:19], 3, v[3:4]
	v_mov_b32_e32 v9, v12
	v_mov_b32_e32 v15, 0
	s_cmp_eq_u32 s14, 1
	v_add_u32_e32 v60, v16, v17
	s_cbranch_scc1 .LBB103_19
; %bb.11:
	s_add_u32 s8, s8, 0x100
	s_addc_u32 s9, s9, 0
	s_add_i32 s18, s14, -2
	s_lshl_b64 s[12:13], s[20:21], 4
	s_sub_u32 s19, 0, s12
	s_subb_u32 s12, 0, s13
	v_mov_b32_e32 v16, 0
	v_mov_b32_e32 v13, s1
	;; [unrolled: 1-line block ×6, first 2 shown]
	s_mov_b32 s20, 0
	v_mov_b32_e32 v12, s0
	v_mov_b32_e32 v62, s5
	;; [unrolled: 1-line block ×7, first 2 shown]
.LBB103_12:                             ; =>This Loop Header: Depth=1
                                        ;     Child Loop BB103_14 Depth 2
	s_add_u32 s16, s16, s10
	s_addc_u32 s17, s17, s11
	v_mov_b32_e32 v2, s17
	v_add_co_u32_e64 v1, s[0:1], s16, v24
	v_addc_co_u32_e64 v2, s[0:1], v2, v25, s[0:1]
	v_mov_b32_e32 v4, s9
	v_add_co_u32_e64 v3, s[0:1], s8, v10
	v_addc_co_u32_e64 v4, s[0:1], v4, v11, s[0:1]
	global_load_dwordx2 v[42:43], v[3:4], off offset:128
	v_mov_b32_e32 v35, s17
	v_add_co_u32_e64 v34, s[0:1], s16, v18
	v_addc_co_u32_e64 v35, s[0:1], v35, v19, s[0:1]
	v_add_co_u32_e64 v36, s[0:1], s4, v3
	v_addc_co_u32_e64 v37, s[0:1], v4, v64, s[0:1]
	global_load_dwordx2 v[46:47], v[36:37], off offset:128
	global_load_dwordx2 v[48:49], v[1:2], off
	global_load_dwordx2 v[44:45], v[34:35], off
	v_add_co_u32_e64 v1, s[0:1], s4, v36
	v_addc_co_u32_e64 v2, s[0:1], v37, v62, s[0:1]
	global_load_dwordx2 v[50:51], v[1:2], off offset:128
	v_add_co_u32_e64 v1, s[0:1], s4, v1
	v_addc_co_u32_e64 v2, s[0:1], v2, v62, s[0:1]
	global_load_dwordx2 v[52:53], v[1:2], off offset:128
	global_load_dwordx2 v[34:35], v[3:4], off offset:256
	v_add_co_u32_e64 v1, s[0:1], s19, v1
	v_addc_co_u32_e64 v2, s[0:1], v2, v63, s[0:1]
	v_add_co_u32_e64 v3, s[0:1], s4, v1
	v_addc_co_u32_e64 v4, s[0:1], v2, v62, s[0:1]
	;; [unrolled: 2-line block ×3, first 2 shown]
	global_load_dwordx2 v[40:41], v[1:2], off offset:256
	global_load_dwordx2 v[38:39], v[3:4], off offset:256
	;; [unrolled: 1-line block ×3, first 2 shown]
	ds_read_b128 v[1:4], v61
	ds_read_b128 v[54:57], v61 offset:16
	s_waitcnt vmcnt(0) lgkmcnt(0)
	s_barrier
	v_fma_f64 v[65:66], v[26:27], v[1:2], 0
	v_fma_f64 v[65:66], v[28:29], v[3:4], v[65:66]
	;; [unrolled: 1-line block ×8, first 2 shown]
	ds_write2_b64 v60, v[3:4], v[1:2] offset1:16
	s_waitcnt lgkmcnt(0)
	s_barrier
	s_and_saveexec_b64 s[12:13], vcc
	s_cbranch_execz .LBB103_16
; %bb.13:                               ;   in Loop: Header=BB103_12 Depth=1
	v_mov_b32_e32 v1, s7
	v_add_co_u32_e64 v12, s[0:1], s6, v12
	v_addc_co_u32_e64 v13, s[0:1], v13, v1, s[0:1]
	v_lshlrev_b64 v[1:2], 3, v[8:9]
	ds_read2_b64 v[65:68], v59 offset1:32
	v_add_co_u32_e64 v54, s[0:1], v12, v1
	v_addc_co_u32_e64 v55, s[0:1], v13, v2, s[0:1]
	global_load_dwordx2 v[3:4], v[54:55], off
	s_waitcnt lgkmcnt(0)
	v_add_f64 v[1:2], v[65:66], 0
	s_mov_b64 s[14:15], 0
	v_add_f64 v[1:2], v[1:2], v[67:68]
	ds_read2_b64 v[65:68], v59 offset0:64 offset1:96
	s_waitcnt lgkmcnt(0)
	v_add_f64 v[1:2], v[1:2], v[65:66]
	v_add_f64 v[1:2], v[1:2], v[67:68]
	ds_read2_b64 v[65:68], v59 offset0:128 offset1:160
	s_waitcnt lgkmcnt(0)
	v_add_f64 v[1:2], v[1:2], v[65:66]
	;; [unrolled: 4-line block ×3, first 2 shown]
	v_add_f64 v[1:2], v[1:2], v[67:68]
	v_mul_f64 v[56:57], v[5:6], v[1:2]
.LBB103_14:                             ;   Parent Loop BB103_12 Depth=1
                                        ; =>  This Inner Loop Header: Depth=2
	s_waitcnt vmcnt(0)
	v_add_f64 v[1:2], v[3:4], v[56:57]
	global_atomic_cmpswap_x2 v[1:2], v[54:55], v[1:4], off glc
	s_waitcnt vmcnt(0)
	v_cmp_eq_u64_e64 s[0:1], v[1:2], v[3:4]
	v_mov_b32_e32 v4, v2
	s_or_b64 s[14:15], s[0:1], s[14:15]
	v_mov_b32_e32 v3, v1
	s_andn2_b64 exec, exec, s[14:15]
	s_cbranch_execnz .LBB103_14
; %bb.15:                               ;   in Loop: Header=BB103_12 Depth=1
	s_or_b64 exec, exec, s[14:15]
.LBB103_16:                             ;   in Loop: Header=BB103_12 Depth=1
	s_or_b64 exec, exec, s[12:13]
	v_fma_f64 v[1:2], v[48:49], v[26:27], v[16:17]
	v_fma_f64 v[3:4], v[48:49], v[28:29], v[22:23]
	;; [unrolled: 1-line block ×4, first 2 shown]
	s_add_u32 s0, s8, 0x100
	s_addc_u32 s1, s9, 0
	s_add_i32 s12, s20, 1
	s_cmp_eq_u32 s20, s18
	v_fma_f64 v[16:17], v[44:45], v[42:43], v[1:2]
	v_fma_f64 v[22:23], v[44:45], v[46:47], v[3:4]
	;; [unrolled: 1-line block ×4, first 2 shown]
	s_cbranch_scc1 .LBB103_20
; %bb.17:                               ;   in Loop: Header=BB103_12 Depth=1
	v_mov_b32_e32 v26, v34
	v_mov_b32_e32 v28, v40
	;; [unrolled: 1-line block ×4, first 2 shown]
	s_mov_b32 s20, s12
	s_mov_b64 s[8:9], s[0:1]
	v_mov_b32_e32 v27, v35
	v_mov_b32_e32 v29, v41
	;; [unrolled: 1-line block ×4, first 2 shown]
	s_branch .LBB103_12
.LBB103_18:
	v_mov_b32_e32 v1, 0
	v_mov_b32_e32 v3, 0
	;; [unrolled: 1-line block ×8, first 2 shown]
	s_branch .LBB103_24
.LBB103_19:
	v_mov_b32_e32 v13, s1
	s_waitcnt vmcnt(0)
	v_mov_b32_e32 v37, v33
	v_mov_b32_e32 v39, v31
	;; [unrolled: 1-line block ×15, first 2 shown]
.LBB103_20:
	v_mov_b32_e32 v2, s9
	v_add_co_u32_e64 v1, s[0:1], s8, v10
	v_addc_co_u32_e64 v2, s[0:1], v2, v11, s[0:1]
	global_load_dwordx2 v[10:11], v[1:2], off offset:384
	v_mov_b32_e32 v3, s5
	v_add_co_u32_e64 v1, s[0:1], s4, v1
	v_addc_co_u32_e64 v2, s[0:1], v2, v3, s[0:1]
	global_load_dwordx2 v[26:27], v[1:2], off offset:384
	;; [unrolled: 4-line block ×3, first 2 shown]
	s_add_u32 s8, s16, s10
	s_addc_u32 s9, s17, s11
	v_mov_b32_e32 v4, s9
	v_add_co_u32_e64 v3, s[0:1], s8, v24
	v_addc_co_u32_e64 v4, s[0:1], v4, v25, s[0:1]
	v_add_co_u32_e64 v1, s[0:1], s4, v1
	v_addc_co_u32_e64 v2, s[0:1], v2, v30, s[0:1]
	global_load_dwordx2 v[24:25], v[1:2], off offset:384
	global_load_dwordx2 v[42:43], v[3:4], off
	v_mov_b32_e32 v2, s9
	v_add_co_u32_e64 v1, s[0:1], s8, v18
	v_addc_co_u32_e64 v2, s[0:1], v2, v19, s[0:1]
	global_load_dwordx2 v[18:19], v[1:2], off
	ds_read_b128 v[1:4], v61
	ds_read_b128 v[30:33], v61 offset:16
	s_mov_b64 s[4:5], 0
	s_waitcnt vmcnt(0) lgkmcnt(0)
	s_barrier
	v_fma_f64 v[44:45], v[34:35], v[1:2], 0
	v_fma_f64 v[44:45], v[40:41], v[3:4], v[44:45]
	;; [unrolled: 1-line block ×12, first 2 shown]
	ds_write2_b64 v60, v[3:4], v[1:2] offset1:16
	s_waitcnt lgkmcnt(0)
	s_barrier
	s_and_saveexec_b64 s[8:9], vcc
	s_cbranch_execz .LBB103_23
; %bb.21:
	v_mov_b32_e32 v1, s7
	v_add_co_u32_e64 v3, s[0:1], s6, v12
	v_addc_co_u32_e64 v4, s[0:1], v13, v1, s[0:1]
	v_lshlrev_b64 v[1:2], 3, v[8:9]
	ds_read2_b64 v[30:33], v59 offset1:32
	v_add_co_u32_e64 v8, s[0:1], v3, v1
	v_addc_co_u32_e64 v9, s[0:1], v4, v2, s[0:1]
	global_load_dwordx2 v[3:4], v[8:9], off
	s_waitcnt lgkmcnt(0)
	v_add_f64 v[1:2], v[30:31], 0
	v_add_f64 v[1:2], v[1:2], v[32:33]
	ds_read2_b64 v[30:33], v59 offset0:64 offset1:96
	s_waitcnt lgkmcnt(0)
	v_add_f64 v[1:2], v[1:2], v[30:31]
	v_add_f64 v[1:2], v[1:2], v[32:33]
	ds_read2_b64 v[30:33], v59 offset0:128 offset1:160
	;; [unrolled: 4-line block ×3, first 2 shown]
	s_waitcnt lgkmcnt(0)
	v_add_f64 v[1:2], v[1:2], v[30:31]
	v_add_f64 v[1:2], v[1:2], v[32:33]
	v_mul_f64 v[12:13], v[5:6], v[1:2]
.LBB103_22:                             ; =>This Inner Loop Header: Depth=1
	s_waitcnt vmcnt(0)
	v_add_f64 v[1:2], v[3:4], v[12:13]
	global_atomic_cmpswap_x2 v[1:2], v[8:9], v[1:4], off glc
	s_waitcnt vmcnt(0)
	v_cmp_eq_u64_e64 s[0:1], v[1:2], v[3:4]
	v_mov_b32_e32 v4, v2
	s_or_b64 s[4:5], s[0:1], s[4:5]
	v_mov_b32_e32 v3, v1
	s_andn2_b64 exec, exec, s[4:5]
	s_cbranch_execnz .LBB103_22
.LBB103_23:
	s_or_b64 exec, exec, s[8:9]
	v_fma_f64 v[10:11], v[18:19], v[10:11], v[16:17]
	v_fma_f64 v[8:9], v[18:19], v[26:27], v[22:23]
	v_fma_f64 v[3:4], v[18:19], v[28:29], v[20:21]
	v_fma_f64 v[1:2], v[18:19], v[24:25], v[14:15]
.LBB103_24:
	v_lshlrev_b32_e32 v12, 9, v58
	v_lshl_or_b32 v12, v7, 3, v12
	ds_write2_b64 v12, v[10:11], v[8:9] offset1:16
	ds_write2_b64 v12, v[3:4], v[1:2] offset0:32 offset1:48
	s_waitcnt lgkmcnt(0)
	s_barrier
	s_and_b64 exec, exec, vcc
	s_cbranch_execz .LBB103_27
; %bb.25:
	v_lshlrev_b32_e32 v19, 7, v0
	v_lshl_or_b32 v1, v7, 3, v19
	ds_read_b64 v[1:2], v1
	v_add_u32_e32 v4, 2, v0
	v_and_b32_e32 v4, 15, v4
	v_add_u32_e32 v3, 1, v0
	v_lshl_or_b32 v8, v4, 3, v19
	s_waitcnt lgkmcnt(0)
	v_add_f64 v[1:2], v[1:2], 0
	v_add_u32_e32 v4, 3, v0
	v_and_b32_e32 v3, 15, v3
	v_and_b32_e32 v4, 15, v4
	v_lshl_or_b32 v3, v3, 3, v19
	v_lshl_or_b32 v10, v4, 3, v19
	ds_read_b64 v[3:4], v3
	ds_read_b64 v[8:9], v8
	;; [unrolled: 1-line block ×3, first 2 shown]
	v_xor_b32_e32 v7, 8, v7
	v_mov_b32_e32 v17, s25
	s_waitcnt lgkmcnt(2)
	v_add_f64 v[1:2], v[1:2], v[3:4]
	v_add_u32_e32 v3, 4, v0
	v_add_u32_e32 v4, 5, v0
	v_and_b32_e32 v3, 15, v3
	v_and_b32_e32 v4, 15, v4
	v_lshl_or_b32 v3, v3, 3, v19
	v_add_u32_e32 v14, 9, v0
	v_add_u32_e32 v16, 11, v0
	s_waitcnt lgkmcnt(1)
	v_add_f64 v[1:2], v[1:2], v[8:9]
	v_add_u32_e32 v8, 6, v0
	v_add_u32_e32 v9, 7, v0
	v_and_b32_e32 v8, 15, v8
	v_and_b32_e32 v9, 15, v9
	v_lshl_or_b32 v12, v9, 3, v19
	v_add_u32_e32 v15, 10, v0
	v_and_b32_e32 v14, 15, v14
	s_waitcnt lgkmcnt(0)
	v_add_f64 v[1:2], v[1:2], v[10:11]
	v_lshl_or_b32 v10, v4, 3, v19
	ds_read_b64 v[3:4], v3
	v_lshl_or_b32 v11, v8, 3, v19
	ds_read_b64 v[8:9], v10
	ds_read_b64 v[10:11], v11
	;; [unrolled: 1-line block ×3, first 2 shown]
	v_and_b32_e32 v16, 15, v16
	v_and_b32_e32 v15, 15, v15
	s_waitcnt lgkmcnt(3)
	v_add_f64 v[1:2], v[1:2], v[3:4]
	v_mad_u64_u32 v[3:4], s[0:1], s2, v0, 0
	s_waitcnt lgkmcnt(2)
	v_add_f64 v[1:2], v[1:2], v[8:9]
	v_lshl_or_b32 v9, v7, 3, v19
	v_mad_u64_u32 v[7:8], s[0:1], s3, v0, v[4:5]
	s_mov_b64 s[0:1], 0
	v_mov_b32_e32 v4, v7
	v_lshlrev_b64 v[3:4], 3, v[3:4]
	s_waitcnt lgkmcnt(1)
	v_add_f64 v[1:2], v[1:2], v[10:11]
	v_add_co_u32_e32 v7, vcc, s24, v3
	v_addc_co_u32_e32 v8, vcc, v17, v4, vcc
	ds_read_b64 v[9:10], v9
	v_lshl_or_b32 v17, v16, 3, v19
	v_lshl_or_b32 v4, v15, 3, v19
	s_waitcnt lgkmcnt(1)
	v_add_f64 v[11:12], v[1:2], v[12:13]
	global_load_dwordx2 v[2:3], v[7:8], off
	v_lshl_or_b32 v1, v14, 3, v19
	ds_read_b64 v[13:14], v1
	ds_read_b64 v[15:16], v4
	;; [unrolled: 1-line block ×3, first 2 shown]
	v_add_u32_e32 v1, 12, v0
	v_and_b32_e32 v1, 15, v1
	v_lshl_or_b32 v1, v1, 3, v19
	v_add_u32_e32 v4, 13, v0
	s_waitcnt lgkmcnt(3)
	v_add_f64 v[9:10], v[11:12], v[9:10]
	ds_read_b64 v[11:12], v1
	v_and_b32_e32 v4, 15, v4
	v_lshl_or_b32 v4, v4, 3, v19
	s_waitcnt lgkmcnt(3)
	v_add_f64 v[9:10], v[9:10], v[13:14]
	v_add_u32_e32 v13, 14, v0
	v_add_u32_e32 v0, -1, v0
	v_and_b32_e32 v1, 15, v13
	v_and_b32_e32 v0, 15, v0
	v_lshl_or_b32 v13, v1, 3, v19
	s_waitcnt lgkmcnt(2)
	v_add_f64 v[9:10], v[9:10], v[15:16]
	v_lshl_or_b32 v15, v0, 3, v19
	ds_read_b64 v[0:1], v4
	ds_read_b64 v[13:14], v13
	;; [unrolled: 1-line block ×3, first 2 shown]
	s_waitcnt lgkmcnt(4)
	v_add_f64 v[9:10], v[9:10], v[17:18]
	s_waitcnt lgkmcnt(3)
	v_add_f64 v[9:10], v[9:10], v[11:12]
	;; [unrolled: 2-line block ×5, first 2 shown]
	v_mul_f64 v[4:5], v[5:6], v[0:1]
.LBB103_26:                             ; =>This Inner Loop Header: Depth=1
	s_waitcnt vmcnt(0)
	v_add_f64 v[0:1], v[2:3], v[4:5]
	global_atomic_cmpswap_x2 v[0:1], v[7:8], v[0:3], off glc
	s_waitcnt vmcnt(0)
	v_cmp_eq_u64_e32 vcc, v[0:1], v[2:3]
	v_mov_b32_e32 v3, v1
	s_or_b64 s[0:1], vcc, s[0:1]
	v_mov_b32_e32 v2, v0
	s_andn2_b64 exec, exec, s[0:1]
	s_cbranch_execnz .LBB103_26
.LBB103_27:
	s_endpgm
	.section	.rodata,"a",@progbits
	.p2align	6, 0x0
	.amdhsa_kernel _ZL54rocblas_symv_kernel_lower_double_buffered_non_diagonalILi32ELi4ELi4E24rocblas_internal_val_ptrIdEPKdPdEvbiT2_lT3_lllS6_lllT4_llli
		.amdhsa_group_segment_fixed_size 6400
		.amdhsa_private_segment_fixed_size 0
		.amdhsa_kernarg_size 384
		.amdhsa_user_sgpr_count 6
		.amdhsa_user_sgpr_private_segment_buffer 1
		.amdhsa_user_sgpr_dispatch_ptr 0
		.amdhsa_user_sgpr_queue_ptr 0
		.amdhsa_user_sgpr_kernarg_segment_ptr 1
		.amdhsa_user_sgpr_dispatch_id 0
		.amdhsa_user_sgpr_flat_scratch_init 0
		.amdhsa_user_sgpr_private_segment_size 0
		.amdhsa_uses_dynamic_stack 0
		.amdhsa_system_sgpr_private_segment_wavefront_offset 0
		.amdhsa_system_sgpr_workgroup_id_x 1
		.amdhsa_system_sgpr_workgroup_id_y 1
		.amdhsa_system_sgpr_workgroup_id_z 1
		.amdhsa_system_sgpr_workgroup_info 0
		.amdhsa_system_vgpr_workitem_id 1
		.amdhsa_next_free_vgpr 69
		.amdhsa_next_free_sgpr 98
		.amdhsa_reserve_vcc 1
		.amdhsa_reserve_flat_scratch 0
		.amdhsa_float_round_mode_32 0
		.amdhsa_float_round_mode_16_64 0
		.amdhsa_float_denorm_mode_32 3
		.amdhsa_float_denorm_mode_16_64 3
		.amdhsa_dx10_clamp 1
		.amdhsa_ieee_mode 1
		.amdhsa_fp16_overflow 0
		.amdhsa_exception_fp_ieee_invalid_op 0
		.amdhsa_exception_fp_denorm_src 0
		.amdhsa_exception_fp_ieee_div_zero 0
		.amdhsa_exception_fp_ieee_overflow 0
		.amdhsa_exception_fp_ieee_underflow 0
		.amdhsa_exception_fp_ieee_inexact 0
		.amdhsa_exception_int_div_zero 0
	.end_amdhsa_kernel
	.section	.text._ZL54rocblas_symv_kernel_lower_double_buffered_non_diagonalILi32ELi4ELi4E24rocblas_internal_val_ptrIdEPKdPdEvbiT2_lT3_lllS6_lllT4_llli,"axG",@progbits,_ZL54rocblas_symv_kernel_lower_double_buffered_non_diagonalILi32ELi4ELi4E24rocblas_internal_val_ptrIdEPKdPdEvbiT2_lT3_lllS6_lllT4_llli,comdat
.Lfunc_end103:
	.size	_ZL54rocblas_symv_kernel_lower_double_buffered_non_diagonalILi32ELi4ELi4E24rocblas_internal_val_ptrIdEPKdPdEvbiT2_lT3_lllS6_lllT4_llli, .Lfunc_end103-_ZL54rocblas_symv_kernel_lower_double_buffered_non_diagonalILi32ELi4ELi4E24rocblas_internal_val_ptrIdEPKdPdEvbiT2_lT3_lllS6_lllT4_llli
                                        ; -- End function
	.set _ZL54rocblas_symv_kernel_lower_double_buffered_non_diagonalILi32ELi4ELi4E24rocblas_internal_val_ptrIdEPKdPdEvbiT2_lT3_lllS6_lllT4_llli.num_vgpr, 69
	.set _ZL54rocblas_symv_kernel_lower_double_buffered_non_diagonalILi32ELi4ELi4E24rocblas_internal_val_ptrIdEPKdPdEvbiT2_lT3_lllS6_lllT4_llli.num_agpr, 0
	.set _ZL54rocblas_symv_kernel_lower_double_buffered_non_diagonalILi32ELi4ELi4E24rocblas_internal_val_ptrIdEPKdPdEvbiT2_lT3_lllS6_lllT4_llli.numbered_sgpr, 29
	.set _ZL54rocblas_symv_kernel_lower_double_buffered_non_diagonalILi32ELi4ELi4E24rocblas_internal_val_ptrIdEPKdPdEvbiT2_lT3_lllS6_lllT4_llli.num_named_barrier, 0
	.set _ZL54rocblas_symv_kernel_lower_double_buffered_non_diagonalILi32ELi4ELi4E24rocblas_internal_val_ptrIdEPKdPdEvbiT2_lT3_lllS6_lllT4_llli.private_seg_size, 0
	.set _ZL54rocblas_symv_kernel_lower_double_buffered_non_diagonalILi32ELi4ELi4E24rocblas_internal_val_ptrIdEPKdPdEvbiT2_lT3_lllS6_lllT4_llli.uses_vcc, 1
	.set _ZL54rocblas_symv_kernel_lower_double_buffered_non_diagonalILi32ELi4ELi4E24rocblas_internal_val_ptrIdEPKdPdEvbiT2_lT3_lllS6_lllT4_llli.uses_flat_scratch, 0
	.set _ZL54rocblas_symv_kernel_lower_double_buffered_non_diagonalILi32ELi4ELi4E24rocblas_internal_val_ptrIdEPKdPdEvbiT2_lT3_lllS6_lllT4_llli.has_dyn_sized_stack, 0
	.set _ZL54rocblas_symv_kernel_lower_double_buffered_non_diagonalILi32ELi4ELi4E24rocblas_internal_val_ptrIdEPKdPdEvbiT2_lT3_lllS6_lllT4_llli.has_recursion, 0
	.set _ZL54rocblas_symv_kernel_lower_double_buffered_non_diagonalILi32ELi4ELi4E24rocblas_internal_val_ptrIdEPKdPdEvbiT2_lT3_lllS6_lllT4_llli.has_indirect_call, 0
	.section	.AMDGPU.csdata,"",@progbits
; Kernel info:
; codeLenInByte = 3260
; TotalNumSgprs: 33
; NumVgprs: 69
; ScratchSize: 0
; MemoryBound: 0
; FloatMode: 240
; IeeeMode: 1
; LDSByteSize: 6400 bytes/workgroup (compile time only)
; SGPRBlocks: 12
; VGPRBlocks: 17
; NumSGPRsForWavesPerEU: 102
; NumVGPRsForWavesPerEU: 69
; Occupancy: 3
; WaveLimiterHint : 0
; COMPUTE_PGM_RSRC2:SCRATCH_EN: 0
; COMPUTE_PGM_RSRC2:USER_SGPR: 6
; COMPUTE_PGM_RSRC2:TRAP_HANDLER: 0
; COMPUTE_PGM_RSRC2:TGID_X_EN: 1
; COMPUTE_PGM_RSRC2:TGID_Y_EN: 1
; COMPUTE_PGM_RSRC2:TGID_Z_EN: 1
; COMPUTE_PGM_RSRC2:TIDIG_COMP_CNT: 1
	.section	.text._ZL58rocblas_symv_kernel_lower_double_buffered_diagonal_genericILi32ELi4E24rocblas_internal_val_ptrIdEPKdPdEvbiT1_lT2_lllS6_lllS5_lT3_lllii,"axG",@progbits,_ZL58rocblas_symv_kernel_lower_double_buffered_diagonal_genericILi32ELi4E24rocblas_internal_val_ptrIdEPKdPdEvbiT1_lT2_lllS6_lllS5_lT3_lllii,comdat
	.globl	_ZL58rocblas_symv_kernel_lower_double_buffered_diagonal_genericILi32ELi4E24rocblas_internal_val_ptrIdEPKdPdEvbiT1_lT2_lllS6_lllS5_lT3_lllii ; -- Begin function _ZL58rocblas_symv_kernel_lower_double_buffered_diagonal_genericILi32ELi4E24rocblas_internal_val_ptrIdEPKdPdEvbiT1_lT2_lllS6_lllS5_lT3_lllii
	.p2align	8
	.type	_ZL58rocblas_symv_kernel_lower_double_buffered_diagonal_genericILi32ELi4E24rocblas_internal_val_ptrIdEPKdPdEvbiT1_lT2_lllS6_lllS5_lT3_lllii,@function
_ZL58rocblas_symv_kernel_lower_double_buffered_diagonal_genericILi32ELi4E24rocblas_internal_val_ptrIdEPKdPdEvbiT1_lT2_lllS6_lllS5_lT3_lllii: ; @_ZL58rocblas_symv_kernel_lower_double_buffered_diagonal_genericILi32ELi4E24rocblas_internal_val_ptrIdEPKdPdEvbiT1_lT2_lllS6_lllS5_lT3_lllii
; %bb.0:
	s_load_dword s0, s[4:5], 0x0
	s_load_dwordx16 s[8:23], s[4:5], 0x8
	s_load_dwordx8 s[24:31], s[4:5], 0x48
	s_waitcnt lgkmcnt(0)
	s_bitcmp1_b32 s0, 0
	s_cselect_b64 s[2:3], -1, 0
	v_mov_b32_e32 v4, s8
	s_xor_b64 s[0:1], s[2:3], -1
	s_and_b64 vcc, exec, s[2:3]
	v_mov_b32_e32 v5, s9
	s_cbranch_vccnz .LBB104_2
; %bb.1:
	s_mul_i32 s2, s11, s7
	s_mul_hi_u32 s3, s10, s7
	s_add_i32 s3, s3, s2
	s_mul_i32 s2, s10, s7
	s_lshl_b64 s[2:3], s[2:3], 3
	s_add_u32 s2, s8, s2
	s_addc_u32 s3, s9, s3
	v_mov_b32_e32 v2, s2
	v_mov_b32_e32 v3, s3
	flat_load_dwordx2 v[4:5], v[2:3]
.LBB104_2:
	v_mov_b32_e32 v2, s28
	s_andn2_b64 vcc, exec, s[0:1]
	v_mov_b32_e32 v3, s29
	s_cbranch_vccnz .LBB104_4
; %bb.3:
	s_mul_i32 s0, s31, s7
	s_mul_hi_u32 s1, s30, s7
	s_add_i32 s1, s1, s0
	s_mul_i32 s0, s30, s7
	s_lshl_b64 s[0:1], s[0:1], 3
	s_add_u32 s0, s28, s0
	s_addc_u32 s1, s29, s1
	v_mov_b32_e32 v3, s1
	v_mov_b32_e32 v2, s0
	flat_load_dwordx2 v[2:3], v[2:3]
.LBB104_4:
	s_waitcnt vmcnt(0) lgkmcnt(0)
	v_cmp_neq_f64_e32 vcc, 0, v[4:5]
	v_cmp_neq_f64_e64 s[0:1], 1.0, v[2:3]
	s_or_b64 s[0:1], vcc, s[0:1]
	s_and_saveexec_b64 s[2:3], s[0:1]
	s_cbranch_execz .LBB104_60
; %bb.5:
	s_load_dwordx2 s[8:9], s[4:5], 0x80
	s_load_dwordx2 s[10:11], s[4:5], 0x68
	s_load_dwordx4 s[0:3], s[4:5], 0x70
	s_load_dword s30, s[4:5], 0x88
	v_cmp_eq_f64_e32 vcc, 0, v[4:5]
	s_waitcnt lgkmcnt(0)
	s_mul_i32 s9, s9, s7
	s_mul_hi_u32 s28, s8, s7
	s_add_i32 s9, s28, s9
	s_mul_i32 s8, s8, s7
	s_lshl_b64 s[8:9], s[8:9], 3
	s_add_u32 s8, s10, s8
	s_addc_u32 s9, s11, s9
	s_lshl_b64 s[0:1], s[0:1], 3
	s_add_u32 s8, s8, s0
	s_addc_u32 s9, s9, s1
	s_lshl_b32 s34, s6, 5
	s_ashr_i32 s35, s34, 31
	s_mul_i32 s0, s2, s35
	s_mul_hi_u32 s1, s2, s34
	s_add_i32 s0, s1, s0
	s_mul_i32 s1, s3, s34
	s_add_i32 s1, s0, s1
	s_mul_i32 s0, s2, s34
	s_lshl_b64 s[0:1], s[0:1], 3
	s_add_u32 s31, s8, s0
	s_addc_u32 s33, s9, s1
	s_and_saveexec_b64 s[0:1], vcc
	s_xor_b64 s[0:1], exec, s[0:1]
	s_cbranch_execz .LBB104_12
; %bb.6:
	v_cmp_eq_u32_e32 vcc, 0, v1
	s_and_saveexec_b64 s[8:9], vcc
	s_cbranch_execz .LBB104_11
; %bb.7:
	v_cmp_gt_i32_e64 s[10:11], s30, v0
	v_cmp_le_i32_e32 vcc, s30, v0
	s_and_saveexec_b64 s[28:29], vcc
	s_cbranch_execz .LBB104_9
; %bb.8:
	s_load_dword s36, s[4:5], 0x90
	s_waitcnt lgkmcnt(0)
	s_add_i32 s36, s36, -1
	s_cmp_lt_u32 s6, s36
	s_cselect_b64 s[36:37], -1, 0
	s_andn2_b64 s[10:11], s[10:11], exec
	s_and_b64 s[36:37], s[36:37], exec
	s_or_b64 s[10:11], s[10:11], s[36:37]
.LBB104_9:
	s_or_b64 exec, exec, s[28:29]
	s_and_b64 exec, exec, s[10:11]
	s_cbranch_execz .LBB104_11
; %bb.10:
	v_mad_u64_u32 v[4:5], s[10:11], s2, v0, 0
	v_mov_b32_e32 v6, s33
	v_mov_b32_e32 v1, v5
	v_mad_u64_u32 v[0:1], s[10:11], s3, v0, v[1:2]
	v_mov_b32_e32 v5, v0
	v_lshlrev_b64 v[0:1], 3, v[4:5]
	v_add_co_u32_e32 v0, vcc, s31, v0
	v_addc_co_u32_e32 v1, vcc, v6, v1, vcc
	global_load_dwordx2 v[4:5], v[0:1], off
	s_waitcnt vmcnt(0)
	v_mul_f64 v[2:3], v[2:3], v[4:5]
	global_store_dwordx2 v[0:1], v[2:3], off
.LBB104_11:
	s_or_b64 exec, exec, s[8:9]
                                        ; implicit-def: $vgpr1
                                        ; implicit-def: $vgpr4_vgpr5
                                        ; implicit-def: $vgpr2_vgpr3
                                        ; implicit-def: $vgpr0
.LBB104_12:
	s_andn2_saveexec_b64 s[0:1], s[0:1]
	s_cbranch_execz .LBB104_60
; %bb.13:
	s_mul_i32 s0, s27, s7
	s_mul_hi_u32 s1, s26, s7
	s_add_i32 s1, s1, s0
	s_mul_i32 s0, s26, s7
	s_lshl_b64 s[0:1], s[0:1], 3
	s_add_u32 s8, s20, s0
	s_addc_u32 s9, s21, s1
	s_lshl_b64 s[0:1], s[22:23], 3
	s_add_u32 s8, s8, s0
	s_addc_u32 s9, s9, s1
	s_mul_i32 s0, s24, s35
	s_mul_hi_u32 s1, s24, s34
	s_load_dword s4, s[4:5], 0x90
	s_add_i32 s0, s1, s0
	s_mul_i32 s1, s25, s34
	s_add_i32 s1, s0, s1
	s_mul_i32 s0, s24, s34
	s_lshl_b64 s[0:1], s[0:1], 3
	s_add_u32 s20, s8, s0
	s_addc_u32 s21, s9, s1
	s_waitcnt lgkmcnt(0)
	s_add_i32 s4, s4, -1
	s_cmp_lg_u32 s6, s4
	s_cselect_b64 s[4:5], -1, 0
	v_cmp_eq_u32_e64 s[0:1], 0, v1
	s_and_b64 vcc, exec, s[4:5]
	s_cbranch_vccz .LBB104_19
; %bb.14:
	v_mov_b32_e32 v6, 0
	v_mov_b32_e32 v7, 0
	s_and_saveexec_b64 s[8:9], s[0:1]
	s_cbranch_execz .LBB104_18
; %bb.15:
	v_mad_u64_u32 v[6:7], s[10:11], s24, v0, 0
	v_lshlrev_b32_e32 v10, 3, v0
	v_mad_u64_u32 v[7:8], s[10:11], s25, v0, v[7:8]
	v_mov_b32_e32 v8, s21
	v_lshlrev_b64 v[6:7], 3, v[6:7]
	v_add_co_u32_e32 v6, vcc, s20, v6
	v_addc_co_u32_e32 v7, vcc, v8, v7, vcc
	global_load_dwordx2 v[8:9], v[6:7], off
	v_cmp_neq_f64_e32 vcc, 0, v[2:3]
	v_mov_b32_e32 v6, 0
	v_mov_b32_e32 v7, 0
	s_waitcnt vmcnt(0)
	ds_write_b64 v10, v[8:9] offset:10240
	s_and_saveexec_b64 s[10:11], vcc
	s_cbranch_execz .LBB104_17
; %bb.16:
	v_mad_u64_u32 v[6:7], s[22:23], s2, v0, 0
	v_mad_u64_u32 v[7:8], s[22:23], s3, v0, v[7:8]
	v_mov_b32_e32 v8, s33
	v_lshlrev_b64 v[6:7], 3, v[6:7]
	v_add_co_u32_e32 v6, vcc, s31, v6
	v_addc_co_u32_e32 v7, vcc, v8, v7, vcc
	global_load_dwordx2 v[6:7], v[6:7], off
	s_waitcnt vmcnt(0)
	v_mul_f64 v[6:7], v[2:3], v[6:7]
.LBB104_17:
	s_or_b64 exec, exec, s[10:11]
.LBB104_18:
	s_or_b64 exec, exec, s[8:9]
	s_cbranch_execz .LBB104_20
	s_branch .LBB104_29
.LBB104_19:
                                        ; implicit-def: $vgpr6_vgpr7
.LBB104_20:
	v_mov_b32_e32 v6, 0
	v_mov_b32_e32 v7, 0
	s_and_saveexec_b64 s[8:9], s[0:1]
	s_cbranch_execz .LBB104_28
; %bb.21:
	v_cmp_le_i32_e32 vcc, s30, v0
	s_and_saveexec_b64 s[10:11], vcc
	s_xor_b64 s[10:11], exec, s[10:11]
; %bb.22:
	v_mov_b32_e32 v6, 0
	v_lshlrev_b32_e32 v8, 3, v0
	v_mov_b32_e32 v7, v6
	ds_write_b64 v8, v[6:7] offset:10240
; %bb.23:
	s_or_saveexec_b64 s[10:11], s[10:11]
	v_mov_b32_e32 v6, 0
	v_mov_b32_e32 v7, 0
	s_xor_b64 exec, exec, s[10:11]
	s_cbranch_execz .LBB104_27
; %bb.24:
	v_mad_u64_u32 v[6:7], s[22:23], s24, v0, 0
	v_lshlrev_b32_e32 v10, 3, v0
	v_mad_u64_u32 v[7:8], s[22:23], s25, v0, v[7:8]
	v_mov_b32_e32 v8, s21
	v_lshlrev_b64 v[6:7], 3, v[6:7]
	v_add_co_u32_e32 v6, vcc, s20, v6
	v_addc_co_u32_e32 v7, vcc, v8, v7, vcc
	global_load_dwordx2 v[8:9], v[6:7], off
	v_cmp_neq_f64_e32 vcc, 0, v[2:3]
	v_mov_b32_e32 v6, 0
	v_mov_b32_e32 v7, 0
	s_waitcnt vmcnt(0)
	ds_write_b64 v10, v[8:9] offset:10240
	s_and_saveexec_b64 s[20:21], vcc
	s_cbranch_execz .LBB104_26
; %bb.25:
	v_mad_u64_u32 v[6:7], s[22:23], s2, v0, 0
	v_mad_u64_u32 v[7:8], s[22:23], s3, v0, v[7:8]
	v_mov_b32_e32 v8, s33
	v_lshlrev_b64 v[6:7], 3, v[6:7]
	v_add_co_u32_e32 v6, vcc, s31, v6
	v_addc_co_u32_e32 v7, vcc, v8, v7, vcc
	global_load_dwordx2 v[6:7], v[6:7], off
	s_waitcnt vmcnt(0)
	v_mul_f64 v[6:7], v[2:3], v[6:7]
.LBB104_26:
	s_or_b64 exec, exec, s[20:21]
.LBB104_27:
	s_or_b64 exec, exec, s[10:11]
.LBB104_28:
	s_or_b64 exec, exec, s[8:9]
.LBB104_29:
	s_mul_i32 s6, s19, s7
	s_mul_hi_u32 s8, s18, s7
	s_add_i32 s9, s8, s6
	s_mul_i32 s8, s18, s7
	s_lshl_b64 s[6:7], s[8:9], 3
	s_add_u32 s10, s12, s6
	s_addc_u32 s11, s13, s7
	s_lshl_b64 s[8:9], s[14:15], 3
	s_add_u32 s18, s10, s8
	s_addc_u32 s19, s11, s9
	s_add_u32 s14, s16, 1
	s_mul_i32 s10, s14, s35
	s_mul_hi_u32 s11, s14, s34
	s_addc_u32 s15, s17, 0
	s_add_i32 s20, s11, s10
	v_mad_u64_u32 v[8:9], s[10:11], s16, v1, 0
	s_mul_i32 s15, s15, s34
	s_add_i32 s11, s20, s15
	s_mul_i32 s10, s14, s34
	v_mad_u64_u32 v[9:10], s[14:15], s17, v1, v[9:10]
	s_lshl_b64 s[10:11], s[10:11], 3
	s_add_u32 s14, s18, s10
	v_lshlrev_b64 v[10:11], 3, v[8:9]
	s_addc_u32 s15, s19, s11
	v_mov_b32_e32 v8, s15
	v_add_co_u32_e32 v9, vcc, s14, v10
	v_addc_co_u32_e32 v13, vcc, v8, v11, vcc
	v_lshlrev_b32_e32 v12, 3, v0
	v_add_co_u32_e32 v8, vcc, v9, v12
	v_addc_co_u32_e32 v9, vcc, 0, v13, vcc
	v_lshlrev_b32_e32 v13, 8, v1
	v_lshlrev_b32_e32 v15, 5, v1
	s_mov_b64 s[14:15], -1
	s_andn2_b64 vcc, exec, s[4:5]
	v_add_u32_e32 v13, v12, v13
	s_cbranch_vccnz .LBB104_31
; %bb.30:
	s_lshl_b64 s[14:15], s[16:17], 5
	v_mov_b32_e32 v14, s15
	v_add_co_u32_e32 v16, vcc, s14, v8
	v_addc_co_u32_e32 v17, vcc, v9, v14, vcc
	v_add_co_u32_e32 v18, vcc, s14, v16
	v_addc_co_u32_e32 v19, vcc, v17, v14, vcc
	;; [unrolled: 2-line block ×3, first 2 shown]
	global_load_dwordx2 v[22:23], v[8:9], off
	global_load_dwordx2 v[24:25], v[16:17], off
	global_load_dwordx2 v[26:27], v[18:19], off
	global_load_dwordx2 v[28:29], v[20:21], off
	v_add_co_u32_e32 v16, vcc, s14, v20
	v_addc_co_u32_e32 v17, vcc, v21, v14, vcc
	v_add_co_u32_e32 v18, vcc, s14, v16
	v_addc_co_u32_e32 v19, vcc, v17, v14, vcc
	global_load_dwordx2 v[20:21], v[16:17], off
	global_load_dwordx2 v[30:31], v[18:19], off
	v_add_co_u32_e32 v16, vcc, s14, v18
	v_addc_co_u32_e32 v17, vcc, v19, v14, vcc
	global_load_dwordx2 v[18:19], v[16:17], off
	v_add_co_u32_e32 v16, vcc, s14, v16
	v_addc_co_u32_e32 v17, vcc, v17, v14, vcc
	global_load_dwordx2 v[16:17], v[16:17], off
	s_mov_b64 s[14:15], 0
	s_waitcnt vmcnt(6)
	ds_write2st64_b64 v13, v[22:23], v[24:25] offset1:2
	s_waitcnt vmcnt(4)
	ds_write2st64_b64 v13, v[26:27], v[28:29] offset0:4 offset1:6
	s_waitcnt vmcnt(2)
	ds_write2st64_b64 v13, v[20:21], v[30:31] offset0:8 offset1:10
	;; [unrolled: 2-line block ×3, first 2 shown]
.LBB104_31:
	s_andn2_b64 vcc, exec, s[14:15]
	v_add_u32_e32 v14, v15, v0
	s_cbranch_vccnz .LBB104_39
; %bb.32:
	s_mov_b32 s14, 0
	s_mov_b32 s15, s14
	v_mov_b32_e32 v17, s15
	v_mov_b32_e32 v16, s14
	v_cmp_gt_i32_e32 vcc, s30, v0
	ds_write2st64_b64 v13, v[16:17], v[16:17] offset1:2
	ds_write2st64_b64 v13, v[16:17], v[16:17] offset0:4 offset1:6
	ds_write2st64_b64 v13, v[16:17], v[16:17] offset0:8 offset1:10
	ds_write2st64_b64 v13, v[16:17], v[16:17] offset0:12 offset1:14
	s_and_saveexec_b64 s[18:19], vcc
	s_cbranch_execz .LBB104_38
; %bb.33:
	s_cmp_lt_u32 s30, 4
	s_cbranch_scc1 .LBB104_36
; %bb.34:
	s_lshr_b32 s14, s30, 2
	s_add_u32 s6, s10, s6
	s_addc_u32 s7, s11, s7
	s_add_u32 s6, s8, s6
	s_addc_u32 s7, s9, s7
	v_mov_b32_e32 v17, s7
	v_add_co_u32_e32 v10, vcc, s6, v10
	v_addc_co_u32_e32 v11, vcc, v17, v11, vcc
	v_add_co_u32_e32 v10, vcc, v10, v12
	v_addc_co_u32_e32 v11, vcc, 0, v11, vcc
	v_mov_b32_e32 v17, s13
	v_add_co_u32_e32 v10, vcc, s12, v10
	s_lshl_b64 s[6:7], s[16:17], 5
	v_lshl_add_u32 v16, v15, 3, v12
	v_addc_co_u32_e32 v11, vcc, v17, v11, vcc
	v_mov_b32_e32 v17, s7
	s_mov_b32 s7, s14
.LBB104_35:                             ; =>This Inner Loop Header: Depth=1
	global_load_dwordx2 v[18:19], v[10:11], off
	s_add_i32 s7, s7, -1
	v_add_co_u32_e32 v10, vcc, s6, v10
	v_addc_co_u32_e32 v11, vcc, v11, v17, vcc
	s_cmp_lg_u32 s7, 0
	s_waitcnt vmcnt(0)
	ds_write_b64 v16, v[18:19]
	v_add_u32_e32 v16, 0x400, v16
	s_cbranch_scc1 .LBB104_35
.LBB104_36:
	s_and_b32 s6, s30, 3
	v_cmp_gt_u32_e32 vcc, s6, v1
	s_and_b64 exec, exec, vcc
	s_cbranch_execz .LBB104_38
; %bb.37:
	s_lshl_b32 s6, s14, 2
	s_mul_i32 s7, s17, s6
	s_mul_hi_u32 s8, s16, s6
	s_add_i32 s7, s8, s7
	s_mul_i32 s6, s16, s6
	s_lshl_b64 s[6:7], s[6:7], 3
	v_mov_b32_e32 v10, s7
	v_add_co_u32_e32 v8, vcc, s6, v8
	v_addc_co_u32_e32 v9, vcc, v9, v10, vcc
	global_load_dwordx2 v[8:9], v[8:9], off
	v_lshlrev_b32_e32 v10, 3, v14
	v_lshl_add_u32 v10, s14, 10, v10
	s_waitcnt vmcnt(0)
	ds_write_b64 v10, v[8:9]
.LBB104_38:
	s_or_b64 exec, exec, s[18:19]
.LBB104_39:
	v_cmp_ge_u32_e32 vcc, v0, v1
	v_lshlrev_b32_e32 v9, 8, v0
	s_waitcnt vmcnt(0) lgkmcnt(0)
	s_barrier
	s_and_saveexec_b64 s[6:7], vcc
	s_xor_b64 s[6:7], exec, s[6:7]
; %bb.40:
	v_lshlrev_b32_e32 v9, 8, v0
                                        ; implicit-def: $vgpr15
; %bb.41:
	s_or_saveexec_b64 s[6:7], s[6:7]
	v_lshlrev_b32_e32 v8, 3, v1
	s_xor_b64 exec, exec, s[6:7]
	s_cbranch_execz .LBB104_43
; %bb.42:
	v_mul_u32_u24_e32 v10, 0xf8, v0
	v_add3_u32 v10, v12, v10, v8
	ds_read_b64 v[10:11], v10
	v_lshl_add_u32 v15, v15, 3, v12
	s_waitcnt lgkmcnt(0)
	ds_write_b64 v15, v[10:11]
.LBB104_43:
	s_or_b64 exec, exec, s[6:7]
	v_sub_u32_e32 v10, v0, v1
	v_sub_u32_e32 v11, 0, v10
	v_max_i32_e32 v11, v10, v11
	v_cmp_gt_u32_e32 vcc, 4, v11
	v_lshl_add_u32 v10, v1, 3, v9
	v_lshl_add_u32 v9, v1, 8, v12
	s_and_saveexec_b64 s[6:7], vcc
	s_cbranch_execnz .LBB104_61
; %bb.44:
	s_or_b64 exec, exec, s[6:7]
	v_cmp_gt_u32_e32 vcc, 8, v11
	s_and_saveexec_b64 s[6:7], vcc
	s_cbranch_execnz .LBB104_62
.LBB104_45:
	s_or_b64 exec, exec, s[6:7]
	v_cmp_gt_u32_e32 vcc, 12, v11
	s_and_saveexec_b64 s[6:7], vcc
	s_cbranch_execnz .LBB104_63
.LBB104_46:
	s_or_b64 exec, exec, s[6:7]
	v_cmp_gt_u32_e32 vcc, 16, v11
	s_and_saveexec_b64 s[6:7], vcc
	s_cbranch_execnz .LBB104_64
.LBB104_47:
	s_or_b64 exec, exec, s[6:7]
	v_cmp_gt_u32_e32 vcc, 20, v11
	s_and_saveexec_b64 s[6:7], vcc
	s_cbranch_execnz .LBB104_65
.LBB104_48:
	s_or_b64 exec, exec, s[6:7]
	v_cmp_gt_u32_e32 vcc, 24, v11
	s_and_saveexec_b64 s[6:7], vcc
	s_cbranch_execz .LBB104_50
.LBB104_49:
	ds_read_b64 v[15:16], v10 offset:192
	s_waitcnt lgkmcnt(0)
	ds_write_b64 v13, v[15:16] offset:6144
.LBB104_50:
	s_or_b64 exec, exec, s[6:7]
	v_cmp_lt_u32_e32 vcc, 27, v11
	v_add_u32_e32 v15, 28, v1
                                        ; implicit-def: $vgpr11
	s_and_saveexec_b64 s[6:7], vcc
	s_xor_b64 s[6:7], exec, s[6:7]
; %bb.51:
	v_add_u32_e32 v15, 28, v1
	v_lshlrev_b32_e32 v11, 8, v15
                                        ; implicit-def: $vgpr10
; %bb.52:
	s_andn2_saveexec_b64 s[6:7], s[6:7]
	s_cbranch_execz .LBB104_54
; %bb.53:
	ds_read_b64 v[16:17], v10 offset:224
	v_lshlrev_b32_e32 v11, 8, v15
	v_add_u32_e32 v1, v12, v11
	s_waitcnt lgkmcnt(0)
	ds_write_b64 v1, v[16:17]
.LBB104_54:
	s_or_b64 exec, exec, s[6:7]
	v_add_u32_e32 v1, 0x2800, v8
	s_waitcnt lgkmcnt(0)
	s_barrier
	ds_read_b64 v[20:21], v13
	ds_read2_b64 v[16:19], v1 offset1:4
	v_lshlrev_b32_e32 v10, 3, v15
	ds_read_b64 v[24:25], v8 offset:10432
	ds_read_b64 v[26:27], v10 offset:10240
	s_waitcnt lgkmcnt(2)
	v_fma_f64 v[15:16], v[20:21], v[16:17], 0
	ds_read2st64_b64 v[20:23], v9 offset0:2 offset1:4
	s_waitcnt lgkmcnt(0)
	v_fma_f64 v[19:20], v[20:21], v[18:19], v[15:16]
	ds_read2_b64 v[15:18], v1 offset0:8 offset1:12
	s_waitcnt lgkmcnt(0)
	v_fma_f64 v[15:16], v[22:23], v[15:16], v[19:20]
	ds_read2st64_b64 v[19:22], v9 offset0:6 offset1:8
	s_waitcnt lgkmcnt(0)
	v_fma_f64 v[19:20], v[19:20], v[17:18], v[15:16]
	ds_read2_b64 v[15:18], v1 offset0:16 offset1:20
	v_add_u32_e32 v1, v12, v11
	ds_read_b64 v[10:11], v1
	v_lshlrev_b32_e32 v1, 3, v14
	s_waitcnt lgkmcnt(1)
	v_fma_f64 v[15:16], v[21:22], v[15:16], v[19:20]
	ds_read2st64_b64 v[19:22], v9 offset0:10 offset1:12
	s_waitcnt lgkmcnt(0)
	v_fma_f64 v[8:9], v[19:20], v[17:18], v[15:16]
	v_fma_f64 v[8:9], v[21:22], v[24:25], v[8:9]
	v_fma_f64 v[8:9], v[10:11], v[26:27], v[8:9]
	ds_write_b64 v1, v[8:9] offset:8192
	s_waitcnt lgkmcnt(0)
	s_barrier
	s_and_saveexec_b64 s[6:7], s[0:1]
	s_cbranch_execz .LBB104_60
; %bb.55:
	v_add_u32_e32 v1, 0x2000, v12
	ds_read2_b64 v[8:11], v1 offset1:32
	v_cmp_neq_f64_e32 vcc, 0, v[2:3]
	s_and_b64 s[0:1], exec, s[4:5]
	s_mov_b64 s[6:7], -1
	s_waitcnt lgkmcnt(0)
	v_add_f64 v[8:9], v[8:9], 0
	v_add_f64 v[12:13], v[8:9], v[10:11]
	ds_read2_b64 v[8:11], v1 offset0:64 offset1:96
	s_waitcnt lgkmcnt(0)
	v_add_f64 v[8:9], v[12:13], v[8:9]
	v_add_f64 v[8:9], v[8:9], v[10:11]
	v_mul_f64 v[10:11], v[4:5], v[8:9]
	v_fma_f64 v[4:5], v[4:5], v[8:9], v[6:7]
	v_cndmask_b32_e32 v2, v11, v5, vcc
	v_cndmask_b32_e32 v1, v10, v4, vcc
	s_mov_b64 vcc, s[0:1]
	s_cbranch_vccz .LBB104_57
; %bb.56:
	v_mad_u64_u32 v[3:4], s[0:1], s2, v0, 0
	s_mov_b64 s[6:7], 0
	v_mad_u64_u32 v[4:5], s[0:1], s3, v0, v[4:5]
	v_mov_b32_e32 v5, s33
	v_lshlrev_b64 v[3:4], 3, v[3:4]
	v_add_co_u32_e32 v3, vcc, s31, v3
	v_addc_co_u32_e32 v4, vcc, v5, v4, vcc
	global_store_dwordx2 v[3:4], v[1:2], off
.LBB104_57:
	s_andn2_b64 vcc, exec, s[6:7]
	s_cbranch_vccnz .LBB104_60
; %bb.58:
	v_cmp_gt_i32_e32 vcc, s30, v0
	s_and_b64 exec, exec, vcc
	s_cbranch_execz .LBB104_60
; %bb.59:
	v_mad_u64_u32 v[3:4], s[0:1], s2, v0, 0
	v_mad_u64_u32 v[4:5], s[0:1], s3, v0, v[4:5]
	v_mov_b32_e32 v0, s33
	v_lshlrev_b64 v[3:4], 3, v[3:4]
	v_add_co_u32_e32 v3, vcc, s31, v3
	v_addc_co_u32_e32 v4, vcc, v0, v4, vcc
	global_store_dwordx2 v[3:4], v[1:2], off
.LBB104_60:
	s_endpgm
.LBB104_61:
	ds_read_b64 v[15:16], v10 offset:32
	s_waitcnt lgkmcnt(0)
	ds_write_b64 v9, v[15:16] offset:1024
	s_or_b64 exec, exec, s[6:7]
	v_cmp_gt_u32_e32 vcc, 8, v11
	s_and_saveexec_b64 s[6:7], vcc
	s_cbranch_execz .LBB104_45
.LBB104_62:
	ds_read_b64 v[15:16], v10 offset:64
	s_waitcnt lgkmcnt(0)
	ds_write_b64 v9, v[15:16] offset:2048
	s_or_b64 exec, exec, s[6:7]
	v_cmp_gt_u32_e32 vcc, 12, v11
	s_and_saveexec_b64 s[6:7], vcc
	s_cbranch_execz .LBB104_46
.LBB104_63:
	ds_read_b64 v[15:16], v10 offset:96
	s_waitcnt lgkmcnt(0)
	ds_write_b64 v9, v[15:16] offset:3072
	s_or_b64 exec, exec, s[6:7]
	v_cmp_gt_u32_e32 vcc, 16, v11
	s_and_saveexec_b64 s[6:7], vcc
	s_cbranch_execz .LBB104_47
.LBB104_64:
	ds_read_b64 v[15:16], v10 offset:128
	s_waitcnt lgkmcnt(0)
	ds_write_b64 v13, v[15:16] offset:4096
	s_or_b64 exec, exec, s[6:7]
	v_cmp_gt_u32_e32 vcc, 20, v11
	s_and_saveexec_b64 s[6:7], vcc
	s_cbranch_execz .LBB104_48
.LBB104_65:
	ds_read_b64 v[15:16], v10 offset:160
	s_waitcnt lgkmcnt(0)
	ds_write_b64 v13, v[15:16] offset:5120
	s_or_b64 exec, exec, s[6:7]
	v_cmp_gt_u32_e32 vcc, 24, v11
	s_and_saveexec_b64 s[6:7], vcc
	s_cbranch_execnz .LBB104_49
	s_branch .LBB104_50
	.section	.rodata,"a",@progbits
	.p2align	6, 0x0
	.amdhsa_kernel _ZL58rocblas_symv_kernel_lower_double_buffered_diagonal_genericILi32ELi4E24rocblas_internal_val_ptrIdEPKdPdEvbiT1_lT2_lllS6_lllS5_lT3_lllii
		.amdhsa_group_segment_fixed_size 10496
		.amdhsa_private_segment_fixed_size 0
		.amdhsa_kernarg_size 400
		.amdhsa_user_sgpr_count 6
		.amdhsa_user_sgpr_private_segment_buffer 1
		.amdhsa_user_sgpr_dispatch_ptr 0
		.amdhsa_user_sgpr_queue_ptr 0
		.amdhsa_user_sgpr_kernarg_segment_ptr 1
		.amdhsa_user_sgpr_dispatch_id 0
		.amdhsa_user_sgpr_flat_scratch_init 0
		.amdhsa_user_sgpr_private_segment_size 0
		.amdhsa_uses_dynamic_stack 0
		.amdhsa_system_sgpr_private_segment_wavefront_offset 0
		.amdhsa_system_sgpr_workgroup_id_x 1
		.amdhsa_system_sgpr_workgroup_id_y 0
		.amdhsa_system_sgpr_workgroup_id_z 1
		.amdhsa_system_sgpr_workgroup_info 0
		.amdhsa_system_vgpr_workitem_id 1
		.amdhsa_next_free_vgpr 65
		.amdhsa_next_free_sgpr 98
		.amdhsa_reserve_vcc 1
		.amdhsa_reserve_flat_scratch 0
		.amdhsa_float_round_mode_32 0
		.amdhsa_float_round_mode_16_64 0
		.amdhsa_float_denorm_mode_32 3
		.amdhsa_float_denorm_mode_16_64 3
		.amdhsa_dx10_clamp 1
		.amdhsa_ieee_mode 1
		.amdhsa_fp16_overflow 0
		.amdhsa_exception_fp_ieee_invalid_op 0
		.amdhsa_exception_fp_denorm_src 0
		.amdhsa_exception_fp_ieee_div_zero 0
		.amdhsa_exception_fp_ieee_overflow 0
		.amdhsa_exception_fp_ieee_underflow 0
		.amdhsa_exception_fp_ieee_inexact 0
		.amdhsa_exception_int_div_zero 0
	.end_amdhsa_kernel
	.section	.text._ZL58rocblas_symv_kernel_lower_double_buffered_diagonal_genericILi32ELi4E24rocblas_internal_val_ptrIdEPKdPdEvbiT1_lT2_lllS6_lllS5_lT3_lllii,"axG",@progbits,_ZL58rocblas_symv_kernel_lower_double_buffered_diagonal_genericILi32ELi4E24rocblas_internal_val_ptrIdEPKdPdEvbiT1_lT2_lllS6_lllS5_lT3_lllii,comdat
.Lfunc_end104:
	.size	_ZL58rocblas_symv_kernel_lower_double_buffered_diagonal_genericILi32ELi4E24rocblas_internal_val_ptrIdEPKdPdEvbiT1_lT2_lllS6_lllS5_lT3_lllii, .Lfunc_end104-_ZL58rocblas_symv_kernel_lower_double_buffered_diagonal_genericILi32ELi4E24rocblas_internal_val_ptrIdEPKdPdEvbiT1_lT2_lllS6_lllS5_lT3_lllii
                                        ; -- End function
	.set _ZL58rocblas_symv_kernel_lower_double_buffered_diagonal_genericILi32ELi4E24rocblas_internal_val_ptrIdEPKdPdEvbiT1_lT2_lllS6_lllS5_lT3_lllii.num_vgpr, 32
	.set _ZL58rocblas_symv_kernel_lower_double_buffered_diagonal_genericILi32ELi4E24rocblas_internal_val_ptrIdEPKdPdEvbiT1_lT2_lllS6_lllS5_lT3_lllii.num_agpr, 0
	.set _ZL58rocblas_symv_kernel_lower_double_buffered_diagonal_genericILi32ELi4E24rocblas_internal_val_ptrIdEPKdPdEvbiT1_lT2_lllS6_lllS5_lT3_lllii.numbered_sgpr, 38
	.set _ZL58rocblas_symv_kernel_lower_double_buffered_diagonal_genericILi32ELi4E24rocblas_internal_val_ptrIdEPKdPdEvbiT1_lT2_lllS6_lllS5_lT3_lllii.num_named_barrier, 0
	.set _ZL58rocblas_symv_kernel_lower_double_buffered_diagonal_genericILi32ELi4E24rocblas_internal_val_ptrIdEPKdPdEvbiT1_lT2_lllS6_lllS5_lT3_lllii.private_seg_size, 0
	.set _ZL58rocblas_symv_kernel_lower_double_buffered_diagonal_genericILi32ELi4E24rocblas_internal_val_ptrIdEPKdPdEvbiT1_lT2_lllS6_lllS5_lT3_lllii.uses_vcc, 1
	.set _ZL58rocblas_symv_kernel_lower_double_buffered_diagonal_genericILi32ELi4E24rocblas_internal_val_ptrIdEPKdPdEvbiT1_lT2_lllS6_lllS5_lT3_lllii.uses_flat_scratch, 0
	.set _ZL58rocblas_symv_kernel_lower_double_buffered_diagonal_genericILi32ELi4E24rocblas_internal_val_ptrIdEPKdPdEvbiT1_lT2_lllS6_lllS5_lT3_lllii.has_dyn_sized_stack, 0
	.set _ZL58rocblas_symv_kernel_lower_double_buffered_diagonal_genericILi32ELi4E24rocblas_internal_val_ptrIdEPKdPdEvbiT1_lT2_lllS6_lllS5_lT3_lllii.has_recursion, 0
	.set _ZL58rocblas_symv_kernel_lower_double_buffered_diagonal_genericILi32ELi4E24rocblas_internal_val_ptrIdEPKdPdEvbiT1_lT2_lllS6_lllS5_lT3_lllii.has_indirect_call, 0
	.section	.AMDGPU.csdata,"",@progbits
; Kernel info:
; codeLenInByte = 2540
; TotalNumSgprs: 42
; NumVgprs: 32
; ScratchSize: 0
; MemoryBound: 0
; FloatMode: 240
; IeeeMode: 1
; LDSByteSize: 10496 bytes/workgroup (compile time only)
; SGPRBlocks: 12
; VGPRBlocks: 16
; NumSGPRsForWavesPerEU: 102
; NumVGPRsForWavesPerEU: 65
; Occupancy: 3
; WaveLimiterHint : 0
; COMPUTE_PGM_RSRC2:SCRATCH_EN: 0
; COMPUTE_PGM_RSRC2:USER_SGPR: 6
; COMPUTE_PGM_RSRC2:TRAP_HANDLER: 0
; COMPUTE_PGM_RSRC2:TGID_X_EN: 1
; COMPUTE_PGM_RSRC2:TGID_Y_EN: 0
; COMPUTE_PGM_RSRC2:TGID_Z_EN: 1
; COMPUTE_PGM_RSRC2:TIDIG_COMP_CNT: 1
	.section	.text._ZL62rocblas_symv_kernel_lower_double_buffered_non_diagonal_genericILi32ELi4ELi4E24rocblas_internal_val_ptrIdEPKdPdEvbiT2_lT3_lllS6_lllT4_lllii,"axG",@progbits,_ZL62rocblas_symv_kernel_lower_double_buffered_non_diagonal_genericILi32ELi4ELi4E24rocblas_internal_val_ptrIdEPKdPdEvbiT2_lT3_lllS6_lllT4_lllii,comdat
	.globl	_ZL62rocblas_symv_kernel_lower_double_buffered_non_diagonal_genericILi32ELi4ELi4E24rocblas_internal_val_ptrIdEPKdPdEvbiT2_lT3_lllS6_lllT4_lllii ; -- Begin function _ZL62rocblas_symv_kernel_lower_double_buffered_non_diagonal_genericILi32ELi4ELi4E24rocblas_internal_val_ptrIdEPKdPdEvbiT2_lT3_lllS6_lllT4_lllii
	.p2align	8
	.type	_ZL62rocblas_symv_kernel_lower_double_buffered_non_diagonal_genericILi32ELi4ELi4E24rocblas_internal_val_ptrIdEPKdPdEvbiT2_lT3_lllS6_lllT4_lllii,@function
_ZL62rocblas_symv_kernel_lower_double_buffered_non_diagonal_genericILi32ELi4ELi4E24rocblas_internal_val_ptrIdEPKdPdEvbiT2_lT3_lllS6_lllT4_lllii: ; @_ZL62rocblas_symv_kernel_lower_double_buffered_non_diagonal_genericILi32ELi4ELi4E24rocblas_internal_val_ptrIdEPKdPdEvbiT2_lT3_lllS6_lllT4_lllii
; %bb.0:
	s_load_dword s0, s[4:5], 0x0
	s_load_dwordx16 s[12:27], s[4:5], 0x8
	s_waitcnt lgkmcnt(0)
	s_bitcmp1_b32 s0, 0
	s_cselect_b64 s[0:1], -1, 0
	v_mov_b32_e32 v5, s12
	s_and_b64 vcc, exec, s[0:1]
	v_mov_b32_e32 v6, s13
	s_cbranch_vccnz .LBB105_2
; %bb.1:
	s_mul_i32 s0, s15, s8
	s_mul_hi_u32 s1, s14, s8
	s_add_i32 s1, s1, s0
	s_mul_i32 s0, s14, s8
	s_lshl_b64 s[0:1], s[0:1], 3
	s_add_u32 s0, s12, s0
	s_addc_u32 s1, s13, s1
	v_mov_b32_e32 v3, s1
	v_mov_b32_e32 v2, s0
	flat_load_dwordx2 v[5:6], v[2:3]
.LBB105_2:
	s_waitcnt vmcnt(0) lgkmcnt(0)
	v_cmp_neq_f64_e32 vcc, 0, v[5:6]
	s_and_saveexec_b64 s[0:1], vcc
	s_cbranch_execz .LBB105_41
; %bb.3:
	s_load_dwordx2 s[12:13], s[4:5], 0x80
	s_waitcnt lgkmcnt(0)
	v_cvt_f32_u32_e32 v2, s13
	s_add_i32 s10, s12, -1
	s_cmp_eq_u32 s6, s10
	v_rcp_iflag_f32_e32 v2, v2
	v_mul_f32_e32 v2, 0x4f7ffffe, v2
	v_cvt_u32_f32_e32 v2, v2
	v_readfirstlane_b32 s0, v2
	s_cbranch_scc1 .LBB105_41
; %bb.4:
	s_not_b32 s1, s6
	s_load_dwordx4 s[28:31], s[4:5], 0x48
	s_add_i32 s10, s10, s1
	s_sub_i32 s1, 0, s13
	s_mul_i32 s1, s1, s0
	s_mul_hi_u32 s1, s0, s1
	s_add_i32 s0, s0, s1
	s_mul_hi_u32 s9, s10, s0
	s_waitcnt lgkmcnt(0)
	s_mul_i32 s0, s31, s8
	s_mul_hi_u32 s1, s30, s8
	s_add_i32 s1, s1, s0
	s_mul_i32 s0, s30, s8
	s_lshl_b64 s[0:1], s[0:1], 3
	s_add_u32 s2, s24, s0
	s_addc_u32 s3, s25, s1
	s_lshl_b64 s[0:1], s[26:27], 3
	s_add_u32 s2, s2, s0
	s_addc_u32 s3, s3, s1
	s_lshl_b32 s30, s6, 5
	s_ashr_i32 s31, s30, 31
	s_mul_i32 s0, s28, s31
	s_mul_hi_u32 s1, s28, s30
	s_add_i32 s0, s1, s0
	s_mul_i32 s1, s29, s30
	s_add_i32 s1, s0, s1
	s_mul_i32 s0, s28, s30
	s_lshl_b64 s[0:1], s[0:1], 3
	s_add_u32 s14, s2, s0
	s_addc_u32 s15, s3, s1
	v_cmp_eq_u32_e64 s[0:1], 0, v1
	s_and_saveexec_b64 s[2:3], s[0:1]
	s_cbranch_execz .LBB105_6
; %bb.5:
	v_mad_u64_u32 v[2:3], s[24:25], s28, v0, 0
	v_mad_u64_u32 v[3:4], s[24:25], s29, v0, v[3:4]
	v_mov_b32_e32 v4, s15
	v_lshlrev_b64 v[2:3], 3, v[2:3]
	v_add_co_u32_e32 v2, vcc, s14, v2
	v_addc_co_u32_e32 v3, vcc, v4, v3, vcc
	global_load_dwordx2 v[2:3], v[2:3], off
	v_lshlrev_b32_e32 v4, 3, v0
	s_waitcnt vmcnt(0)
	ds_write_b64 v4, v[2:3] offset:6144
.LBB105_6:
	s_or_b64 exec, exec, s[2:3]
	s_mul_i32 s2, s9, s13
	s_sub_i32 s2, s10, s2
	s_add_i32 s3, s9, 1
	s_sub_i32 s11, s2, s13
	s_cmp_ge_u32 s2, s13
	s_cselect_b32 s3, s3, s9
	s_cselect_b32 s2, s11, s2
	s_add_i32 s9, s3, 1
	s_cmp_ge_u32 s2, s13
	s_cselect_b32 s11, s9, s3
	s_add_i32 s24, s13, -1
	s_cmp_eq_u32 s7, s24
	s_cselect_b64 s[2:3], -1, 0
	s_cmp_lg_u32 s7, s24
	s_mov_b32 s9, s11
	s_cbranch_scc1 .LBB105_8
; %bb.7:
	s_mul_i32 s9, s11, s13
	s_sub_i32 s9, s10, s9
	s_add_i32 s9, s9, s11
.LBB105_8:
	s_cmp_lg_u32 s7, s24
	s_cselect_b64 s[24:25], -1, 0
	s_cmp_eq_u32 s9, 0
	s_cselect_b64 s[26:27], -1, 0
	s_and_b64 s[24:25], s[24:25], s[26:27]
	s_and_b64 vcc, exec, s[24:25]
	s_cbranch_vccnz .LBB105_41
; %bb.9:
	s_mul_i32 s7, s7, s11
	s_lshl_b32 s24, s7, 5
	s_mul_i32 s7, s23, s8
	s_mul_hi_u32 s10, s22, s8
	s_add_i32 s11, s10, s7
	s_mul_i32 s10, s22, s8
	s_ashr_i32 s25, s24, 31
	s_lshl_b64 s[10:11], s[10:11], 3
	s_add_u32 s7, s16, s10
	s_addc_u32 s13, s17, s11
	s_lshl_b64 s[10:11], s[18:19], 3
	s_add_u32 s7, s7, s10
	s_addc_u32 s13, s13, s11
	s_add_u32 s10, s20, 1
	s_addc_u32 s11, s21, 0
	s_mul_i32 s16, s10, s31
	s_mul_hi_u32 s17, s10, s30
	v_lshl_add_u32 v1, v1, 5, v0
	s_add_i32 s16, s17, s16
	s_mul_i32 s11, s11, s30
	v_lshrrev_b32_e32 v72, 4, v1
	s_add_i32 s11, s16, s11
	s_mul_i32 s10, s10, s30
	v_and_b32_e32 v7, 15, v0
	v_lshlrev_b32_e32 v73, 2, v72
	v_mov_b32_e32 v8, 0
	s_lshl_b64 s[10:11], s[10:11], 3
	v_mad_u64_u32 v[8:9], s[16:17], s20, v73, v[7:8]
	s_add_u32 s7, s7, s10
	s_addc_u32 s13, s13, s11
	s_lshl_b64 s[10:11], s[24:25], 3
	s_add_u32 s10, s7, s10
	s_addc_u32 s11, s13, s11
	s_mul_i32 s7, s28, s25
	s_mul_hi_u32 s13, s28, s24
	v_mov_b32_e32 v1, v9
	s_add_i32 s7, s13, s7
	s_mul_i32 s13, s29, s24
	v_mad_u64_u32 v[1:2], s[18:19], s21, v73, v[1:2]
	s_load_dwordx2 s[26:27], s[4:5], 0x58
	s_add_i32 s17, s7, s13
	s_mul_i32 s16, s28, s24
	s_lshl_b64 s[16:17], s[16:17], 3
	s_add_u32 s18, s14, s16
	s_addc_u32 s19, s15, s17
	v_mov_b32_e32 v9, v1
	s_lshl_b64 s[16:17], s[28:29], 5
	s_add_i32 s7, s12, -2
	v_mov_b32_e32 v1, 0
	v_mov_b32_e32 v24, 0
	;; [unrolled: 1-line block ×7, first 2 shown]
	s_cmp_ge_u32 s6, s7
	v_mov_b32_e32 v25, 0
	v_mov_b32_e32 v17, 0
	;; [unrolled: 1-line block ×5, first 2 shown]
	s_waitcnt lgkmcnt(0)
	s_barrier
	s_cbranch_scc1 .LBB105_11
; %bb.10:
	v_lshlrev_b64 v[3:4], 3, v[8:9]
	s_lshl_b64 s[6:7], s[16:17], 3
	s_add_u32 s14, s18, s6
	v_mov_b32_e32 v10, s11
	v_add_co_u32_e32 v3, vcc, s10, v3
	s_addc_u32 s15, s19, s7
	v_addc_co_u32_e32 v4, vcc, v10, v4, vcc
	s_lshl_b64 s[6:7], s[20:21], 3
	v_mov_b32_e32 v11, s7
	v_add_co_u32_e32 v10, vcc, s6, v3
	v_addc_co_u32_e32 v11, vcc, v4, v11, vcc
	s_lshl_b64 s[6:7], s[20:21], 4
	v_mov_b32_e32 v15, s7
	v_mad_u64_u32 v[12:13], s[12:13], s20, 24, v[3:4]
	v_add_co_u32_e32 v14, vcc, s6, v3
	v_mad_u64_u32 v[24:25], s[6:7], s28, v7, 0
	v_mad_u64_u32 v[22:23], s[6:7], s21, 24, v[13:14]
	v_mov_b32_e32 v13, v25
	v_mad_u64_u32 v[25:26], s[6:7], s29, v7, v[13:14]
	v_addc_co_u32_e32 v15, vcc, v4, v15, vcc
	global_load_dwordx2 v[16:17], v[3:4], off offset:256
	global_load_dwordx2 v[18:19], v[10:11], off offset:256
	;; [unrolled: 1-line block ×3, first 2 shown]
	v_lshlrev_b64 v[3:4], 3, v[24:25]
	v_mov_b32_e32 v10, s15
	v_add_co_u32_e32 v3, vcc, s14, v3
	v_mov_b32_e32 v13, v22
	v_addc_co_u32_e32 v4, vcc, v10, v4, vcc
	global_load_dwordx2 v[22:23], v[12:13], off offset:256
	global_load_dwordx2 v[24:25], v[3:4], off
.LBB105_11:
	s_load_dwordx2 s[6:7], s[4:5], 0x70
	s_load_dwordx4 s[12:15], s[4:5], 0x60
	v_or_b32_e32 v74, 16, v7
	s_waitcnt lgkmcnt(0)
	s_mul_i32 s7, s7, s8
	s_mul_hi_u32 s22, s6, s8
	s_mul_i32 s6, s6, s8
	s_add_i32 s7, s22, s7
	s_lshl_b64 s[6:7], s[6:7], 3
	s_add_u32 s8, s26, s6
	s_addc_u32 s22, s27, s7
	s_lshl_b64 s[6:7], s[12:13], 3
	s_add_u32 s8, s8, s6
	s_addc_u32 s12, s22, s7
	s_mul_i32 s6, s14, s31
	s_mul_hi_u32 s7, s14, s30
	s_add_i32 s6, s7, s6
	s_mul_i32 s7, s15, s30
	s_add_i32 s7, s6, s7
	s_mul_i32 s6, s14, s30
	s_lshl_b64 s[6:7], s[6:7], 3
	s_add_u32 s33, s8, s6
	s_addc_u32 s36, s12, s7
	s_mul_i32 s6, s14, s25
	s_mul_hi_u32 s7, s14, s24
	s_add_i32 s6, s7, s6
	s_mul_i32 s7, s15, s24
	s_add_i32 s7, s6, s7
	s_mul_i32 s6, s14, s24
	s_lshl_b64 s[6:7], s[6:7], 3
	s_add_u32 s22, s33, s6
	s_addc_u32 s23, s36, s7
	s_cmp_lt_i32 s9, 1
	s_cbranch_scc1 .LBB105_20
; %bb.12:
	v_mad_u64_u32 v[1:2], s[6:7], s28, v74, 0
	v_mov_b32_e32 v10, 0x1800
	v_lshl_add_u32 v77, v73, 3, v10
	v_mad_u64_u32 v[2:3], s[6:7], s29, v74, v[2:3]
	v_mad_u64_u32 v[3:4], s[6:7], s14, v0, 0
	v_mov_b32_e32 v12, 0x1000
	v_lshl_or_b32 v13, v7, 3, v12
	v_mad_u64_u32 v[10:11], s[6:7], s15, v0, v[4:5]
	v_lshlrev_b32_e32 v11, 8, v72
	s_lshl_b64 s[6:7], s[14:15], 8
	v_mov_b32_e32 v4, v10
	v_lshlrev_b64 v[26:27], 3, v[1:2]
	v_lshlrev_b64 v[14:15], 3, v[3:4]
	v_lshl_or_b32 v75, v0, 3, v12
	s_cmp_lg_u32 s9, 1
	v_add_u32_e32 v76, v13, v11
	s_cbranch_scc0 .LBB105_21
; %bb.13:
	v_mad_u64_u32 v[1:2], s[12:13], s28, v7, 0
	s_add_i32 s37, s9, -2
	s_lshl_b64 s[12:13], s[20:21], 3
	v_mad_u64_u32 v[2:3], s[8:9], s29, v7, v[2:3]
	s_lshl_b64 s[8:9], s[20:21], 4
	s_sub_u32 s38, 0, s8
	s_subb_u32 s8, 0, s9
	v_mov_b32_e32 v28, 0
	v_mov_b32_e32 v10, s22
	v_lshlrev_b64 v[44:45], 3, v[8:9]
	v_lshlrev_b64 v[46:47], 3, v[1:2]
	s_waitcnt vmcnt(0)
	v_mov_b32_e32 v49, v25
	v_mov_b32_e32 v30, 0
	;; [unrolled: 1-line block ×9, first 2 shown]
	s_mov_b32 s39, 0
	v_mov_b32_e32 v11, s23
	s_lshl_b64 s[26:27], s[16:17], 3
	v_mov_b32_e32 v78, s13
	v_mov_b32_e32 v79, s8
	s_mov_b64 s[8:9], s[10:11]
	v_mov_b32_e32 v48, v24
	s_mov_b64 s[24:25], s[18:19]
	v_mov_b32_e32 v31, 0
	v_mov_b32_e32 v33, 0
	;; [unrolled: 1-line block ×7, first 2 shown]
.LBB105_14:                             ; =>This Loop Header: Depth=1
                                        ;     Child Loop BB105_16 Depth 2
	s_add_u32 s24, s24, s26
	s_addc_u32 s25, s25, s27
	v_mov_b32_e32 v2, s25
	v_add_co_u32_e32 v1, vcc, s24, v26
	v_addc_co_u32_e32 v2, vcc, v2, v27, vcc
	global_load_dwordx2 v[58:59], v[1:2], off
	v_mov_b32_e32 v2, s9
	v_add_co_u32_e32 v1, vcc, s8, v44
	v_addc_co_u32_e32 v2, vcc, v2, v45, vcc
	global_load_dwordx2 v[60:61], v[1:2], off offset:384
	v_add_co_u32_e32 v3, vcc, s12, v1
	v_addc_co_u32_e32 v4, vcc, v2, v78, vcc
	global_load_dwordx2 v[62:63], v[3:4], off offset:384
	v_add_co_u32_e32 v3, vcc, s12, v3
	v_addc_co_u32_e32 v4, vcc, v4, v78, vcc
	v_add_co_u32_e32 v12, vcc, s12, v3
	v_addc_co_u32_e32 v13, vcc, v4, v78, vcc
	global_load_dwordx2 v[64:65], v[12:13], off offset:384
	global_load_dwordx2 v[66:67], v[3:4], off offset:384
	;; [unrolled: 1-line block ×3, first 2 shown]
	v_add_co_u32_e32 v1, vcc, s38, v12
	v_addc_co_u32_e32 v2, vcc, v13, v79, vcc
	v_add_co_u32_e32 v3, vcc, s12, v1
	v_addc_co_u32_e32 v4, vcc, v2, v78, vcc
	s_add_u32 s30, s24, s26
	v_add_co_u32_e32 v68, vcc, s12, v3
	s_addc_u32 s31, s25, s27
	v_addc_co_u32_e32 v69, vcc, v4, v78, vcc
	v_mov_b32_e32 v12, s31
	v_add_co_u32_e32 v70, vcc, s30, v46
	v_addc_co_u32_e32 v71, vcc, v12, v47, vcc
	global_load_dwordx2 v[12:13], v[70:71], off
	global_load_dwordx2 v[40:41], v[1:2], off offset:512
	global_load_dwordx2 v[42:43], v[3:4], off offset:512
	;; [unrolled: 1-line block ×3, first 2 shown]
	ds_read_b128 v[1:4], v77
	ds_read_b128 v[68:71], v77 offset:16
	s_waitcnt vmcnt(0) lgkmcnt(0)
	s_barrier
	v_fma_f64 v[80:81], v[50:51], v[1:2], 0
	v_fma_f64 v[80:81], v[52:53], v[3:4], v[80:81]
	v_fma_f64 v[1:2], v[60:61], v[1:2], 0
	v_fma_f64 v[1:2], v[62:63], v[3:4], v[1:2]
	v_fma_f64 v[3:4], v[54:55], v[68:69], v[80:81]
	v_fma_f64 v[1:2], v[66:67], v[68:69], v[1:2]
	v_fma_f64 v[3:4], v[56:57], v[70:71], v[3:4]
	v_fma_f64 v[1:2], v[64:65], v[70:71], v[1:2]
	ds_write2_b64 v76, v[3:4], v[1:2] offset1:16
	s_waitcnt lgkmcnt(0)
	s_barrier
	s_and_saveexec_b64 s[30:31], s[0:1]
	s_cbranch_execz .LBB105_18
; %bb.15:                               ;   in Loop: Header=BB105_14 Depth=1
	v_mov_b32_e32 v1, s7
	v_add_co_u32_e32 v10, vcc, s6, v10
	v_addc_co_u32_e32 v11, vcc, v11, v1, vcc
	v_add_co_u32_e32 v68, vcc, v10, v14
	v_addc_co_u32_e32 v69, vcc, v11, v15, vcc
	global_load_dwordx2 v[3:4], v[68:69], off
	ds_read2_b64 v[80:83], v75 offset1:32
	s_mov_b64 s[34:35], 0
	s_waitcnt lgkmcnt(0)
	v_add_f64 v[1:2], v[80:81], 0
	v_add_f64 v[1:2], v[1:2], v[82:83]
	ds_read2_b64 v[80:83], v75 offset0:64 offset1:96
	s_waitcnt lgkmcnt(0)
	v_add_f64 v[1:2], v[1:2], v[80:81]
	v_add_f64 v[1:2], v[1:2], v[82:83]
	ds_read2_b64 v[80:83], v75 offset0:128 offset1:160
	;; [unrolled: 4-line block ×3, first 2 shown]
	s_waitcnt lgkmcnt(0)
	v_add_f64 v[1:2], v[1:2], v[80:81]
	v_add_f64 v[1:2], v[1:2], v[82:83]
	v_mul_f64 v[70:71], v[5:6], v[1:2]
.LBB105_16:                             ;   Parent Loop BB105_14 Depth=1
                                        ; =>  This Inner Loop Header: Depth=2
	s_waitcnt vmcnt(0)
	v_add_f64 v[1:2], v[3:4], v[70:71]
	global_atomic_cmpswap_x2 v[1:2], v[68:69], v[1:4], off glc
	s_waitcnt vmcnt(0)
	v_cmp_eq_u64_e32 vcc, v[1:2], v[3:4]
	v_mov_b32_e32 v4, v2
	s_or_b64 s[34:35], vcc, s[34:35]
	v_mov_b32_e32 v3, v1
	s_andn2_b64 exec, exec, s[34:35]
	s_cbranch_execnz .LBB105_16
; %bb.17:                               ;   in Loop: Header=BB105_14 Depth=1
	s_or_b64 exec, exec, s[34:35]
.LBB105_18:                             ;   in Loop: Header=BB105_14 Depth=1
	s_or_b64 exec, exec, s[30:31]
	v_fma_f64 v[1:2], v[48:49], v[50:51], v[28:29]
	v_fma_f64 v[3:4], v[48:49], v[52:53], v[30:31]
	;; [unrolled: 1-line block ×4, first 2 shown]
	s_add_u32 s8, s8, 0x100
	s_addc_u32 s9, s9, 0
	s_add_i32 s30, s39, 1
	s_cmp_eq_u32 s39, s37
	v_fma_f64 v[28:29], v[58:59], v[60:61], v[1:2]
	v_fma_f64 v[30:31], v[58:59], v[62:63], v[3:4]
	;; [unrolled: 1-line block ×4, first 2 shown]
	s_cbranch_scc1 .LBB105_22
; %bb.19:                               ;   in Loop: Header=BB105_14 Depth=1
	v_mov_b32_e32 v49, v13
	v_mov_b32_e32 v51, v37
	;; [unrolled: 1-line block ×5, first 2 shown]
	s_mov_b32 s39, s30
	v_mov_b32_e32 v48, v12
	v_mov_b32_e32 v50, v36
	;; [unrolled: 1-line block ×5, first 2 shown]
	s_branch .LBB105_14
.LBB105_20:
	v_mov_b32_e32 v10, s22
	v_mov_b32_e32 v3, 0
	;; [unrolled: 1-line block ×3, first 2 shown]
	s_waitcnt vmcnt(3)
	v_mov_b32_e32 v18, 0
	v_mov_b32_e32 v16, 0
	s_waitcnt vmcnt(0)
	v_mov_b32_e32 v12, v24
	v_mov_b32_e32 v11, s23
	;; [unrolled: 1-line block ×7, first 2 shown]
	s_and_b64 vcc, exec, s[2:3]
	s_cbranch_vccnz .LBB105_30
	s_branch .LBB105_38
.LBB105_21:
	s_mov_b64 s[26:27], -1
                                        ; implicit-def: $vgpr38_vgpr39
                                        ; implicit-def: $vgpr42_vgpr43
                                        ; implicit-def: $vgpr40_vgpr41
                                        ; implicit-def: $vgpr36_vgpr37
                                        ; implicit-def: $vgpr34_vgpr35
                                        ; implicit-def: $vgpr32_vgpr33
                                        ; implicit-def: $vgpr30_vgpr31
                                        ; implicit-def: $vgpr28_vgpr29
                                        ; implicit-def: $sgpr24_sgpr25
                                        ; implicit-def: $vgpr10_vgpr11
                                        ; implicit-def: $vgpr12_vgpr13
                                        ; implicit-def: $sgpr8_sgpr9
                                        ; implicit-def: $sgpr12_sgpr13
	s_branch .LBB105_23
.LBB105_22:
	s_mov_b64 s[26:27], 0
.LBB105_23:
	s_and_b64 vcc, exec, s[26:27]
	s_cbranch_vccz .LBB105_25
; %bb.24:
	v_mov_b32_e32 v28, 0
	v_mov_b32_e32 v10, s22
	s_waitcnt vmcnt(0)
	v_mov_b32_e32 v12, v24
	v_mov_b32_e32 v30, 0
	v_mov_b32_e32 v32, 0
	v_mov_b32_e32 v34, 0
	v_mov_b32_e32 v37, v17
	v_mov_b32_e32 v41, v19
	v_mov_b32_e32 v43, v21
	v_mov_b32_e32 v39, v23
	s_lshl_b64 s[12:13], s[20:21], 3
	v_mov_b32_e32 v29, 0
	v_mov_b32_e32 v11, s23
	s_mov_b64 s[8:9], s[10:11]
	v_mov_b32_e32 v13, v25
	s_mov_b64 s[24:25], s[18:19]
	v_mov_b32_e32 v31, 0
	v_mov_b32_e32 v33, 0
	;; [unrolled: 1-line block ×7, first 2 shown]
.LBB105_25:
	v_lshlrev_b64 v[1:2], 3, v[8:9]
	v_mov_b32_e32 v3, s9
	v_add_co_u32_e32 v1, vcc, s8, v1
	v_addc_co_u32_e32 v2, vcc, v3, v2, vcc
	v_mad_u64_u32 v[3:4], s[10:11], s20, 24, v[1:2]
	s_lshl_b64 s[10:11], s[16:17], 3
	s_add_u32 s18, s24, s10
	s_addc_u32 s19, s25, s11
	s_waitcnt vmcnt(4)
	v_mad_u64_u32 v[16:17], s[10:11], s21, 24, v[4:5]
	s_sub_u32 s10, 0, s12
	s_subb_u32 s11, 0, s13
	v_mov_b32_e32 v4, s11
	s_waitcnt vmcnt(0)
	v_add_co_u32_e32 v24, vcc, s10, v3
	v_addc_co_u32_e32 v25, vcc, v16, v4, vcc
	v_add_co_u32_e32 v44, vcc, s10, v24
	v_addc_co_u32_e32 v45, vcc, v25, v4, vcc
	global_load_dwordx2 v[20:21], v[44:45], off offset:384
	global_load_dwordx2 v[18:19], v[1:2], off offset:384
	;; [unrolled: 1-line block ×3, first 2 shown]
	v_mov_b32_e32 v4, v16
	global_load_dwordx2 v[24:25], v[3:4], off offset:384
	v_mov_b32_e32 v2, s19
	v_add_co_u32_e32 v1, vcc, s18, v26
	v_addc_co_u32_e32 v2, vcc, v2, v27, vcc
	global_load_dwordx2 v[16:17], v[1:2], off
	ds_read_b128 v[1:4], v77
	ds_read_b128 v[44:47], v77 offset:16
	v_fma_f64 v[32:33], v[12:13], v[42:43], v[32:33]
	v_fma_f64 v[30:31], v[12:13], v[40:41], v[30:31]
	;; [unrolled: 1-line block ×3, first 2 shown]
	s_waitcnt lgkmcnt(1)
	v_fma_f64 v[26:27], v[36:37], v[1:2], 0
	s_add_u32 s10, s8, 0x100
	s_mov_b64 s[12:13], 0
	s_addc_u32 s11, s9, 0
	s_waitcnt vmcnt(0) lgkmcnt(0)
	s_barrier
	v_fma_f64 v[26:27], v[40:41], v[3:4], v[26:27]
	v_fma_f64 v[1:2], v[18:19], v[1:2], 0
	;; [unrolled: 1-line block ×8, first 2 shown]
	ds_write2_b64 v76, v[3:4], v[1:2] offset1:16
	s_waitcnt lgkmcnt(0)
	s_barrier
	s_and_saveexec_b64 s[8:9], s[0:1]
	s_cbranch_execz .LBB105_29
; %bb.26:
	v_mov_b32_e32 v1, s7
	v_add_co_u32_e32 v10, vcc, s6, v10
	v_addc_co_u32_e32 v11, vcc, v11, v1, vcc
	v_add_co_u32_e32 v14, vcc, v10, v14
	v_addc_co_u32_e32 v15, vcc, v11, v15, vcc
	global_load_dwordx2 v[3:4], v[14:15], off
	ds_read2_b64 v[34:37], v75 offset1:32
	s_waitcnt lgkmcnt(0)
	v_add_f64 v[1:2], v[34:35], 0
	v_add_f64 v[1:2], v[1:2], v[36:37]
	ds_read2_b64 v[34:37], v75 offset0:64 offset1:96
	s_waitcnt lgkmcnt(0)
	v_add_f64 v[1:2], v[1:2], v[34:35]
	v_add_f64 v[1:2], v[1:2], v[36:37]
	ds_read2_b64 v[34:37], v75 offset0:128 offset1:160
	s_waitcnt lgkmcnt(0)
	v_add_f64 v[1:2], v[1:2], v[34:35]
	v_add_f64 v[1:2], v[1:2], v[36:37]
	ds_read2_b64 v[34:37], v75 offset0:192 offset1:224
	s_waitcnt lgkmcnt(0)
	v_add_f64 v[1:2], v[1:2], v[34:35]
	v_add_f64 v[1:2], v[1:2], v[36:37]
	v_mul_f64 v[34:35], v[5:6], v[1:2]
.LBB105_27:                             ; =>This Inner Loop Header: Depth=1
	s_waitcnt vmcnt(0)
	v_add_f64 v[1:2], v[3:4], v[34:35]
	global_atomic_cmpswap_x2 v[1:2], v[14:15], v[1:4], off glc
	s_waitcnt vmcnt(0)
	v_cmp_eq_u64_e32 vcc, v[1:2], v[3:4]
	v_mov_b32_e32 v4, v2
	s_or_b64 s[12:13], vcc, s[12:13]
	v_mov_b32_e32 v3, v1
	s_andn2_b64 exec, exec, s[12:13]
	s_cbranch_execnz .LBB105_27
; %bb.28:
	s_or_b64 exec, exec, s[12:13]
.LBB105_29:
	s_or_b64 exec, exec, s[8:9]
	v_fma_f64 v[18:19], v[16:17], v[18:19], v[28:29]
	v_fma_f64 v[14:15], v[16:17], v[20:21], v[30:31]
	;; [unrolled: 1-line block ×4, first 2 shown]
	s_and_b64 vcc, exec, s[2:3]
	s_cbranch_vccz .LBB105_38
.LBB105_30:
	s_load_dword s4, s[4:5], 0x78
	s_lshl_b64 s[2:3], s[16:17], 3
	s_add_u32 s5, s18, s2
	v_mov_b32_e32 v20, 0
	v_mov_b32_e32 v28, 0
	;; [unrolled: 1-line block ×5, first 2 shown]
	s_addc_u32 s6, s19, s3
	v_mov_b32_e32 v21, 0
	v_mov_b32_e32 v29, 0
	;; [unrolled: 1-line block ×5, first 2 shown]
	s_waitcnt lgkmcnt(0)
	v_cmp_gt_i32_e32 vcc, s4, v7
	s_and_saveexec_b64 s[2:3], vcc
	s_cbranch_execz .LBB105_32
; %bb.31:
	v_lshlrev_b64 v[12:13], 3, v[8:9]
	v_mov_b32_e32 v22, s11
	v_add_co_u32_e32 v12, vcc, s10, v12
	v_addc_co_u32_e32 v13, vcc, v22, v13, vcc
	s_lshl_b64 s[8:9], s[20:21], 3
	v_mov_b32_e32 v23, s9
	v_add_co_u32_e32 v22, vcc, s8, v12
	v_addc_co_u32_e32 v23, vcc, v13, v23, vcc
	s_lshl_b64 s[8:9], s[20:21], 4
	v_mov_b32_e32 v27, s9
	v_mad_u64_u32 v[24:25], s[12:13], s20, 24, v[12:13]
	v_add_co_u32_e32 v26, vcc, s8, v12
	v_mad_u64_u32 v[36:37], s[8:9], s28, v7, 0
	v_mad_u64_u32 v[34:35], s[8:9], s21, 24, v[25:26]
	v_mov_b32_e32 v25, v37
	v_mad_u64_u32 v[37:38], s[8:9], s29, v7, v[25:26]
	v_addc_co_u32_e32 v27, vcc, v13, v27, vcc
	global_load_dwordx2 v[28:29], v[12:13], off offset:256
	global_load_dwordx2 v[30:31], v[22:23], off offset:256
	;; [unrolled: 1-line block ×3, first 2 shown]
	v_lshlrev_b64 v[12:13], 3, v[36:37]
	v_mov_b32_e32 v22, s6
	v_add_co_u32_e32 v12, vcc, s5, v12
	v_mov_b32_e32 v25, v34
	v_addc_co_u32_e32 v13, vcc, v22, v13, vcc
	global_load_dwordx2 v[34:35], v[24:25], off offset:256
	s_nop 0
	global_load_dwordx2 v[12:13], v[12:13], off
.LBB105_32:
	s_or_b64 exec, exec, s[2:3]
	v_mov_b32_e32 v22, 0
	v_mov_b32_e32 v24, 0
	;; [unrolled: 1-line block ×6, first 2 shown]
	v_cmp_gt_i32_e32 vcc, s4, v74
	s_and_saveexec_b64 s[2:3], vcc
	s_cbranch_execz .LBB105_34
; %bb.33:
	v_lshlrev_b64 v[8:9], 3, v[8:9]
	v_mov_b32_e32 v16, s11
	v_add_co_u32_e32 v8, vcc, s10, v8
	v_addc_co_u32_e32 v9, vcc, v16, v9, vcc
	s_lshl_b64 s[8:9], s[20:21], 3
	v_mov_b32_e32 v17, s9
	v_add_co_u32_e32 v16, vcc, s8, v8
	v_addc_co_u32_e32 v17, vcc, v9, v17, vcc
	s_lshl_b64 s[8:9], s[20:21], 4
	v_mad_u64_u32 v[20:21], s[10:11], s20, 24, v[8:9]
	v_mov_b32_e32 v22, s9
	v_add_co_u32_e32 v36, vcc, s8, v8
	v_mad_u64_u32 v[38:39], s[8:9], s28, v74, 0
	v_addc_co_u32_e32 v37, vcc, v9, v22, vcc
	v_mad_u64_u32 v[21:22], s[8:9], s21, 24, v[21:22]
	v_mov_b32_e32 v22, v39
	v_mad_u64_u32 v[39:40], s[8:9], s29, v74, v[22:23]
	global_load_dwordx2 v[26:27], v[8:9], off offset:384
	global_load_dwordx2 v[24:25], v[16:17], off offset:384
	;; [unrolled: 1-line block ×3, first 2 shown]
                                        ; kill: killed $vgpr16 killed $vgpr17
                                        ; kill: killed $vgpr8 killed $vgpr9
                                        ; kill: killed $vgpr36 killed $vgpr37
	s_nop 0
	global_load_dwordx2 v[20:21], v[20:21], off offset:384
	v_mov_b32_e32 v16, s6
	v_lshlrev_b64 v[8:9], 3, v[38:39]
	v_add_co_u32_e32 v8, vcc, s5, v8
	v_addc_co_u32_e32 v9, vcc, v16, v9, vcc
	global_load_dwordx2 v[16:17], v[8:9], off
.LBB105_34:
	s_or_b64 exec, exec, s[2:3]
	v_lshlrev_b32_e32 v8, 3, v73
	ds_read_b128 v[36:39], v8 offset:6144
	ds_read_b128 v[40:43], v8 offset:6160
	s_waitcnt vmcnt(0)
	v_fma_f64 v[14:15], v[12:13], v[30:31], v[14:15]
	v_cmp_gt_i32_e32 vcc, s4, v0
	s_mov_b64 s[2:3], 0
	s_waitcnt lgkmcnt(1)
	v_fma_f64 v[8:9], v[26:27], v[36:37], 0
	v_fma_f64 v[36:37], v[28:29], v[36:37], 0
	s_and_b64 s[6:7], s[0:1], vcc
	s_waitcnt lgkmcnt(0)
	s_barrier
	v_fma_f64 v[8:9], v[24:25], v[38:39], v[8:9]
	v_fma_f64 v[36:37], v[30:31], v[38:39], v[36:37]
	;; [unrolled: 1-line block ×7, first 2 shown]
	v_lshlrev_b32_e32 v18, 3, v7
	v_lshl_or_b32 v18, v72, 8, v18
	v_add_u32_e32 v18, 0x1000, v18
	v_fma_f64 v[1:2], v[20:21], v[42:43], v[38:39]
	v_fma_f64 v[3:4], v[34:35], v[42:43], v[36:37]
	ds_write2_b64 v18, v[3:4], v[1:2] offset1:16
	s_waitcnt lgkmcnt(0)
	s_barrier
	s_and_saveexec_b64 s[4:5], s[6:7]
	s_cbranch_execz .LBB105_37
; %bb.35:
	v_mad_u64_u32 v[1:2], s[6:7], s14, v0, 0
	s_lshl_b64 s[6:7], s[14:15], 8
	v_mov_b32_e32 v4, s7
	v_mad_u64_u32 v[2:3], s[8:9], s15, v0, v[2:3]
	v_add_co_u32_e32 v3, vcc, s6, v10
	v_lshlrev_b64 v[1:2], 3, v[1:2]
	v_addc_co_u32_e32 v4, vcc, v11, v4, vcc
	v_add_co_u32_e32 v10, vcc, v3, v1
	v_addc_co_u32_e32 v11, vcc, v4, v2, vcc
	global_load_dwordx2 v[3:4], v[10:11], off
	v_lshlrev_b32_e32 v1, 3, v0
	v_add_u32_e32 v18, 0x1000, v1
	ds_read2_b64 v[30:33], v18 offset1:32
	s_waitcnt lgkmcnt(0)
	v_add_f64 v[1:2], v[30:31], 0
	v_add_f64 v[1:2], v[1:2], v[32:33]
	ds_read2_b64 v[30:33], v18 offset0:64 offset1:96
	s_waitcnt lgkmcnt(0)
	v_add_f64 v[1:2], v[1:2], v[30:31]
	v_add_f64 v[1:2], v[1:2], v[32:33]
	ds_read2_b64 v[30:33], v18 offset0:128 offset1:160
	;; [unrolled: 4-line block ×3, first 2 shown]
	s_waitcnt lgkmcnt(0)
	v_add_f64 v[1:2], v[1:2], v[30:31]
	v_add_f64 v[1:2], v[1:2], v[32:33]
	v_mul_f64 v[18:19], v[5:6], v[1:2]
.LBB105_36:                             ; =>This Inner Loop Header: Depth=1
	s_waitcnt vmcnt(0)
	v_add_f64 v[1:2], v[3:4], v[18:19]
	global_atomic_cmpswap_x2 v[1:2], v[10:11], v[1:4], off glc
	s_waitcnt vmcnt(0)
	v_cmp_eq_u64_e32 vcc, v[1:2], v[3:4]
	v_mov_b32_e32 v4, v2
	s_or_b64 s[2:3], vcc, s[2:3]
	v_mov_b32_e32 v3, v1
	s_andn2_b64 exec, exec, s[2:3]
	s_cbranch_execnz .LBB105_36
.LBB105_37:
	s_or_b64 exec, exec, s[4:5]
	v_fma_f64 v[18:19], v[26:27], v[16:17], v[8:9]
	v_fma_f64 v[14:15], v[24:25], v[16:17], v[14:15]
	;; [unrolled: 1-line block ×4, first 2 shown]
.LBB105_38:
	v_lshlrev_b32_e32 v8, 9, v72
	v_lshl_or_b32 v8, v7, 3, v8
	ds_write2_b64 v8, v[18:19], v[14:15] offset1:16
	ds_write2_b64 v8, v[3:4], v[1:2] offset0:32 offset1:48
	s_waitcnt lgkmcnt(0)
	s_barrier
	s_and_b64 exec, exec, s[0:1]
	s_cbranch_execz .LBB105_41
; %bb.39:
	v_lshlrev_b32_e32 v19, 7, v0
	v_lshl_or_b32 v1, v7, 3, v19
	ds_read_b64 v[1:2], v1
	v_add_u32_e32 v4, 2, v0
	v_and_b32_e32 v4, 15, v4
	v_add_u32_e32 v3, 1, v0
	v_lshl_or_b32 v8, v4, 3, v19
	s_waitcnt lgkmcnt(0)
	v_add_f64 v[1:2], v[1:2], 0
	v_add_u32_e32 v4, 3, v0
	v_and_b32_e32 v3, 15, v3
	v_and_b32_e32 v4, 15, v4
	v_lshl_or_b32 v3, v3, 3, v19
	v_lshl_or_b32 v10, v4, 3, v19
	ds_read_b64 v[3:4], v3
	ds_read_b64 v[8:9], v8
	;; [unrolled: 1-line block ×3, first 2 shown]
	v_xor_b32_e32 v7, 8, v7
	v_mov_b32_e32 v17, s36
	s_waitcnt lgkmcnt(2)
	v_add_f64 v[1:2], v[1:2], v[3:4]
	v_add_u32_e32 v3, 4, v0
	v_add_u32_e32 v4, 5, v0
	v_and_b32_e32 v3, 15, v3
	v_and_b32_e32 v4, 15, v4
	v_lshl_or_b32 v3, v3, 3, v19
	v_add_u32_e32 v14, 9, v0
	v_add_u32_e32 v16, 11, v0
	s_waitcnt lgkmcnt(1)
	v_add_f64 v[1:2], v[1:2], v[8:9]
	v_add_u32_e32 v8, 6, v0
	v_add_u32_e32 v9, 7, v0
	v_and_b32_e32 v8, 15, v8
	v_and_b32_e32 v9, 15, v9
	v_lshl_or_b32 v12, v9, 3, v19
	v_add_u32_e32 v15, 10, v0
	v_and_b32_e32 v14, 15, v14
	s_waitcnt lgkmcnt(0)
	v_add_f64 v[1:2], v[1:2], v[10:11]
	v_lshl_or_b32 v10, v4, 3, v19
	ds_read_b64 v[3:4], v3
	v_lshl_or_b32 v11, v8, 3, v19
	ds_read_b64 v[8:9], v10
	ds_read_b64 v[10:11], v11
	;; [unrolled: 1-line block ×3, first 2 shown]
	v_and_b32_e32 v16, 15, v16
	v_and_b32_e32 v15, 15, v15
	s_waitcnt lgkmcnt(3)
	v_add_f64 v[1:2], v[1:2], v[3:4]
	v_mad_u64_u32 v[3:4], s[0:1], s14, v0, 0
	s_waitcnt lgkmcnt(2)
	v_add_f64 v[1:2], v[1:2], v[8:9]
	v_lshl_or_b32 v9, v7, 3, v19
	v_mad_u64_u32 v[7:8], s[0:1], s15, v0, v[4:5]
	s_mov_b64 s[0:1], 0
	v_mov_b32_e32 v4, v7
	v_lshlrev_b64 v[3:4], 3, v[3:4]
	s_waitcnt lgkmcnt(1)
	v_add_f64 v[1:2], v[1:2], v[10:11]
	v_add_co_u32_e32 v7, vcc, s33, v3
	v_addc_co_u32_e32 v8, vcc, v17, v4, vcc
	ds_read_b64 v[9:10], v9
	v_lshl_or_b32 v17, v16, 3, v19
	v_lshl_or_b32 v4, v15, 3, v19
	s_waitcnt lgkmcnt(1)
	v_add_f64 v[11:12], v[1:2], v[12:13]
	global_load_dwordx2 v[2:3], v[7:8], off
	v_lshl_or_b32 v1, v14, 3, v19
	ds_read_b64 v[13:14], v1
	ds_read_b64 v[15:16], v4
	;; [unrolled: 1-line block ×3, first 2 shown]
	v_add_u32_e32 v1, 12, v0
	v_and_b32_e32 v1, 15, v1
	v_lshl_or_b32 v1, v1, 3, v19
	v_add_u32_e32 v4, 13, v0
	s_waitcnt lgkmcnt(3)
	v_add_f64 v[9:10], v[11:12], v[9:10]
	ds_read_b64 v[11:12], v1
	v_and_b32_e32 v4, 15, v4
	v_lshl_or_b32 v4, v4, 3, v19
	s_waitcnt lgkmcnt(3)
	v_add_f64 v[9:10], v[9:10], v[13:14]
	v_add_u32_e32 v13, 14, v0
	v_add_u32_e32 v0, -1, v0
	v_and_b32_e32 v1, 15, v13
	v_and_b32_e32 v0, 15, v0
	v_lshl_or_b32 v13, v1, 3, v19
	s_waitcnt lgkmcnt(2)
	v_add_f64 v[9:10], v[9:10], v[15:16]
	v_lshl_or_b32 v15, v0, 3, v19
	ds_read_b64 v[0:1], v4
	ds_read_b64 v[13:14], v13
	;; [unrolled: 1-line block ×3, first 2 shown]
	s_waitcnt lgkmcnt(4)
	v_add_f64 v[9:10], v[9:10], v[17:18]
	s_waitcnt lgkmcnt(3)
	v_add_f64 v[9:10], v[9:10], v[11:12]
	;; [unrolled: 2-line block ×5, first 2 shown]
	v_mul_f64 v[4:5], v[5:6], v[0:1]
.LBB105_40:                             ; =>This Inner Loop Header: Depth=1
	s_waitcnt vmcnt(0)
	v_add_f64 v[0:1], v[2:3], v[4:5]
	global_atomic_cmpswap_x2 v[0:1], v[7:8], v[0:3], off glc
	s_waitcnt vmcnt(0)
	v_cmp_eq_u64_e32 vcc, v[0:1], v[2:3]
	v_mov_b32_e32 v3, v1
	s_or_b64 s[0:1], vcc, s[0:1]
	v_mov_b32_e32 v2, v0
	s_andn2_b64 exec, exec, s[0:1]
	s_cbranch_execnz .LBB105_40
.LBB105_41:
	s_endpgm
	.section	.rodata,"a",@progbits
	.p2align	6, 0x0
	.amdhsa_kernel _ZL62rocblas_symv_kernel_lower_double_buffered_non_diagonal_genericILi32ELi4ELi4E24rocblas_internal_val_ptrIdEPKdPdEvbiT2_lT3_lllS6_lllT4_lllii
		.amdhsa_group_segment_fixed_size 6400
		.amdhsa_private_segment_fixed_size 0
		.amdhsa_kernarg_size 384
		.amdhsa_user_sgpr_count 6
		.amdhsa_user_sgpr_private_segment_buffer 1
		.amdhsa_user_sgpr_dispatch_ptr 0
		.amdhsa_user_sgpr_queue_ptr 0
		.amdhsa_user_sgpr_kernarg_segment_ptr 1
		.amdhsa_user_sgpr_dispatch_id 0
		.amdhsa_user_sgpr_flat_scratch_init 0
		.amdhsa_user_sgpr_private_segment_size 0
		.amdhsa_uses_dynamic_stack 0
		.amdhsa_system_sgpr_private_segment_wavefront_offset 0
		.amdhsa_system_sgpr_workgroup_id_x 1
		.amdhsa_system_sgpr_workgroup_id_y 1
		.amdhsa_system_sgpr_workgroup_id_z 1
		.amdhsa_system_sgpr_workgroup_info 0
		.amdhsa_system_vgpr_workitem_id 1
		.amdhsa_next_free_vgpr 84
		.amdhsa_next_free_sgpr 98
		.amdhsa_reserve_vcc 1
		.amdhsa_reserve_flat_scratch 0
		.amdhsa_float_round_mode_32 0
		.amdhsa_float_round_mode_16_64 0
		.amdhsa_float_denorm_mode_32 3
		.amdhsa_float_denorm_mode_16_64 3
		.amdhsa_dx10_clamp 1
		.amdhsa_ieee_mode 1
		.amdhsa_fp16_overflow 0
		.amdhsa_exception_fp_ieee_invalid_op 0
		.amdhsa_exception_fp_denorm_src 0
		.amdhsa_exception_fp_ieee_div_zero 0
		.amdhsa_exception_fp_ieee_overflow 0
		.amdhsa_exception_fp_ieee_underflow 0
		.amdhsa_exception_fp_ieee_inexact 0
		.amdhsa_exception_int_div_zero 0
	.end_amdhsa_kernel
	.section	.text._ZL62rocblas_symv_kernel_lower_double_buffered_non_diagonal_genericILi32ELi4ELi4E24rocblas_internal_val_ptrIdEPKdPdEvbiT2_lT3_lllS6_lllT4_lllii,"axG",@progbits,_ZL62rocblas_symv_kernel_lower_double_buffered_non_diagonal_genericILi32ELi4ELi4E24rocblas_internal_val_ptrIdEPKdPdEvbiT2_lT3_lllS6_lllT4_lllii,comdat
.Lfunc_end105:
	.size	_ZL62rocblas_symv_kernel_lower_double_buffered_non_diagonal_genericILi32ELi4ELi4E24rocblas_internal_val_ptrIdEPKdPdEvbiT2_lT3_lllS6_lllT4_lllii, .Lfunc_end105-_ZL62rocblas_symv_kernel_lower_double_buffered_non_diagonal_genericILi32ELi4ELi4E24rocblas_internal_val_ptrIdEPKdPdEvbiT2_lT3_lllS6_lllT4_lllii
                                        ; -- End function
	.set _ZL62rocblas_symv_kernel_lower_double_buffered_non_diagonal_genericILi32ELi4ELi4E24rocblas_internal_val_ptrIdEPKdPdEvbiT2_lT3_lllS6_lllT4_lllii.num_vgpr, 84
	.set _ZL62rocblas_symv_kernel_lower_double_buffered_non_diagonal_genericILi32ELi4ELi4E24rocblas_internal_val_ptrIdEPKdPdEvbiT2_lT3_lllS6_lllT4_lllii.num_agpr, 0
	.set _ZL62rocblas_symv_kernel_lower_double_buffered_non_diagonal_genericILi32ELi4ELi4E24rocblas_internal_val_ptrIdEPKdPdEvbiT2_lT3_lllS6_lllT4_lllii.numbered_sgpr, 40
	.set _ZL62rocblas_symv_kernel_lower_double_buffered_non_diagonal_genericILi32ELi4ELi4E24rocblas_internal_val_ptrIdEPKdPdEvbiT2_lT3_lllS6_lllT4_lllii.num_named_barrier, 0
	.set _ZL62rocblas_symv_kernel_lower_double_buffered_non_diagonal_genericILi32ELi4ELi4E24rocblas_internal_val_ptrIdEPKdPdEvbiT2_lT3_lllS6_lllT4_lllii.private_seg_size, 0
	.set _ZL62rocblas_symv_kernel_lower_double_buffered_non_diagonal_genericILi32ELi4ELi4E24rocblas_internal_val_ptrIdEPKdPdEvbiT2_lT3_lllS6_lllT4_lllii.uses_vcc, 1
	.set _ZL62rocblas_symv_kernel_lower_double_buffered_non_diagonal_genericILi32ELi4ELi4E24rocblas_internal_val_ptrIdEPKdPdEvbiT2_lT3_lllS6_lllT4_lllii.uses_flat_scratch, 0
	.set _ZL62rocblas_symv_kernel_lower_double_buffered_non_diagonal_genericILi32ELi4ELi4E24rocblas_internal_val_ptrIdEPKdPdEvbiT2_lT3_lllS6_lllT4_lllii.has_dyn_sized_stack, 0
	.set _ZL62rocblas_symv_kernel_lower_double_buffered_non_diagonal_genericILi32ELi4ELi4E24rocblas_internal_val_ptrIdEPKdPdEvbiT2_lT3_lllS6_lllT4_lllii.has_recursion, 0
	.set _ZL62rocblas_symv_kernel_lower_double_buffered_non_diagonal_genericILi32ELi4ELi4E24rocblas_internal_val_ptrIdEPKdPdEvbiT2_lT3_lllS6_lllT4_lllii.has_indirect_call, 0
	.section	.AMDGPU.csdata,"",@progbits
; Kernel info:
; codeLenInByte = 4292
; TotalNumSgprs: 44
; NumVgprs: 84
; ScratchSize: 0
; MemoryBound: 0
; FloatMode: 240
; IeeeMode: 1
; LDSByteSize: 6400 bytes/workgroup (compile time only)
; SGPRBlocks: 12
; VGPRBlocks: 20
; NumSGPRsForWavesPerEU: 102
; NumVGPRsForWavesPerEU: 84
; Occupancy: 3
; WaveLimiterHint : 0
; COMPUTE_PGM_RSRC2:SCRATCH_EN: 0
; COMPUTE_PGM_RSRC2:USER_SGPR: 6
; COMPUTE_PGM_RSRC2:TRAP_HANDLER: 0
; COMPUTE_PGM_RSRC2:TGID_X_EN: 1
; COMPUTE_PGM_RSRC2:TGID_Y_EN: 1
; COMPUTE_PGM_RSRC2:TGID_Z_EN: 1
; COMPUTE_PGM_RSRC2:TIDIG_COMP_CNT: 1
	.section	.text._ZL26rocblas_hemvn_kernel_lowerILb0ELi64ELi4ELi33ELi32ELi16ElPKdS1_PdEviT6_lT7_lT5_lS4_lS5_lS3_lT8_i,"axG",@progbits,_ZL26rocblas_hemvn_kernel_lowerILb0ELi64ELi4ELi33ELi32ELi16ElPKdS1_PdEviT6_lT7_lT5_lS4_lS5_lS3_lT8_i,comdat
	.globl	_ZL26rocblas_hemvn_kernel_lowerILb0ELi64ELi4ELi33ELi32ELi16ElPKdS1_PdEviT6_lT7_lT5_lS4_lS5_lS3_lT8_i ; -- Begin function _ZL26rocblas_hemvn_kernel_lowerILb0ELi64ELi4ELi33ELi32ELi16ElPKdS1_PdEviT6_lT7_lT5_lS4_lS5_lS3_lT8_i
	.p2align	8
	.type	_ZL26rocblas_hemvn_kernel_lowerILb0ELi64ELi4ELi33ELi32ELi16ElPKdS1_PdEviT6_lT7_lT5_lS4_lS5_lS3_lT8_i,@function
_ZL26rocblas_hemvn_kernel_lowerILb0ELi64ELi4ELi33ELi32ELi16ElPKdS1_PdEviT6_lT7_lT5_lS4_lS5_lS3_lT8_i: ; @_ZL26rocblas_hemvn_kernel_lowerILb0ELi64ELi4ELi33ELi32ELi16ElPKdS1_PdEviT6_lT7_lT5_lS4_lS5_lS3_lT8_i
; %bb.0:
	s_load_dwordx2 s[2:3], s[4:5], 0x84
	s_add_u32 s0, s4, 0x78
	s_addc_u32 s1, s5, 0
	s_waitcnt lgkmcnt(0)
	s_lshr_b32 s8, s2, 16
	s_and_b32 s2, s2, 0xffff
	s_and_b32 s3, s3, 0xffff
	s_mul_i32 s2, s8, s2
	s_mul_i32 s2, s2, s3
	s_cmpk_lg_i32 s2, 0x100
	s_cbranch_scc1 .LBB106_78
; %bb.1:
	s_load_dwordx16 s[12:27], s[4:5], 0x8
	s_load_dwordx8 s[36:43], s[4:5], 0x48
	s_waitcnt lgkmcnt(0)
	s_mul_i32 s3, s15, s7
	s_mul_hi_u32 s8, s14, s7
	s_mul_i32 s2, s14, s7
	s_add_i32 s3, s8, s3
	s_lshl_b64 s[2:3], s[2:3], 3
	s_mul_i32 s9, s43, s7
	s_add_u32 s2, s12, s2
	s_mul_hi_u32 s8, s42, s7
	s_addc_u32 s3, s13, s3
	s_add_i32 s9, s8, s9
	s_mul_i32 s8, s42, s7
	s_lshl_b64 s[8:9], s[8:9], 3
	s_add_u32 s8, s40, s8
	s_addc_u32 s9, s41, s9
	s_load_dwordx2 s[2:3], s[2:3], 0x0
	s_waitcnt lgkmcnt(0)
	v_cmp_eq_f64_e64 s[2:3], s[2:3], 0
	s_load_dwordx2 s[8:9], s[8:9], 0x0
	s_waitcnt lgkmcnt(0)
	v_cmp_eq_f64_e64 s[8:9], s[8:9], 1.0
	s_and_b64 s[8:9], s[2:3], s[8:9]
	s_and_b64 vcc, exec, s[8:9]
	s_cbranch_vccnz .LBB106_78
; %bb.2:
	s_and_b64 vcc, exec, s[2:3]
	s_cbranch_vccnz .LBB106_78
; %bb.3:
	s_load_dword s42, s[0:1], 0x0
	s_load_dwordx2 s[28:29], s[4:5], 0x68
	s_load_dword s33, s[4:5], 0x0
	s_mul_i32 s0, s39, s7
	s_mul_hi_u32 s1, s38, s7
	s_add_i32 s1, s1, s0
	s_mul_i32 s0, s38, s7
	s_lshl_b64 s[0:1], s[0:1], 3
	s_add_u32 s2, s24, s0
	s_addc_u32 s3, s25, s1
	s_lshl_b64 s[0:1], s[26:27], 3
	s_add_u32 s2, s2, s0
	s_addc_u32 s3, s3, s1
	s_lshl_b32 s26, s6, 6
	s_waitcnt lgkmcnt(0)
	s_ashr_i32 s43, s33, 31
	s_lshr_b32 s0, s43, 26
	v_add_u32_e32 v34, s26, v0
	s_add_i32 s0, s33, s0
	v_ashrrev_i32_e32 v35, 31, v34
	s_and_b32 s5, s0, 0xffffffc0
	v_mul_lo_u32 v4, s36, v35
	v_mul_lo_u32 v5, s37, v34
	v_mad_u64_u32 v[2:3], s[0:1], s36, v34, 0
	s_add_i32 s4, s42, -1
	s_sub_i32 s0, s33, s5
	v_add3_u32 v3, v3, v4, v5
	v_lshlrev_b64 v[2:3], 3, v[2:3]
	s_cmp_eq_u32 s6, s4
	v_mov_b32_e32 v4, s3
	v_add_co_u32_e32 v18, vcc, s2, v2
	s_cselect_b32 s24, s0, 0
	v_addc_co_u32_e32 v19, vcc, v4, v3, vcc
	v_cmp_ne_u32_e64 s[0:1], 0, v1
	v_cmp_eq_u32_e64 s[2:3], 0, v1
	s_and_saveexec_b64 s[4:5], s[2:3]
	s_cbranch_execz .LBB106_7
; %bb.4:
	s_cmp_eq_u32 s24, 0
	s_cselect_b64 s[8:9], -1, 0
	v_cmp_gt_i32_e32 vcc, s24, v0
	v_mov_b32_e32 v2, 0
	v_mov_b32_e32 v3, 0
	s_or_b64 s[10:11], s[8:9], vcc
	s_and_saveexec_b64 s[8:9], s[10:11]
	s_cbranch_execz .LBB106_6
; %bb.5:
	global_load_dwordx2 v[2:3], v[18:19], off
.LBB106_6:
	s_or_b64 exec, exec, s[8:9]
	v_lshlrev_b32_e32 v4, 3, v0
	s_waitcnt vmcnt(0)
	ds_write_b64 v4, v[2:3] offset:9088
.LBB106_7:
	s_or_b64 exec, exec, s[4:5]
	v_lshl_add_u32 v24, v1, 6, v0
	s_mul_i32 s4, s23, s7
	s_mul_hi_u32 s5, s22, s7
	v_and_b32_e32 v2, 31, v0
	v_lshrrev_b32_e32 v11, 5, v24
	s_add_i32 s5, s5, s4
	s_mul_i32 s4, s22, s7
	v_mov_b32_e32 v3, 0
	s_lshl_b64 s[4:5], s[4:5], 3
	v_mad_u64_u32 v[3:4], s[8:9], s20, v11, v[2:3]
	s_add_u32 s10, s16, s4
	s_addc_u32 s11, s17, s5
	s_lshl_b64 s[4:5], s[18:19], 3
	s_add_u32 s8, s10, s4
	s_addc_u32 s9, s11, s5
	v_mad_u64_u32 v[4:5], s[4:5], s21, v11, v[4:5]
	s_ashr_i32 s27, s26, 31
	s_lshl_b64 s[4:5], s[26:27], 3
	s_add_u32 s4, s8, s4
	v_lshlrev_b64 v[20:21], 3, v[3:4]
	s_addc_u32 s5, s9, s5
	v_mov_b32_e32 v3, s5
	v_add_co_u32_e32 v4, vcc, s4, v20
	s_mul_hi_u32 s4, s20, s26
	s_mul_i32 s5, s20, s27
	s_add_i32 s4, s4, s5
	s_mul_i32 s5, s21, s26
	s_add_i32 s5, s4, s5
	s_mul_i32 s4, s20, s26
	v_addc_co_u32_e32 v5, vcc, v3, v21, vcc
	s_lshl_b64 s[30:31], s[4:5], 3
	v_mov_b32_e32 v6, s31
	v_add_co_u32_e32 v3, vcc, s30, v4
	s_cmp_lg_u32 s24, 0
	v_addc_co_u32_e32 v4, vcc, v5, v6, vcc
	s_cselect_b64 s[34:35], -1, 0
	s_cmp_eq_u32 s24, 0
	s_cselect_b64 s[16:17], -1, 0
	s_mov_b64 s[4:5], -1
	s_and_b64 vcc, exec, s[34:35]
	s_cbranch_vccnz .LBB106_9
; %bb.8:
	s_lshl_b64 s[4:5], s[20:21], 6
	v_mov_b32_e32 v10, s5
	v_add_co_u32_e32 v5, vcc, s4, v3
	v_addc_co_u32_e32 v6, vcc, v4, v10, vcc
	v_add_co_u32_e32 v7, vcc, s4, v5
	v_addc_co_u32_e32 v8, vcc, v6, v10, vcc
	;; [unrolled: 2-line block ×3, first 2 shown]
	global_load_dwordx2 v[12:13], v[3:4], off
	global_load_dwordx2 v[14:15], v[5:6], off
	;; [unrolled: 1-line block ×4, first 2 shown]
	v_mul_u32_u24_e32 v5, 0x108, v11
	v_lshl_add_u32 v5, v2, 3, v5
	s_mov_b64 s[4:5], 0
	s_waitcnt vmcnt(3)
	ds_write_b64 v5, v[12:13]
	s_waitcnt vmcnt(2)
	ds_write_b64 v5, v[14:15] offset:2112
	s_waitcnt vmcnt(1)
	ds_write_b64 v5, v[16:17] offset:4224
	;; [unrolled: 2-line block ×3, first 2 shown]
.LBB106_9:
	s_andn2_b64 vcc, exec, s[4:5]
	s_cbranch_vccnz .LBB106_19
; %bb.10:
	v_lshlrev_b32_e32 v12, 3, v2
	v_sub_co_u32_e32 v5, vcc, v3, v12
	s_ashr_i32 s25, s24, 31
	v_subbrev_co_u32_e32 v6, vcc, 0, v4, vcc
	s_lshl_b64 s[8:9], s[24:25], 3
	v_mov_b32_e32 v7, s9
	v_add_co_u32_e32 v5, vcc, s8, v5
	v_addc_co_u32_e32 v6, vcc, v6, v7, vcc
	v_add_co_u32_e32 v5, vcc, -8, v5
	v_addc_co_u32_e32 v6, vcc, -1, v6, vcc
	v_cmp_gt_i32_e32 vcc, s24, v2
	v_mov_b32_e32 v7, 0
	v_mov_b32_e32 v9, 0
	v_cndmask_b32_e32 v6, v6, v4, vcc
	v_cndmask_b32_e32 v5, v5, v3, vcc
	v_mov_b32_e32 v8, 0
	v_mov_b32_e32 v10, 0
	v_cmp_gt_i32_e64 s[4:5], s24, v11
	s_and_saveexec_b64 s[10:11], s[4:5]
	s_cbranch_execz .LBB106_12
; %bb.11:
	global_load_dwordx2 v[9:10], v[5:6], off
.LBB106_12:
	s_or_b64 exec, exec, s[10:11]
	v_lshlrev_b32_e32 v13, 3, v2
	s_movk_i32 s4, 0x108
	v_mad_u32_u24 v15, v11, s4, v13
	s_waitcnt vmcnt(0)
	ds_write_b64 v15, v[9:10]
	v_add_u32_e32 v9, 8, v11
	v_mul_u32_u24_e32 v14, 0x108, v11
	v_cmp_gt_i32_e64 s[4:5], s24, v9
	s_and_saveexec_b64 s[10:11], s[4:5]
	s_cbranch_execz .LBB106_14
; %bb.13:
	s_lshl_b64 s[4:5], s[20:21], 6
	v_mov_b32_e32 v8, s5
	v_add_co_u32_e64 v7, s[4:5], s4, v5
	v_addc_co_u32_e64 v8, s[4:5], v6, v8, s[4:5]
	global_load_dwordx2 v[7:8], v[7:8], off
.LBB106_14:
	s_or_b64 exec, exec, s[10:11]
	v_add_u32_e32 v13, v14, v13
	s_waitcnt vmcnt(0)
	ds_write_b64 v13, v[7:8] offset:2112
	v_add_u32_e32 v14, 16, v11
	v_mov_b32_e32 v7, 0
	v_mov_b32_e32 v9, 0
	;; [unrolled: 1-line block ×4, first 2 shown]
	v_cmp_gt_i32_e64 s[4:5], s24, v14
	s_and_saveexec_b64 s[10:11], s[4:5]
	s_cbranch_execz .LBB106_16
; %bb.15:
	s_lshl_b64 s[4:5], s[20:21], 7
	v_mov_b32_e32 v10, s5
	v_add_co_u32_e64 v9, s[4:5], s4, v5
	v_addc_co_u32_e64 v10, s[4:5], v6, v10, s[4:5]
	global_load_dwordx2 v[9:10], v[9:10], off
.LBB106_16:
	s_or_b64 exec, exec, s[10:11]
	s_waitcnt vmcnt(0)
	ds_write_b64 v13, v[9:10] offset:4224
	v_add_u32_e32 v9, 24, v11
	v_cmp_gt_i32_e64 s[4:5], s24, v9
	s_and_saveexec_b64 s[10:11], s[4:5]
	s_cbranch_execz .LBB106_18
; %bb.17:
	v_mov_b32_e32 v7, 0xc0
	v_mad_u64_u32 v[7:8], s[4:5], s20, v7, v[5:6]
	s_mul_i32 s4, s21, 0xc0
	v_add_u32_e32 v8, s4, v8
	global_load_dwordx2 v[7:8], v[7:8], off
.LBB106_18:
	s_or_b64 exec, exec, s[10:11]
	v_add_co_u32_e64 v5, s[4:5], v5, v12
	v_addc_co_u32_e64 v6, s[4:5], 0, v6, s[4:5]
	s_waitcnt vmcnt(0)
	ds_write_b64 v13, v[7:8] offset:6336
	v_mov_b32_e32 v7, s9
	v_subrev_co_u32_e64 v5, s[4:5], s8, v5
	v_subb_co_u32_e64 v6, s[4:5], v6, v7, s[4:5]
	v_add_co_u32_e64 v5, s[4:5], 8, v5
	v_addc_co_u32_e64 v6, s[4:5], 0, v6, s[4:5]
	v_cndmask_b32_e32 v4, v6, v4, vcc
	v_cndmask_b32_e32 v3, v5, v3, vcc
.LBB106_19:
	v_lshlrev_b32_e32 v9, 2, v11
	v_lshlrev_b32_e32 v10, 3, v2
	v_lshl_or_b32 v5, v2, 8, v10
	v_cmp_lt_u32_e64 s[18:19], v9, v2
	s_waitcnt lgkmcnt(0)
	s_barrier
	s_and_saveexec_b64 s[4:5], s[18:19]
	s_cbranch_execz .LBB106_21
; %bb.20:
	s_movk_i32 s8, 0x420
	v_mad_u32_u24 v6, v11, s8, v10
	ds_read_b64 v[6:7], v6
	v_lshl_add_u32 v8, v9, 3, v5
	s_waitcnt lgkmcnt(0)
	ds_write_b64 v8, v[6:7]
.LBB106_21:
	s_or_b64 exec, exec, s[4:5]
	v_or_b32_e32 v12, 1, v9
	v_cmp_lt_u32_e64 s[8:9], v12, v2
	s_and_saveexec_b64 s[4:5], s[8:9]
	s_cbranch_execz .LBB106_23
; %bb.22:
	s_movk_i32 s10, 0x108
	v_mad_u32_u24 v6, v12, s10, v10
	ds_read_b64 v[6:7], v6
	v_lshl_add_u32 v8, v9, 3, v5
	s_waitcnt lgkmcnt(0)
	ds_write_b64 v8, v[6:7] offset:8
.LBB106_23:
	s_or_b64 exec, exec, s[4:5]
	v_or_b32_e32 v6, 2, v9
	v_cmp_lt_u32_e64 s[10:11], v6, v2
	s_and_saveexec_b64 s[4:5], s[10:11]
	s_cbranch_execz .LBB106_25
; %bb.24:
	s_movk_i32 s12, 0x108
	v_mad_u32_u24 v6, v6, s12, v10
	ds_read_b64 v[6:7], v6
	v_lshl_add_u32 v8, v9, 3, v5
	s_waitcnt lgkmcnt(0)
	ds_write_b64 v8, v[6:7] offset:16
.LBB106_25:
	s_or_b64 exec, exec, s[4:5]
	v_or_b32_e32 v7, 3, v9
	v_cmp_lt_u32_e64 s[12:13], v7, v2
	v_cmp_ge_u32_e32 vcc, v7, v2
                                        ; implicit-def: $vgpr6
	s_and_saveexec_b64 s[4:5], vcc
	s_xor_b64 s[4:5], exec, s[4:5]
; %bb.26:
	v_mul_u32_u24_e32 v6, 0x108, v7
                                        ; implicit-def: $vgpr5
                                        ; implicit-def: $vgpr7
; %bb.27:
	s_andn2_saveexec_b64 s[4:5], s[4:5]
	s_cbranch_execz .LBB106_29
; %bb.28:
	s_movk_i32 s14, 0x108
	v_mad_u32_u24 v6, v7, s14, v10
	ds_read_b64 v[13:14], v6
	v_lshl_add_u32 v5, v9, 3, v5
	v_mul_u32_u24_e32 v6, 0x108, v7
	s_waitcnt lgkmcnt(0)
	ds_write_b64 v5, v[13:14] offset:24
.LBB106_29:
	s_or_b64 exec, exec, s[4:5]
	s_movk_i32 s4, 0x420
	v_mad_u32_u24 v5, v11, s4, v10
	s_waitcnt lgkmcnt(0)
	s_barrier
	v_lshlrev_b32_e32 v16, 3, v9
	ds_read_b64 v[7:8], v5
	ds_read_b128 v[25:28], v16 offset:9088
	s_movk_i32 s4, 0x108
	v_mad_u32_u24 v5, v12, s4, v10
	ds_read2_b64 v[29:32], v5 offset1:33
	v_add_u32_e32 v13, v10, v6
	s_waitcnt lgkmcnt(1)
	v_fma_f64 v[7:8], v[7:8], v[25:26], 0
	v_mov_b32_e32 v36, 0
	v_mov_b32_e32 v37, 0
	v_cmp_gt_u32_e64 s[4:5], 32, v24
	ds_read_b64 v[5:6], v13
	s_waitcnt lgkmcnt(1)
	v_fma_f64 v[7:8], v[29:30], v[27:28], v[7:8]
	ds_read_b128 v[25:28], v16 offset:9104
	s_waitcnt lgkmcnt(0)
	s_barrier
	v_fma_f64 v[7:8], v[31:32], v[25:26], v[7:8]
	v_fma_f64 v[5:6], v[5:6], v[27:28], v[7:8]
	v_mul_u32_u24_e32 v7, 33, v2
	v_lshlrev_b32_e32 v25, 3, v7
	v_lshl_add_u32 v26, v11, 3, v25
	ds_write_b64 v26, v[5:6]
	s_waitcnt lgkmcnt(0)
	s_barrier
	s_and_saveexec_b64 s[14:15], s[4:5]
	s_cbranch_execz .LBB106_31
; %bb.30:
	ds_read2_b64 v[5:8], v25 offset1:1
	ds_read2_b64 v[27:30], v25 offset0:2 offset1:3
	s_waitcnt lgkmcnt(1)
	v_add_f64 v[5:6], v[5:6], v[7:8]
	s_waitcnt lgkmcnt(0)
	v_add_f64 v[5:6], v[5:6], v[27:28]
	v_add_f64 v[14:15], v[5:6], v[29:30]
	ds_read2_b64 v[5:8], v25 offset0:4 offset1:5
	ds_read2_b64 v[27:30], v25 offset0:6 offset1:7
	s_waitcnt lgkmcnt(1)
	v_add_f64 v[5:6], v[14:15], v[5:6]
	v_add_f64 v[5:6], v[5:6], v[7:8]
	s_waitcnt lgkmcnt(0)
	v_add_f64 v[5:6], v[5:6], v[27:28]
	v_add_f64 v[36:37], v[5:6], v[29:30]
.LBB106_31:
	s_or_b64 exec, exec, s[14:15]
	s_lshl_b64 s[22:23], s[20:21], 8
	v_mov_b32_e32 v5, s23
	v_add_co_u32_e32 v3, vcc, s22, v3
	v_addc_co_u32_e32 v4, vcc, v4, v5, vcc
	v_add_co_u32_e32 v14, vcc, 0x100, v3
	v_addc_co_u32_e32 v15, vcc, 0, v4, vcc
	v_cndmask_b32_e64 v5, 0, 1, s[16:17]
	v_cmp_ne_u32_e64 s[14:15], 1, v5
	s_andn2_b64 vcc, exec, s[16:17]
	s_mov_b64 s[16:17], -1
	s_barrier
	s_cbranch_vccnz .LBB106_33
; %bb.32:
	s_lshl_b64 s[16:17], s[20:21], 6
	v_mov_b32_e32 v17, s17
	v_add_co_u32_e32 v5, vcc, s16, v3
	v_addc_co_u32_e32 v6, vcc, v4, v17, vcc
	v_add_co_u32_e32 v7, vcc, s16, v5
	v_addc_co_u32_e32 v8, vcc, v6, v17, vcc
	;; [unrolled: 2-line block ×3, first 2 shown]
	global_load_dwordx2 v[27:28], v[3:4], off offset:256
	global_load_dwordx2 v[29:30], v[5:6], off offset:256
	;; [unrolled: 1-line block ×4, first 2 shown]
	s_movk_i32 s16, 0x108
	v_mad_u32_u24 v5, v11, s16, v10
	s_mov_b64 s[16:17], 0
	s_waitcnt vmcnt(3)
	ds_write_b64 v5, v[27:28]
	s_waitcnt vmcnt(2)
	ds_write_b64 v5, v[29:30] offset:2112
	s_waitcnt vmcnt(1)
	ds_write_b64 v5, v[31:32] offset:4224
	;; [unrolled: 2-line block ×3, first 2 shown]
.LBB106_33:
	s_andn2_b64 vcc, exec, s[16:17]
	s_cbranch_vccnz .LBB106_43
; %bb.34:
	v_lshlrev_b32_e32 v17, 3, v2
	v_sub_co_u32_e32 v3, vcc, v3, v17
	s_ashr_i32 s25, s24, 31
	v_subbrev_co_u32_e32 v4, vcc, 0, v4, vcc
	s_lshl_b64 s[38:39], s[24:25], 3
	v_mov_b32_e32 v6, s39
	v_add_co_u32_e32 v3, vcc, s38, v3
	v_addc_co_u32_e32 v4, vcc, v4, v6, vcc
	v_or_b32_e32 v5, 32, v2
	v_add_co_u32_e32 v3, vcc, -8, v3
	v_addc_co_u32_e32 v4, vcc, -1, v4, vcc
	v_cmp_gt_i32_e64 s[16:17], s24, v5
	s_sub_i32 s25, s24, 32
	v_mov_b32_e32 v5, 0
	v_mov_b32_e32 v7, 0
	v_cndmask_b32_e64 v4, v4, v15, s[16:17]
	v_cndmask_b32_e64 v3, v3, v14, s[16:17]
	v_mov_b32_e32 v6, 0
	v_mov_b32_e32 v8, 0
	v_cmp_gt_i32_e32 vcc, s25, v11
	s_and_saveexec_b64 s[40:41], vcc
	s_cbranch_execz .LBB106_36
; %bb.35:
	global_load_dwordx2 v[7:8], v[3:4], off
.LBB106_36:
	s_or_b64 exec, exec, s[40:41]
	s_movk_i32 s40, 0x108
	v_mad_u32_u24 v23, v11, s40, v10
	s_waitcnt vmcnt(0)
	ds_write_b64 v23, v[7:8]
	v_add_u32_e32 v7, 8, v11
	v_mul_u32_u24_e32 v22, 0x108, v11
	v_cmp_gt_i32_e32 vcc, s25, v7
	s_and_saveexec_b64 s[40:41], vcc
	s_cbranch_execz .LBB106_38
; %bb.37:
	s_lshl_b64 s[44:45], s[20:21], 6
	v_mov_b32_e32 v6, s45
	v_add_co_u32_e32 v5, vcc, s44, v3
	v_addc_co_u32_e32 v6, vcc, v4, v6, vcc
	global_load_dwordx2 v[5:6], v[5:6], off
.LBB106_38:
	s_or_b64 exec, exec, s[40:41]
	v_add_u32_e32 v22, v22, v10
	s_waitcnt vmcnt(0)
	ds_write_b64 v22, v[5:6] offset:2112
	v_add_u32_e32 v23, 16, v11
	v_mov_b32_e32 v5, 0
	v_mov_b32_e32 v7, 0
	;; [unrolled: 1-line block ×4, first 2 shown]
	v_cmp_gt_i32_e32 vcc, s25, v23
	s_and_saveexec_b64 s[40:41], vcc
	s_cbranch_execz .LBB106_40
; %bb.39:
	s_lshl_b64 s[44:45], s[20:21], 7
	v_mov_b32_e32 v8, s45
	v_add_co_u32_e32 v7, vcc, s44, v3
	v_addc_co_u32_e32 v8, vcc, v4, v8, vcc
	global_load_dwordx2 v[7:8], v[7:8], off
.LBB106_40:
	s_or_b64 exec, exec, s[40:41]
	s_waitcnt vmcnt(0)
	ds_write_b64 v22, v[7:8] offset:4224
	v_add_u32_e32 v7, 24, v11
	v_cmp_gt_i32_e32 vcc, s25, v7
	s_and_saveexec_b64 s[40:41], vcc
	s_cbranch_execz .LBB106_42
; %bb.41:
	v_mov_b32_e32 v5, 0xc0
	v_mad_u64_u32 v[5:6], s[44:45], s20, v5, v[3:4]
	s_mul_i32 s25, s21, 0xc0
	v_add_u32_e32 v6, s25, v6
	global_load_dwordx2 v[5:6], v[5:6], off
.LBB106_42:
	s_or_b64 exec, exec, s[40:41]
	v_add_co_u32_e32 v3, vcc, v3, v17
	v_addc_co_u32_e32 v4, vcc, 0, v4, vcc
	s_waitcnt vmcnt(0)
	ds_write_b64 v22, v[5:6] offset:6336
	v_mov_b32_e32 v5, s39
	v_subrev_co_u32_e32 v3, vcc, s38, v3
	v_subb_co_u32_e32 v4, vcc, v4, v5, vcc
	v_add_co_u32_e32 v3, vcc, 0x108, v3
	v_addc_co_u32_e32 v4, vcc, 0, v4, vcc
	v_cndmask_b32_e64 v15, v4, v15, s[16:17]
	v_cndmask_b32_e64 v14, v3, v14, s[16:17]
.LBB106_43:
	v_mul_u32_u24_e32 v4, 0x420, v11
	v_add_u32_e32 v8, 0x2380, v16
	v_mul_u32_u24_e32 v3, 0x108, v12
	s_lshl_b64 s[16:17], s[20:21], 5
	v_add_u32_e32 v4, v10, v4
	s_waitcnt lgkmcnt(0)
	s_barrier
	s_and_saveexec_b64 s[38:39], s[18:19]
	s_cbranch_execnz .LBB106_52
; %bb.44:
	s_or_b64 exec, exec, s[38:39]
	v_add_u32_e32 v3, v10, v3
	s_and_saveexec_b64 s[18:19], s[8:9]
	s_cbranch_execnz .LBB106_53
.LBB106_45:
	s_or_b64 exec, exec, s[18:19]
	s_and_saveexec_b64 s[8:9], s[10:11]
	s_cbranch_execnz .LBB106_54
.LBB106_46:
	s_or_b64 exec, exec, s[8:9]
	s_and_saveexec_b64 s[8:9], s[12:13]
	s_cbranch_execz .LBB106_48
.LBB106_47:
	ds_read_b64 v[5:6], v13
	v_lshl_add_u32 v7, v9, 3, v25
	s_waitcnt lgkmcnt(0)
	ds_write_b64 v7, v[5:6] offset:24
.LBB106_48:
	s_or_b64 exec, exec, s[8:9]
	s_waitcnt lgkmcnt(0)
	s_barrier
	ds_read_b64 v[16:17], v4
	ds_read_b128 v[4:7], v8 offset:256
	ds_read_b128 v[27:30], v8 offset:272
	ds_read_b64 v[12:13], v13
	ds_read2_b64 v[38:41], v3 offset1:33
	v_cmp_eq_u32_e64 s[10:11], 1, v11
	s_waitcnt lgkmcnt(3)
	v_fma_f64 v[4:5], v[16:17], v[4:5], 0
	s_waitcnt lgkmcnt(0)
	s_barrier
	v_fma_f64 v[3:4], v[38:39], v[6:7], v[4:5]
	v_fma_f64 v[3:4], v[40:41], v[27:28], v[3:4]
	;; [unrolled: 1-line block ×3, first 2 shown]
	ds_write_b64 v26, v[3:4]
	s_waitcnt lgkmcnt(0)
	s_barrier
	s_and_saveexec_b64 s[8:9], s[10:11]
	s_cbranch_execz .LBB106_50
; %bb.49:
	ds_read2_b64 v[3:6], v25 offset1:1
	ds_read2_b64 v[27:30], v25 offset0:2 offset1:3
	s_waitcnt lgkmcnt(1)
	v_add_f64 v[3:4], v[3:4], v[5:6]
	s_waitcnt lgkmcnt(0)
	v_add_f64 v[3:4], v[3:4], v[27:28]
	v_add_f64 v[12:13], v[3:4], v[29:30]
	ds_read2_b64 v[3:6], v25 offset0:4 offset1:5
	ds_read2_b64 v[27:30], v25 offset0:6 offset1:7
	s_waitcnt lgkmcnt(1)
	v_add_f64 v[3:4], v[12:13], v[3:4]
	v_add_f64 v[3:4], v[3:4], v[5:6]
	s_waitcnt lgkmcnt(0)
	v_add_f64 v[3:4], v[3:4], v[27:28]
	v_add_f64 v[36:37], v[3:4], v[29:30]
.LBB106_50:
	s_or_b64 exec, exec, s[8:9]
	s_lshl_b64 s[8:9], s[16:17], 3
	v_mov_b32_e32 v3, s9
	v_subrev_co_u32_e64 v22, s[8:9], s8, v14
	s_and_b64 vcc, exec, s[14:15]
	v_subb_co_u32_e64 v23, s[8:9], v15, v3, s[8:9]
	s_barrier
	s_cbranch_vccnz .LBB106_55
; %bb.51:
	s_lshl_b64 s[8:9], s[20:21], 6
	v_mov_b32_e32 v7, s9
	v_add_co_u32_e32 v3, vcc, s8, v22
	v_addc_co_u32_e32 v4, vcc, v23, v7, vcc
	v_add_co_u32_e32 v5, vcc, s8, v3
	v_addc_co_u32_e32 v6, vcc, v4, v7, vcc
	;; [unrolled: 2-line block ×3, first 2 shown]
	global_load_dwordx2 v[27:28], v[22:23], off
	global_load_dwordx2 v[29:30], v[3:4], off
	;; [unrolled: 1-line block ×4, first 2 shown]
	s_movk_i32 s8, 0x108
	v_mov_b32_e32 v3, 0x840
	v_mov_b32_e32 v4, 0x1080
	;; [unrolled: 1-line block ×3, first 2 shown]
	v_mul_u32_u24_e32 v13, 0x108, v11
	v_add_u32_e32 v12, 8, v11
	v_add_u32_e32 v14, 16, v11
	;; [unrolled: 1-line block ×3, first 2 shown]
	v_mad_u32_u24 v17, v11, s8, v10
	v_mad_u32_u24 v15, v11, s8, v3
	;; [unrolled: 1-line block ×4, first 2 shown]
	v_add_u32_e32 v3, v10, v15
	v_add_u32_e32 v4, v10, v16
	;; [unrolled: 1-line block ×3, first 2 shown]
	s_waitcnt vmcnt(3)
	ds_write_b64 v17, v[27:28]
	s_waitcnt vmcnt(2)
	ds_write_b64 v3, v[29:30]
	;; [unrolled: 2-line block ×4, first 2 shown]
	s_cbranch_execz .LBB106_56
	s_branch .LBB106_65
.LBB106_52:
	ds_read_b64 v[5:6], v4
	v_lshl_add_u32 v7, v9, 3, v25
	s_waitcnt lgkmcnt(0)
	ds_write_b64 v7, v[5:6]
	s_or_b64 exec, exec, s[38:39]
	v_add_u32_e32 v3, v10, v3
	s_and_saveexec_b64 s[18:19], s[8:9]
	s_cbranch_execz .LBB106_45
.LBB106_53:
	ds_read_b64 v[5:6], v3
	v_lshl_add_u32 v7, v9, 3, v25
	s_waitcnt lgkmcnt(0)
	ds_write_b64 v7, v[5:6] offset:8
	s_or_b64 exec, exec, s[18:19]
	s_and_saveexec_b64 s[8:9], s[10:11]
	s_cbranch_execz .LBB106_46
.LBB106_54:
	ds_read_b64 v[5:6], v3 offset:264
	v_lshl_add_u32 v7, v9, 3, v25
	s_waitcnt lgkmcnt(0)
	ds_write_b64 v7, v[5:6] offset:16
	s_or_b64 exec, exec, s[8:9]
	s_and_saveexec_b64 s[8:9], s[12:13]
	s_cbranch_execnz .LBB106_47
	s_branch .LBB106_48
.LBB106_55:
                                        ; implicit-def: $vgpr13
                                        ; implicit-def: $vgpr12
                                        ; implicit-def: $vgpr15
                                        ; implicit-def: $vgpr14
                                        ; implicit-def: $vgpr16
                                        ; implicit-def: $vgpr6
                                        ; implicit-def: $vgpr7
.LBB106_56:
	v_lshlrev_b32_e32 v17, 3, v2
	v_or_b32_e32 v3, 32, v2
	v_sub_co_u32_e32 v2, vcc, v22, v17
	s_ashr_i32 s25, s24, 31
	v_subbrev_co_u32_e32 v4, vcc, 0, v23, vcc
	s_lshl_b64 s[12:13], s[24:25], 3
	v_mov_b32_e32 v5, s13
	v_add_co_u32_e32 v2, vcc, s12, v2
	v_addc_co_u32_e32 v4, vcc, v4, v5, vcc
	v_add_co_u32_e32 v2, vcc, 0xfffffef8, v2
	v_addc_co_u32_e32 v4, vcc, -1, v4, vcc
	v_cmp_gt_i32_e64 s[8:9], s24, v3
	v_cndmask_b32_e64 v3, v4, v23, s[8:9]
	v_mov_b32_e32 v4, 0
	v_mov_b32_e32 v6, 0
	v_cndmask_b32_e64 v2, v2, v22, s[8:9]
	v_mov_b32_e32 v5, 0
	v_mov_b32_e32 v7, 0
	v_cmp_gt_i32_e32 vcc, s24, v11
	s_and_saveexec_b64 s[14:15], vcc
	s_cbranch_execz .LBB106_58
; %bb.57:
	global_load_dwordx2 v[6:7], v[2:3], off
.LBB106_58:
	s_or_b64 exec, exec, s[14:15]
	s_movk_i32 s14, 0x108
	v_mad_u32_u24 v12, v11, s14, v10
	s_waitcnt vmcnt(0)
	ds_write_b64 v12, v[6:7]
	v_add_u32_e32 v12, 8, v11
	v_mul_u32_u24_e32 v13, 0x108, v11
	v_cmp_gt_i32_e32 vcc, s24, v12
	s_and_saveexec_b64 s[14:15], vcc
	s_cbranch_execz .LBB106_60
; %bb.59:
	s_lshl_b64 s[16:17], s[20:21], 6
	v_mov_b32_e32 v5, s17
	v_add_co_u32_e32 v4, vcc, s16, v2
	v_addc_co_u32_e32 v5, vcc, v3, v5, vcc
	global_load_dwordx2 v[4:5], v[4:5], off
.LBB106_60:
	s_or_b64 exec, exec, s[14:15]
	v_add_u32_e32 v15, 0x840, v13
	v_add_u32_e32 v6, v10, v15
	s_waitcnt vmcnt(0)
	ds_write_b64 v6, v[4:5]
	v_add_u32_e32 v14, 16, v11
	v_mov_b32_e32 v4, 0
	v_mov_b32_e32 v6, 0
	;; [unrolled: 1-line block ×4, first 2 shown]
	v_cmp_gt_i32_e32 vcc, s24, v14
	s_and_saveexec_b64 s[14:15], vcc
	s_cbranch_execz .LBB106_62
; %bb.61:
	s_lshl_b64 s[16:17], s[20:21], 7
	v_mov_b32_e32 v7, s17
	v_add_co_u32_e32 v6, vcc, s16, v2
	v_addc_co_u32_e32 v7, vcc, v3, v7, vcc
	global_load_dwordx2 v[6:7], v[6:7], off
.LBB106_62:
	s_or_b64 exec, exec, s[14:15]
	v_add_u32_e32 v16, 0x840, v15
	v_add_u32_e32 v27, v10, v16
	s_waitcnt vmcnt(0)
	ds_write_b64 v27, v[6:7]
	v_add_u32_e32 v6, 24, v11
	v_cmp_gt_i32_e32 vcc, s24, v6
	s_and_saveexec_b64 s[14:15], vcc
	s_cbranch_execz .LBB106_64
; %bb.63:
	v_mov_b32_e32 v4, 0xc0
	v_mad_u64_u32 v[4:5], s[16:17], s20, v4, v[2:3]
	s_mul_i32 s16, s21, 0xc0
	v_add_u32_e32 v5, s16, v5
	global_load_dwordx2 v[4:5], v[4:5], off
.LBB106_64:
	s_or_b64 exec, exec, s[14:15]
	v_add_u32_e32 v7, 0x840, v16
	v_add_co_u32_e32 v2, vcc, v2, v17
	v_add_u32_e32 v27, v10, v7
	v_addc_co_u32_e32 v3, vcc, 0, v3, vcc
	s_waitcnt vmcnt(0)
	ds_write_b64 v27, v[4:5]
	v_mov_b32_e32 v4, s13
	v_subrev_co_u32_e32 v2, vcc, s12, v2
	v_subb_co_u32_e32 v3, vcc, v3, v4, vcc
	v_add_co_u32_e32 v2, vcc, 0x108, v2
	v_addc_co_u32_e32 v3, vcc, 0, v3, vcc
	v_cndmask_b32_e64 v23, v3, v23, s[8:9]
	v_cndmask_b32_e64 v22, v2, v22, s[8:9]
.LBB106_65:
	v_add_u32_e32 v2, v10, v13
	v_lshlrev_b32_e32 v4, 3, v11
	s_waitcnt lgkmcnt(0)
	s_barrier
	ds_read_b64 v[2:3], v2
	ds_read_b64 v[4:5], v4 offset:9088
	v_add_u32_e32 v11, v10, v15
	v_lshlrev_b32_e32 v13, 3, v12
	ds_read_b64 v[11:12], v11
	ds_read_b64 v[27:28], v13 offset:9088
	v_add_u32_e32 v7, v10, v7
	s_waitcnt lgkmcnt(2)
	v_fma_f64 v[2:3], v[2:3], v[4:5], 0
	v_add_u32_e32 v4, v10, v16
	v_lshlrev_b32_e32 v10, 3, v6
	v_lshl_add_u32 v9, v9, 3, v25
	s_waitcnt lgkmcnt(0)
	v_fma_f64 v[2:3], v[11:12], v[27:28], v[2:3]
	v_lshlrev_b32_e32 v11, 3, v14
	ds_read_b64 v[4:5], v4
	ds_read_b64 v[11:12], v11 offset:9088
	ds_read_b64 v[6:7], v7
	ds_read_b64 v[13:14], v10 offset:9088
	s_waitcnt lgkmcnt(2)
	v_fma_f64 v[2:3], v[4:5], v[11:12], v[2:3]
	s_waitcnt lgkmcnt(0)
	v_fma_f64 v[27:28], v[6:7], v[13:14], v[2:3]
	ds_read_b128 v[10:13], v8 offset:256
	ds_read_b128 v[2:5], v8 offset:272
	ds_read2_b64 v[14:17], v9 offset1:1
	ds_read2_b64 v[6:9], v9 offset0:2 offset1:3
	s_waitcnt lgkmcnt(0)
	s_barrier
	ds_write_b64 v26, v[27:28]
	s_waitcnt lgkmcnt(0)
	s_barrier
	s_and_saveexec_b64 s[8:9], s[10:11]
	s_cbranch_execz .LBB106_67
; %bb.66:
	ds_read2_b64 v[27:30], v25 offset1:1
	s_waitcnt lgkmcnt(0)
	v_add_f64 v[27:28], v[36:37], v[27:28]
	v_add_f64 v[31:32], v[27:28], v[29:30]
	ds_read2_b64 v[27:30], v25 offset0:2 offset1:3
	s_waitcnt lgkmcnt(0)
	v_add_f64 v[27:28], v[31:32], v[27:28]
	v_add_f64 v[31:32], v[27:28], v[29:30]
	ds_read2_b64 v[27:30], v25 offset0:4 offset1:5
	;; [unrolled: 4-line block ×3, first 2 shown]
	s_waitcnt lgkmcnt(0)
	v_add_f64 v[27:28], v[31:32], v[27:28]
	v_add_f64 v[36:37], v[27:28], v[29:30]
.LBB106_67:
	s_or_b64 exec, exec, s[8:9]
	v_fma_f64 v[10:11], v[14:15], v[10:11], 0
	s_barrier
	v_fma_f64 v[10:11], v[16:17], v[12:13], v[10:11]
	v_fma_f64 v[2:3], v[6:7], v[2:3], v[10:11]
	;; [unrolled: 1-line block ×3, first 2 shown]
	ds_write_b64 v26, v[2:3]
	s_waitcnt lgkmcnt(0)
	s_barrier
	s_and_saveexec_b64 s[8:9], s[4:5]
	s_cbranch_execz .LBB106_69
; %bb.68:
	ds_read2_b64 v[2:5], v25 offset1:1
	ds_read2_b64 v[6:9], v25 offset0:2 offset1:3
	s_waitcnt lgkmcnt(1)
	v_add_f64 v[2:3], v[36:37], v[2:3]
	v_add_f64 v[2:3], v[2:3], v[4:5]
	s_waitcnt lgkmcnt(0)
	v_add_f64 v[2:3], v[2:3], v[6:7]
	v_add_f64 v[10:11], v[2:3], v[8:9]
	ds_read2_b64 v[2:5], v25 offset0:4 offset1:5
	ds_read2_b64 v[6:9], v25 offset0:6 offset1:7
	s_waitcnt lgkmcnt(1)
	v_add_f64 v[2:3], v[10:11], v[2:3]
	v_add_f64 v[2:3], v[2:3], v[4:5]
	s_waitcnt lgkmcnt(0)
	v_add_f64 v[2:3], v[2:3], v[6:7]
	v_add_f64 v[36:37], v[2:3], v[8:9]
.LBB106_69:
	s_or_b64 exec, exec, s[8:9]
	s_mul_hi_u32 s4, s33, s7
	s_mul_i32 s43, s43, s7
	s_add_i32 s4, s4, s43
	s_mul_i32 s7, s33, s7
	s_mul_i32 s4, s4, s42
	s_mul_hi_u32 s5, s7, s42
	s_add_i32 s5, s5, s4
	s_mul_i32 s4, s7, s42
	s_lshl_b64 s[4:5], s[4:5], 3
	s_add_u32 s7, s28, s4
	s_mul_i32 s4, s33, s6
	s_addc_u32 s8, s29, s5
	s_ashr_i32 s5, s4, 31
	s_lshl_b64 s[4:5], s[4:5], 3
	s_add_u32 s7, s7, s4
	v_cmp_le_i32_e32 vcc, s24, v0
	s_addc_u32 s28, s8, s5
	s_and_b64 vcc, s[34:35], vcc
	s_cmp_lt_i32 s6, 1
	v_lshlrev_b32_e32 v74, 3, v0
	s_barrier
	s_cbranch_scc1 .LBB106_76
; %bb.70:
	s_mul_i32 s4, s36, s27
	s_mul_hi_u32 s5, s36, s26
	s_add_i32 s4, s5, s4
	s_mul_i32 s5, s37, s26
	s_add_i32 s5, s4, s5
	s_mul_i32 s4, s36, s26
	s_lshl_b64 s[4:5], s[4:5], 3
	v_mov_b32_e32 v2, s5
	v_subrev_co_u32_e64 v75, s[4:5], s4, v18
	v_lshlrev_b32_e32 v7, 2, v1
	v_subb_co_u32_e64 v76, s[4:5], v19, v2, s[4:5]
	v_mad_u64_u32 v[2:3], s[4:5], s20, v7, 0
	v_mov_b32_e32 v4, s31
	v_subrev_co_u32_e64 v8, s[4:5], s30, v22
	v_subb_co_u32_e64 v9, s[4:5], v23, v4, s[4:5]
	v_mad_u64_u32 v[3:4], s[4:5], s21, v7, v[3:4]
	v_sub_co_u32_e64 v4, s[4:5], v8, v20
	v_lshlrev_b64 v[2:3], 3, v[2:3]
	v_subb_co_u32_e64 v7, s[4:5], v9, v21, s[4:5]
	v_add_co_u32_e64 v2, s[4:5], v4, v2
	v_addc_co_u32_e64 v3, s[4:5], v7, v3, s[4:5]
	s_ashr_i32 s25, s24, 31
	s_lshl_b64 s[4:5], s[24:25], 3
	v_mov_b32_e32 v4, s5
	v_add_co_u32_e64 v7, s[4:5], s4, v2
	v_addc_co_u32_e64 v4, s[4:5], v3, v4, s[4:5]
	s_movk_i32 s4, 0xfef8
	v_add_co_u32_e64 v7, s[4:5], s4, v7
	v_addc_co_u32_e64 v4, s[4:5], -1, v4, s[4:5]
	v_add_co_u32_e64 v2, s[4:5], v2, v74
	v_addc_co_u32_e64 v3, s[4:5], 0, v3, s[4:5]
	s_movk_i32 s4, 0xff00
	v_add_co_u32_e64 v2, s[4:5], s4, v2
	v_addc_co_u32_e64 v3, s[4:5], -1, v3, s[4:5]
	v_cndmask_b32_e32 v41, v3, v4, vcc
	v_and_b32_e32 v3, 48, v0
	v_lshrrev_b32_e32 v5, 4, v24
	v_and_b32_e32 v6, 15, v0
	v_cndmask_b32_e32 v40, v2, v7, vcc
	v_mov_b32_e32 v2, 0x2180
	s_movk_i32 s8, 0x218
	v_lshlrev_b32_e32 v3, 3, v3
	v_lshl_add_u32 v78, v1, 5, v2
	v_lshlrev_b32_e32 v2, 5, v5
	v_mad_u32_u24 v82, v6, s8, v3
	v_or_b32_e32 v3, 0x78, v74
	v_mad_u32_u24 v81, v6, s8, v2
	v_mad_u32_u24 v83, v6, s8, v3
	s_mul_i32 s8, s21, 24
	s_mul_hi_u32 s9, s20, 24
	s_add_i32 s8, s9, s8
	s_mul_i32 s9, s21, 0x90
	s_mul_hi_u32 s10, s20, 0x90
	s_add_i32 s9, s10, s9
	;; [unrolled: 3-line block ×5, first 2 shown]
	s_mul_i32 s13, s21, 0x190
	s_mul_hi_u32 s14, s20, 0x190
	s_mul_i32 s38, s21, 0x180
	s_mul_hi_u32 s39, s20, 0x180
	s_add_i32 s13, s14, s13
	s_mul_i32 s14, s21, 0x198
	s_mul_hi_u32 s15, s20, 0x198
	s_add_i32 s42, s39, s38
	;; [unrolled: 3-line block ×4, first 2 shown]
	s_mul_i32 s40, s21, 0x88
	s_mul_hi_u32 s41, s20, 0x88
	s_movk_i32 s4, 0x860
	v_mul_i32_i24_e32 v2, 0xffffffe8, v5
	s_lshl_b64 s[16:17], s[20:21], 3
	s_lshl_b64 s[18:19], s[20:21], 9
	;; [unrolled: 1-line block ×3, first 2 shown]
	s_mul_i32 s26, s20, 24
	s_mul_i32 s27, s20, 0x90
	;; [unrolled: 1-line block ×7, first 2 shown]
	s_add_i32 s15, s35, s15
	s_mul_i32 s35, s20, 0x188
	s_mul_i32 s38, s20, 0x180
	;; [unrolled: 1-line block ×3, first 2 shown]
	s_add_i32 s44, s41, s40
	s_mul_i32 s40, s20, 0x88
	s_lshl_b64 s[20:21], s[20:21], 7
	v_mov_b32_e32 v39, 0
	v_add_u32_e32 v77, 0x2180, v74
	v_add_u32_e32 v79, 0x2380, v74
	v_mad_u32_u24 v80, v1, s4, v74
	v_cmp_gt_u32_e64 s[4:5], 64, v24
	s_mov_b32 s41, 0
	v_mov_b32_e32 v84, s17
	v_mov_b32_e32 v85, s25
	;; [unrolled: 1-line block ×15, first 2 shown]
	v_add_u32_e32 v99, v81, v2
	v_mov_b32_e32 v100, s19
	s_branch .LBB106_72
.LBB106_71:                             ;   in Loop: Header=BB106_72 Depth=1
	s_or_b64 exec, exec, s[10:11]
	v_fma_f64 v[6:7], v[42:43], v[6:7], v[36:37]
	s_add_i32 s41, s41, 64
	s_add_i32 s6, s6, -1
	v_add_co_u32_e64 v40, s[8:9], s18, v40
	s_cmp_eq_u32 s6, 0
	v_addc_co_u32_e64 v41, s[8:9], v41, v100, s[8:9]
	v_fma_f64 v[6:7], v[44:45], v[8:9], v[6:7]
	s_waitcnt vmcnt(0)
	s_barrier
	v_fma_f64 v[2:3], v[46:47], v[2:3], v[6:7]
	v_fma_f64 v[2:3], v[48:49], v[4:5], v[2:3]
	;; [unrolled: 1-line block ×14, first 2 shown]
	s_cbranch_scc1 .LBB106_76
.LBB106_72:                             ; =>This Inner Loop Header: Depth=1
	s_and_saveexec_b64 s[10:11], s[2:3]
	s_cbranch_execz .LBB106_74
; %bb.73:                               ;   in Loop: Header=BB106_72 Depth=1
	s_mul_i32 s8, s37, s41
	s_mul_hi_u32 s9, s36, s41
	s_add_i32 s9, s9, s8
	s_mul_i32 s8, s36, s41
	s_lshl_b64 s[8:9], s[8:9], 3
	v_mov_b32_e32 v3, s9
	v_add_co_u32_e64 v2, s[8:9], s8, v75
	v_addc_co_u32_e64 v3, s[8:9], v76, v3, s[8:9]
	global_load_dwordx2 v[2:3], v[2:3], off
	s_waitcnt vmcnt(0)
	ds_write_b64 v77, v[2:3]
.LBB106_74:                             ;   in Loop: Header=BB106_72 Depth=1
	s_or_b64 exec, exec, s[10:11]
	v_add_co_u32_e64 v2, s[8:9], s16, v40
	v_addc_co_u32_e64 v3, s[8:9], v41, v84, s[8:9]
	s_waitcnt lgkmcnt(0)
	s_barrier
	global_load_dwordx2 v[42:43], v[40:41], off
	global_load_dwordx2 v[44:45], v[2:3], off
	v_add_co_u32_e64 v2, s[8:9], s24, v40
	v_addc_co_u32_e64 v3, s[8:9], v41, v85, s[8:9]
	v_add_co_u32_e64 v4, s[8:9], s26, v40
	v_addc_co_u32_e64 v5, s[8:9], v41, v86, s[8:9]
	global_load_dwordx2 v[46:47], v[2:3], off
	global_load_dwordx2 v[48:49], v[4:5], off
	ds_read_b64 v[10:11], v79
	ds_read_b128 v[6:9], v78
	ds_read_b128 v[2:5], v78 offset:16
	v_add_co_u32_e64 v14, s[8:9], s20, v40
	v_add_co_u32_e64 v16, s[10:11], s40, v40
	;; [unrolled: 1-line block ×4, first 2 shown]
	v_addc_co_u32_e64 v15, s[8:9], v41, v87, s[8:9]
	v_addc_co_u32_e64 v17, s[8:9], v41, v88, s[10:11]
	v_addc_co_u32_e64 v23, s[8:9], v41, v89, s[12:13]
	v_addc_co_u32_e64 v25, s[8:9], v41, v90, s[14:15]
	v_add_co_u32_e64 v26, s[8:9], s22, v40
	v_add_co_u32_e64 v62, s[10:11], s39, v40
	v_addc_co_u32_e64 v27, s[8:9], v41, v91, s[8:9]
	v_addc_co_u32_e64 v63, s[8:9], v41, v92, s[10:11]
	s_waitcnt vmcnt(3) lgkmcnt(2)
	v_mul_f64 v[12:13], v[42:43], v[10:11]
	s_waitcnt vmcnt(2)
	v_mul_f64 v[18:19], v[44:45], v[10:11]
	s_waitcnt vmcnt(1)
	;; [unrolled: 2-line block ×3, first 2 shown]
	v_mul_f64 v[10:11], v[48:49], v[10:11]
	ds_write2_b64 v80, v[12:13], v[18:19] offset1:67
	ds_write2_b64 v80, v[20:21], v[10:11] offset0:134 offset1:201
	s_waitcnt lgkmcnt(0)
	s_barrier
	ds_read2_b64 v[10:13], v81 offset1:1
	ds_read2_b64 v[18:21], v81 offset0:2 offset1:3
	s_waitcnt lgkmcnt(0)
	s_barrier
	global_load_dwordx2 v[50:51], v[14:15], off
	global_load_dwordx2 v[52:53], v[16:17], off
	;; [unrolled: 1-line block ×4, first 2 shown]
	v_add_f64 v[10:11], v[10:11], 0
	ds_read_b64 v[14:15], v79
	v_add_f64 v[22:23], v[10:11], v[12:13]
	v_add_f64 v[18:19], v[22:23], v[18:19]
	;; [unrolled: 1-line block ×3, first 2 shown]
	s_waitcnt vmcnt(3) lgkmcnt(0)
	v_mul_f64 v[24:25], v[50:51], v[14:15]
	s_waitcnt vmcnt(2)
	v_mul_f64 v[28:29], v[52:53], v[14:15]
	s_waitcnt vmcnt(1)
	;; [unrolled: 2-line block ×3, first 2 shown]
	v_mul_f64 v[32:33], v[56:57], v[14:15]
	ds_read_b128 v[14:17], v78 offset:128
	ds_read_b128 v[10:13], v78 offset:144
	ds_write2_b64 v80, v[24:25], v[28:29] offset1:67
	ds_write2_b64 v80, v[30:31], v[32:33] offset0:134 offset1:201
	s_waitcnt lgkmcnt(0)
	s_barrier
	ds_read2_b64 v[22:25], v81 offset1:1
	ds_read2_b64 v[18:21], v81 offset0:2 offset1:3
	s_waitcnt lgkmcnt(0)
	s_barrier
	v_add_f64 v[22:23], v[22:23], 0
	global_load_dwordx2 v[58:59], v[26:27], off
	global_load_dwordx2 v[60:61], v[62:63], off
	v_add_co_u32_e64 v26, s[8:9], s30, v40
	v_addc_co_u32_e64 v27, s[8:9], v41, v93, s[8:9]
	v_add_f64 v[22:23], v[22:23], v[24:25]
	v_add_co_u32_e64 v24, s[10:11], s31, v40
	v_addc_co_u32_e64 v25, s[8:9], v41, v94, s[10:11]
	global_load_dwordx2 v[62:63], v[26:27], off
	global_load_dwordx2 v[64:65], v[24:25], off
	v_add_f64 v[18:19], v[22:23], v[18:19]
	ds_read_b64 v[22:23], v79
	v_add_f64 v[111:112], v[18:19], v[20:21]
	s_waitcnt vmcnt(3) lgkmcnt(0)
	v_mul_f64 v[18:19], v[58:59], v[22:23]
	s_waitcnt vmcnt(2)
	v_mul_f64 v[20:21], v[60:61], v[22:23]
	ds_write2_b64 v80, v[18:19], v[20:21] offset1:67
	s_waitcnt vmcnt(1)
	v_mul_f64 v[18:19], v[62:63], v[22:23]
	s_waitcnt vmcnt(0)
	v_mul_f64 v[20:21], v[64:65], v[22:23]
	ds_write2_b64 v80, v[18:19], v[20:21] offset0:134 offset1:201
	ds_read_b128 v[22:25], v78 offset:256
	ds_read_b128 v[18:21], v78 offset:272
	s_waitcnt lgkmcnt(0)
	s_barrier
	ds_read2_b64 v[26:29], v81 offset1:1
	ds_read2_b64 v[101:104], v81 offset0:2 offset1:3
	s_waitcnt lgkmcnt(0)
	s_barrier
	v_add_f64 v[26:27], v[26:27], 0
	v_add_f64 v[113:114], v[26:27], v[28:29]
	v_add_co_u32_e64 v26, s[8:9], s38, v40
	v_addc_co_u32_e64 v27, s[8:9], v41, v95, s[8:9]
	v_add_co_u32_e64 v28, s[8:9], s35, v40
	v_addc_co_u32_e64 v29, s[8:9], v41, v96, s[8:9]
	global_load_dwordx2 v[66:67], v[26:27], off
	global_load_dwordx2 v[68:69], v[28:29], off
	ds_read_b64 v[26:27], v79
	v_add_f64 v[101:102], v[113:114], v[101:102]
	s_waitcnt vmcnt(1) lgkmcnt(0)
	v_mul_f64 v[28:29], v[66:67], v[26:27]
	s_waitcnt vmcnt(0)
	v_mul_f64 v[30:31], v[68:69], v[26:27]
	ds_write2_b64 v80, v[28:29], v[30:31] offset1:67
	v_add_co_u32_e64 v28, s[8:9], s33, v40
	v_addc_co_u32_e64 v29, s[8:9], v41, v97, s[8:9]
	v_add_co_u32_e64 v30, s[8:9], s34, v40
	v_addc_co_u32_e64 v31, s[8:9], v41, v98, s[8:9]
	global_load_dwordx2 v[72:73], v[28:29], off
	global_load_dwordx2 v[70:71], v[30:31], off
	s_waitcnt vmcnt(1)
	v_mul_f64 v[28:29], v[72:73], v[26:27]
	s_waitcnt vmcnt(0)
	v_mul_f64 v[26:27], v[70:71], v[26:27]
	ds_write2_b64 v80, v[28:29], v[26:27] offset0:134 offset1:201
	ds_read_b128 v[30:33], v78 offset:384
	ds_read_b128 v[26:29], v78 offset:400
	s_waitcnt lgkmcnt(0)
	s_barrier
	ds_read2_b64 v[105:108], v81 offset1:1
	s_waitcnt lgkmcnt(0)
	v_add_f64 v[105:106], v[105:106], 0
	v_add_f64 v[105:106], v[105:106], v[107:108]
	;; [unrolled: 1-line block ×3, first 2 shown]
	ds_read2_b64 v[101:104], v81 offset0:2 offset1:3
	s_waitcnt lgkmcnt(0)
	s_barrier
	v_add_f64 v[101:102], v[105:106], v[101:102]
	v_add_f64 v[101:102], v[101:102], v[103:104]
	ds_write2_b64 v99, v[109:110], v[111:112] offset1:16
	ds_write2_b64 v99, v[107:108], v[101:102] offset0:32 offset1:48
	s_waitcnt lgkmcnt(0)
	s_barrier
	s_and_saveexec_b64 s[10:11], s[4:5]
	s_cbranch_execz .LBB106_71
; %bb.75:                               ;   in Loop: Header=BB106_72 Depth=1
	ds_read2_b64 v[101:104], v82 offset1:1
	ds_read2_b64 v[105:108], v82 offset0:2 offset1:3
	v_add_u32_e32 v38, s41, v0
	s_waitcnt lgkmcnt(1)
	v_add_f64 v[101:102], v[101:102], v[103:104]
	s_waitcnt lgkmcnt(0)
	v_add_f64 v[101:102], v[101:102], v[105:106]
	v_add_f64 v[109:110], v[101:102], v[107:108]
	ds_read2_b64 v[101:104], v82 offset0:4 offset1:5
	ds_read2_b64 v[105:108], v82 offset0:6 offset1:7
	s_waitcnt lgkmcnt(1)
	v_add_f64 v[101:102], v[109:110], v[101:102]
	v_add_f64 v[101:102], v[101:102], v[103:104]
	s_waitcnt lgkmcnt(0)
	v_add_f64 v[101:102], v[101:102], v[105:106]
	v_add_f64 v[109:110], v[101:102], v[107:108]
	ds_read2_b64 v[101:104], v82 offset0:8 offset1:9
	ds_read2_b64 v[105:108], v82 offset0:10 offset1:11
	s_waitcnt lgkmcnt(1)
	v_add_f64 v[101:102], v[109:110], v[101:102]
	v_add_f64 v[101:102], v[101:102], v[103:104]
	s_waitcnt lgkmcnt(0)
	v_add_f64 v[101:102], v[101:102], v[105:106]
	v_add_f64 v[105:106], v[101:102], v[107:108]
	ds_read2_b64 v[101:104], v82 offset0:12 offset1:13
	ds_read_b64 v[107:108], v82 offset:112
	s_waitcnt lgkmcnt(1)
	v_add_f64 v[101:102], v[105:106], v[101:102]
	v_add_f64 v[101:102], v[101:102], v[103:104]
	ds_read_b64 v[103:104], v83
	s_waitcnt lgkmcnt(1)
	v_add_f64 v[101:102], v[101:102], v[107:108]
	s_waitcnt lgkmcnt(0)
	v_add_f64 v[101:102], v[101:102], v[103:104]
	v_lshlrev_b64 v[103:104], 3, v[38:39]
	v_mov_b32_e32 v38, s28
	v_add_co_u32_e64 v103, s[8:9], s7, v103
	v_addc_co_u32_e64 v104, s[8:9], v38, v104, s[8:9]
	global_store_dwordx2 v[103:104], v[101:102], off
	s_branch .LBB106_71
.LBB106_76:
	s_movk_i32 s2, 0x218
	v_mad_u32_u24 v0, v1, s2, v74
	s_nor_b64 s[0:1], s[0:1], vcc
	ds_write_b64 v0, v[36:37]
	s_waitcnt lgkmcnt(0)
	s_barrier
	s_and_saveexec_b64 s[2:3], s[0:1]
	s_cbranch_execz .LBB106_78
; %bb.77:
	ds_read2_b64 v[0:3], v74 offset1:67
	s_waitcnt lgkmcnt(0)
	v_add_f64 v[4:5], v[0:1], v[2:3]
	ds_read2_b64 v[0:3], v74 offset0:134 offset1:201
	s_waitcnt lgkmcnt(0)
	v_add_f64 v[0:1], v[4:5], v[0:1]
	v_mov_b32_e32 v4, s28
	v_add_f64 v[0:1], v[0:1], v[2:3]
	v_lshlrev_b64 v[2:3], 3, v[34:35]
	v_add_co_u32_e32 v2, vcc, s7, v2
	v_addc_co_u32_e32 v3, vcc, v4, v3, vcc
	global_store_dwordx2 v[2:3], v[0:1], off
.LBB106_78:
	s_endpgm
	.section	.rodata,"a",@progbits
	.p2align	6, 0x0
	.amdhsa_kernel _ZL26rocblas_hemvn_kernel_lowerILb0ELi64ELi4ELi33ELi32ELi16ElPKdS1_PdEviT6_lT7_lT5_lS4_lS5_lS3_lT8_i
		.amdhsa_group_segment_fixed_size 9600
		.amdhsa_private_segment_fixed_size 0
		.amdhsa_kernarg_size 376
		.amdhsa_user_sgpr_count 6
		.amdhsa_user_sgpr_private_segment_buffer 1
		.amdhsa_user_sgpr_dispatch_ptr 0
		.amdhsa_user_sgpr_queue_ptr 0
		.amdhsa_user_sgpr_kernarg_segment_ptr 1
		.amdhsa_user_sgpr_dispatch_id 0
		.amdhsa_user_sgpr_flat_scratch_init 0
		.amdhsa_user_sgpr_private_segment_size 0
		.amdhsa_uses_dynamic_stack 0
		.amdhsa_system_sgpr_private_segment_wavefront_offset 0
		.amdhsa_system_sgpr_workgroup_id_x 1
		.amdhsa_system_sgpr_workgroup_id_y 0
		.amdhsa_system_sgpr_workgroup_id_z 1
		.amdhsa_system_sgpr_workgroup_info 0
		.amdhsa_system_vgpr_workitem_id 1
		.amdhsa_next_free_vgpr 115
		.amdhsa_next_free_sgpr 93
		.amdhsa_reserve_vcc 1
		.amdhsa_reserve_flat_scratch 0
		.amdhsa_float_round_mode_32 0
		.amdhsa_float_round_mode_16_64 0
		.amdhsa_float_denorm_mode_32 3
		.amdhsa_float_denorm_mode_16_64 3
		.amdhsa_dx10_clamp 1
		.amdhsa_ieee_mode 1
		.amdhsa_fp16_overflow 0
		.amdhsa_exception_fp_ieee_invalid_op 0
		.amdhsa_exception_fp_denorm_src 0
		.amdhsa_exception_fp_ieee_div_zero 0
		.amdhsa_exception_fp_ieee_overflow 0
		.amdhsa_exception_fp_ieee_underflow 0
		.amdhsa_exception_fp_ieee_inexact 0
		.amdhsa_exception_int_div_zero 0
	.end_amdhsa_kernel
	.section	.text._ZL26rocblas_hemvn_kernel_lowerILb0ELi64ELi4ELi33ELi32ELi16ElPKdS1_PdEviT6_lT7_lT5_lS4_lS5_lS3_lT8_i,"axG",@progbits,_ZL26rocblas_hemvn_kernel_lowerILb0ELi64ELi4ELi33ELi32ELi16ElPKdS1_PdEviT6_lT7_lT5_lS4_lS5_lS3_lT8_i,comdat
.Lfunc_end106:
	.size	_ZL26rocblas_hemvn_kernel_lowerILb0ELi64ELi4ELi33ELi32ELi16ElPKdS1_PdEviT6_lT7_lT5_lS4_lS5_lS3_lT8_i, .Lfunc_end106-_ZL26rocblas_hemvn_kernel_lowerILb0ELi64ELi4ELi33ELi32ELi16ElPKdS1_PdEviT6_lT7_lT5_lS4_lS5_lS3_lT8_i
                                        ; -- End function
	.set _ZL26rocblas_hemvn_kernel_lowerILb0ELi64ELi4ELi33ELi32ELi16ElPKdS1_PdEviT6_lT7_lT5_lS4_lS5_lS3_lT8_i.num_vgpr, 115
	.set _ZL26rocblas_hemvn_kernel_lowerILb0ELi64ELi4ELi33ELi32ELi16ElPKdS1_PdEviT6_lT7_lT5_lS4_lS5_lS3_lT8_i.num_agpr, 0
	.set _ZL26rocblas_hemvn_kernel_lowerILb0ELi64ELi4ELi33ELi32ELi16ElPKdS1_PdEviT6_lT7_lT5_lS4_lS5_lS3_lT8_i.numbered_sgpr, 46
	.set _ZL26rocblas_hemvn_kernel_lowerILb0ELi64ELi4ELi33ELi32ELi16ElPKdS1_PdEviT6_lT7_lT5_lS4_lS5_lS3_lT8_i.num_named_barrier, 0
	.set _ZL26rocblas_hemvn_kernel_lowerILb0ELi64ELi4ELi33ELi32ELi16ElPKdS1_PdEviT6_lT7_lT5_lS4_lS5_lS3_lT8_i.private_seg_size, 0
	.set _ZL26rocblas_hemvn_kernel_lowerILb0ELi64ELi4ELi33ELi32ELi16ElPKdS1_PdEviT6_lT7_lT5_lS4_lS5_lS3_lT8_i.uses_vcc, 1
	.set _ZL26rocblas_hemvn_kernel_lowerILb0ELi64ELi4ELi33ELi32ELi16ElPKdS1_PdEviT6_lT7_lT5_lS4_lS5_lS3_lT8_i.uses_flat_scratch, 0
	.set _ZL26rocblas_hemvn_kernel_lowerILb0ELi64ELi4ELi33ELi32ELi16ElPKdS1_PdEviT6_lT7_lT5_lS4_lS5_lS3_lT8_i.has_dyn_sized_stack, 0
	.set _ZL26rocblas_hemvn_kernel_lowerILb0ELi64ELi4ELi33ELi32ELi16ElPKdS1_PdEviT6_lT7_lT5_lS4_lS5_lS3_lT8_i.has_recursion, 0
	.set _ZL26rocblas_hemvn_kernel_lowerILb0ELi64ELi4ELi33ELi32ELi16ElPKdS1_PdEviT6_lT7_lT5_lS4_lS5_lS3_lT8_i.has_indirect_call, 0
	.section	.AMDGPU.csdata,"",@progbits
; Kernel info:
; codeLenInByte = 6516
; TotalNumSgprs: 50
; NumVgprs: 115
; ScratchSize: 0
; MemoryBound: 0
; FloatMode: 240
; IeeeMode: 1
; LDSByteSize: 9600 bytes/workgroup (compile time only)
; SGPRBlocks: 12
; VGPRBlocks: 28
; NumSGPRsForWavesPerEU: 97
; NumVGPRsForWavesPerEU: 115
; Occupancy: 2
; WaveLimiterHint : 0
; COMPUTE_PGM_RSRC2:SCRATCH_EN: 0
; COMPUTE_PGM_RSRC2:USER_SGPR: 6
; COMPUTE_PGM_RSRC2:TRAP_HANDLER: 0
; COMPUTE_PGM_RSRC2:TGID_X_EN: 1
; COMPUTE_PGM_RSRC2:TGID_Y_EN: 0
; COMPUTE_PGM_RSRC2:TGID_Z_EN: 1
; COMPUTE_PGM_RSRC2:TIDIG_COMP_CNT: 1
	.section	.text._ZL36rocblas_hemvn_kernel_lower_block_sumILi64ElPKdPddEviT1_lS3_lT2_lT0_lPT3_i,"axG",@progbits,_ZL36rocblas_hemvn_kernel_lower_block_sumILi64ElPKdPddEviT1_lS3_lT2_lT0_lPT3_i,comdat
	.globl	_ZL36rocblas_hemvn_kernel_lower_block_sumILi64ElPKdPddEviT1_lS3_lT2_lT0_lPT3_i ; -- Begin function _ZL36rocblas_hemvn_kernel_lower_block_sumILi64ElPKdPddEviT1_lS3_lT2_lT0_lPT3_i
	.p2align	8
	.type	_ZL36rocblas_hemvn_kernel_lower_block_sumILi64ElPKdPddEviT1_lS3_lT2_lT0_lPT3_i,@function
_ZL36rocblas_hemvn_kernel_lower_block_sumILi64ElPKdPddEviT1_lS3_lT2_lT0_lPT3_i: ; @_ZL36rocblas_hemvn_kernel_lower_block_sumILi64ElPKdPddEviT1_lS3_lT2_lT0_lPT3_i
; %bb.0:
	s_load_dwordx8 s[8:15], s[4:5], 0x8
	s_waitcnt lgkmcnt(0)
	s_mul_i32 s0, s11, s7
	s_mul_hi_u32 s1, s10, s7
	s_add_i32 s1, s1, s0
	s_mul_i32 s0, s10, s7
	s_lshl_b64 s[0:1], s[0:1], 3
	s_add_u32 s0, s8, s0
	s_addc_u32 s1, s9, s1
	s_load_dwordx2 s[8:9], s[0:1], 0x0
	s_mul_i32 s0, s15, s7
	s_mul_hi_u32 s1, s14, s7
	s_add_i32 s1, s1, s0
	s_mul_i32 s0, s14, s7
	s_lshl_b64 s[0:1], s[0:1], 3
	s_add_u32 s0, s12, s0
	s_addc_u32 s1, s13, s1
	s_load_dwordx2 s[10:11], s[0:1], 0x0
	s_waitcnt lgkmcnt(0)
	v_cmp_eq_f64_e64 s[0:1], s[8:9], 0
	v_cmp_eq_f64_e64 s[2:3], s[10:11], 1.0
	s_and_b64 s[0:1], s[0:1], s[2:3]
	s_and_b64 vcc, exec, s[0:1]
	s_cbranch_vccnz .LBB107_19
; %bb.1:
	s_load_dwordx2 s[12:13], s[4:5], 0x40
	s_load_dwordx4 s[0:3], s[4:5], 0x30
	s_load_dwordx2 s[16:17], s[4:5], 0x28
	s_load_dword s14, s[4:5], 0x0
	v_cmp_neq_f64_e64 s[18:19], s[8:9], 0
	s_waitcnt lgkmcnt(0)
	s_mul_i32 s13, s13, s7
	s_mul_hi_u32 s15, s12, s7
	s_add_i32 s13, s15, s13
	s_mul_i32 s12, s12, s7
	s_lshl_b64 s[12:13], s[12:13], 3
	s_add_u32 s12, s16, s12
	s_addc_u32 s13, s17, s13
	s_lshl_b64 s[0:1], s[0:1], 3
	s_add_u32 s20, s12, s0
	v_lshl_or_b32 v6, s6, 6, v0
	s_addc_u32 s21, s13, s1
	s_mov_b64 s[12:13], 0
	s_and_b64 vcc, exec, s[18:19]
	v_cmp_gt_i32_e64 s[0:1], s14, v6
	s_cbranch_vccnz .LBB107_6
; %bb.2:
	s_mov_b64 s[16:17], 0
                                        ; implicit-def: $vgpr2_vgpr3
                                        ; implicit-def: $vgpr0_vgpr1
	s_and_saveexec_b64 s[18:19], s[0:1]
	s_cbranch_execz .LBB107_7
; %bb.3:
	v_cmp_eq_f64_e64 s[0:1], s[10:11], 0
	v_ashrrev_i32_e32 v0, 31, v6
	v_mul_lo_u32 v4, s3, v6
	v_mul_lo_u32 v5, s2, v0
	v_mad_u64_u32 v[0:1], s[12:13], s2, v6, 0
	v_mov_b32_e32 v2, 0
	v_mov_b32_e32 v3, 0
	v_add3_u32 v1, v1, v5, v4
	s_and_b64 vcc, exec, s[0:1]
	s_cbranch_vccnz .LBB107_5
; %bb.4:
	v_lshlrev_b64 v[2:3], 3, v[0:1]
	v_mov_b32_e32 v4, s21
	v_add_co_u32_e32 v2, vcc, s20, v2
	v_addc_co_u32_e32 v3, vcc, v4, v3, vcc
	global_load_dwordx2 v[2:3], v[2:3], off
	s_waitcnt vmcnt(0)
	v_mul_f64 v[2:3], s[10:11], v[2:3]
.LBB107_5:
	s_mov_b64 s[12:13], exec
	s_or_b64 exec, exec, s[18:19]
	s_and_b64 vcc, exec, s[16:17]
	s_cbranch_vccnz .LBB107_8
	s_branch .LBB107_17
.LBB107_6:
                                        ; implicit-def: $vgpr2_vgpr3
                                        ; implicit-def: $vgpr0_vgpr1
	s_cbranch_execnz .LBB107_8
	s_branch .LBB107_17
.LBB107_7:
	s_or_b64 exec, exec, s[18:19]
	s_and_b64 vcc, exec, s[16:17]
	s_cbranch_vccz .LBB107_17
.LBB107_8:
	v_cmp_gt_i32_e32 vcc, s14, v6
                                        ; implicit-def: $vgpr2_vgpr3
                                        ; implicit-def: $vgpr0_vgpr1
	s_and_saveexec_b64 s[0:1], vcc
	s_cbranch_execz .LBB107_16
; %bb.9:
	s_load_dword s16, s[4:5], 0x58
	v_mov_b32_e32 v4, 0
	v_mov_b32_e32 v5, 0
	s_waitcnt lgkmcnt(0)
	s_cmp_ge_i32 s6, s16
	s_cbranch_scc1 .LBB107_12
; %bb.10:
	s_ashr_i32 s15, s14, 31
	s_mul_i32 s17, s14, s6
	s_load_dwordx2 s[4:5], s[4:5], 0x48
	v_add_u32_e32 v0, s17, v6
	s_mul_hi_u32 s17, s14, s7
	s_mul_i32 s18, s15, s7
	s_add_i32 s17, s17, s18
	s_mul_i32 s7, s14, s7
	s_mul_i32 s17, s17, s16
	s_mul_hi_u32 s18, s7, s16
	s_add_i32 s19, s18, s17
	s_mul_i32 s18, s7, s16
	v_ashrrev_i32_e32 v1, 31, v0
	s_lshl_b64 s[18:19], s[18:19], 3
	v_lshlrev_b64 v[0:1], 3, v[0:1]
	s_waitcnt lgkmcnt(0)
	s_add_u32 s4, s4, s18
	s_addc_u32 s5, s5, s19
	v_mov_b32_e32 v2, s5
	v_add_co_u32_e32 v0, vcc, s4, v0
	s_lshl_b64 s[4:5], s[14:15], 3
	v_mov_b32_e32 v4, 0
	v_addc_co_u32_e32 v1, vcc, v2, v1, vcc
	v_mov_b32_e32 v5, 0
	v_mov_b32_e32 v2, s5
.LBB107_11:                             ; =>This Inner Loop Header: Depth=1
	global_load_dwordx2 v[7:8], v[0:1], off
	s_add_i32 s6, s6, 1
	v_add_co_u32_e32 v0, vcc, s4, v0
	s_cmp_ge_i32 s6, s16
	v_addc_co_u32_e32 v1, vcc, v1, v2, vcc
	s_waitcnt vmcnt(0)
	v_add_f64 v[4:5], v[4:5], v[7:8]
	s_cbranch_scc0 .LBB107_11
.LBB107_12:
	v_cmp_eq_f64_e64 s[6:7], s[10:11], 0
	v_ashrrev_i32_e32 v0, 31, v6
	v_mul_lo_u32 v7, s3, v6
	v_mul_lo_u32 v8, s2, v0
	s_mov_b64 s[4:5], 0
	s_and_b64 vcc, exec, s[6:7]
	s_cbranch_vccz .LBB107_20
; %bb.13:
	v_mad_u64_u32 v[0:1], s[6:7], s2, v6, 0
	v_mul_f64 v[2:3], s[8:9], v[4:5]
	v_add3_u32 v1, v1, v8, v7
	s_andn2_b64 vcc, exec, s[4:5]
	s_cbranch_vccnz .LBB107_15
.LBB107_14:
	v_mad_u64_u32 v[0:1], s[2:3], s2, v6, 0
	v_mov_b32_e32 v6, s21
	v_add3_u32 v1, v1, v8, v7
	v_lshlrev_b64 v[2:3], 3, v[0:1]
	v_add_co_u32_e32 v2, vcc, s20, v2
	v_addc_co_u32_e32 v3, vcc, v6, v3, vcc
	global_load_dwordx2 v[2:3], v[2:3], off
	s_waitcnt vmcnt(0)
	v_mul_f64 v[2:3], s[10:11], v[2:3]
	v_fma_f64 v[2:3], s[8:9], v[4:5], v[2:3]
.LBB107_15:
	s_or_b64 s[12:13], s[12:13], exec
.LBB107_16:
	s_or_b64 exec, exec, s[0:1]
.LBB107_17:
	s_and_saveexec_b64 s[0:1], s[12:13]
	s_cbranch_execz .LBB107_19
; %bb.18:
	v_lshlrev_b64 v[0:1], 3, v[0:1]
	v_mov_b32_e32 v4, s21
	v_add_co_u32_e32 v0, vcc, s20, v0
	v_addc_co_u32_e32 v1, vcc, v4, v1, vcc
	global_store_dwordx2 v[0:1], v[2:3], off
.LBB107_19:
	s_endpgm
.LBB107_20:
                                        ; implicit-def: $vgpr2_vgpr3
                                        ; implicit-def: $vgpr0_vgpr1
	s_branch .LBB107_14
	.section	.rodata,"a",@progbits
	.p2align	6, 0x0
	.amdhsa_kernel _ZL36rocblas_hemvn_kernel_lower_block_sumILi64ElPKdPddEviT1_lS3_lT2_lT0_lPT3_i
		.amdhsa_group_segment_fixed_size 0
		.amdhsa_private_segment_fixed_size 0
		.amdhsa_kernarg_size 344
		.amdhsa_user_sgpr_count 6
		.amdhsa_user_sgpr_private_segment_buffer 1
		.amdhsa_user_sgpr_dispatch_ptr 0
		.amdhsa_user_sgpr_queue_ptr 0
		.amdhsa_user_sgpr_kernarg_segment_ptr 1
		.amdhsa_user_sgpr_dispatch_id 0
		.amdhsa_user_sgpr_flat_scratch_init 0
		.amdhsa_user_sgpr_private_segment_size 0
		.amdhsa_uses_dynamic_stack 0
		.amdhsa_system_sgpr_private_segment_wavefront_offset 0
		.amdhsa_system_sgpr_workgroup_id_x 1
		.amdhsa_system_sgpr_workgroup_id_y 0
		.amdhsa_system_sgpr_workgroup_id_z 1
		.amdhsa_system_sgpr_workgroup_info 0
		.amdhsa_system_vgpr_workitem_id 0
		.amdhsa_next_free_vgpr 9
		.amdhsa_next_free_sgpr 22
		.amdhsa_reserve_vcc 1
		.amdhsa_reserve_flat_scratch 0
		.amdhsa_float_round_mode_32 0
		.amdhsa_float_round_mode_16_64 0
		.amdhsa_float_denorm_mode_32 3
		.amdhsa_float_denorm_mode_16_64 3
		.amdhsa_dx10_clamp 1
		.amdhsa_ieee_mode 1
		.amdhsa_fp16_overflow 0
		.amdhsa_exception_fp_ieee_invalid_op 0
		.amdhsa_exception_fp_denorm_src 0
		.amdhsa_exception_fp_ieee_div_zero 0
		.amdhsa_exception_fp_ieee_overflow 0
		.amdhsa_exception_fp_ieee_underflow 0
		.amdhsa_exception_fp_ieee_inexact 0
		.amdhsa_exception_int_div_zero 0
	.end_amdhsa_kernel
	.section	.text._ZL36rocblas_hemvn_kernel_lower_block_sumILi64ElPKdPddEviT1_lS3_lT2_lT0_lPT3_i,"axG",@progbits,_ZL36rocblas_hemvn_kernel_lower_block_sumILi64ElPKdPddEviT1_lS3_lT2_lT0_lPT3_i,comdat
.Lfunc_end107:
	.size	_ZL36rocblas_hemvn_kernel_lower_block_sumILi64ElPKdPddEviT1_lS3_lT2_lT0_lPT3_i, .Lfunc_end107-_ZL36rocblas_hemvn_kernel_lower_block_sumILi64ElPKdPddEviT1_lS3_lT2_lT0_lPT3_i
                                        ; -- End function
	.set _ZL36rocblas_hemvn_kernel_lower_block_sumILi64ElPKdPddEviT1_lS3_lT2_lT0_lPT3_i.num_vgpr, 9
	.set _ZL36rocblas_hemvn_kernel_lower_block_sumILi64ElPKdPddEviT1_lS3_lT2_lT0_lPT3_i.num_agpr, 0
	.set _ZL36rocblas_hemvn_kernel_lower_block_sumILi64ElPKdPddEviT1_lS3_lT2_lT0_lPT3_i.numbered_sgpr, 22
	.set _ZL36rocblas_hemvn_kernel_lower_block_sumILi64ElPKdPddEviT1_lS3_lT2_lT0_lPT3_i.num_named_barrier, 0
	.set _ZL36rocblas_hemvn_kernel_lower_block_sumILi64ElPKdPddEviT1_lS3_lT2_lT0_lPT3_i.private_seg_size, 0
	.set _ZL36rocblas_hemvn_kernel_lower_block_sumILi64ElPKdPddEviT1_lS3_lT2_lT0_lPT3_i.uses_vcc, 1
	.set _ZL36rocblas_hemvn_kernel_lower_block_sumILi64ElPKdPddEviT1_lS3_lT2_lT0_lPT3_i.uses_flat_scratch, 0
	.set _ZL36rocblas_hemvn_kernel_lower_block_sumILi64ElPKdPddEviT1_lS3_lT2_lT0_lPT3_i.has_dyn_sized_stack, 0
	.set _ZL36rocblas_hemvn_kernel_lower_block_sumILi64ElPKdPddEviT1_lS3_lT2_lT0_lPT3_i.has_recursion, 0
	.set _ZL36rocblas_hemvn_kernel_lower_block_sumILi64ElPKdPddEviT1_lS3_lT2_lT0_lPT3_i.has_indirect_call, 0
	.section	.AMDGPU.csdata,"",@progbits
; Kernel info:
; codeLenInByte = 756
; TotalNumSgprs: 26
; NumVgprs: 9
; ScratchSize: 0
; MemoryBound: 0
; FloatMode: 240
; IeeeMode: 1
; LDSByteSize: 0 bytes/workgroup (compile time only)
; SGPRBlocks: 3
; VGPRBlocks: 2
; NumSGPRsForWavesPerEU: 26
; NumVGPRsForWavesPerEU: 9
; Occupancy: 10
; WaveLimiterHint : 0
; COMPUTE_PGM_RSRC2:SCRATCH_EN: 0
; COMPUTE_PGM_RSRC2:USER_SGPR: 6
; COMPUTE_PGM_RSRC2:TRAP_HANDLER: 0
; COMPUTE_PGM_RSRC2:TGID_X_EN: 1
; COMPUTE_PGM_RSRC2:TGID_Y_EN: 0
; COMPUTE_PGM_RSRC2:TGID_Z_EN: 1
; COMPUTE_PGM_RSRC2:TIDIG_COMP_CNT: 0
	.section	.text._ZL26rocblas_hemvn_kernel_lowerILb0ELi64ELi4ELi33ELi32ELi16EiPKdS1_PdEviT6_lT7_lT5_lS4_lS5_lS3_lT8_i,"axG",@progbits,_ZL26rocblas_hemvn_kernel_lowerILb0ELi64ELi4ELi33ELi32ELi16EiPKdS1_PdEviT6_lT7_lT5_lS4_lS5_lS3_lT8_i,comdat
	.globl	_ZL26rocblas_hemvn_kernel_lowerILb0ELi64ELi4ELi33ELi32ELi16EiPKdS1_PdEviT6_lT7_lT5_lS4_lS5_lS3_lT8_i ; -- Begin function _ZL26rocblas_hemvn_kernel_lowerILb0ELi64ELi4ELi33ELi32ELi16EiPKdS1_PdEviT6_lT7_lT5_lS4_lS5_lS3_lT8_i
	.p2align	8
	.type	_ZL26rocblas_hemvn_kernel_lowerILb0ELi64ELi4ELi33ELi32ELi16EiPKdS1_PdEviT6_lT7_lT5_lS4_lS5_lS3_lT8_i,@function
_ZL26rocblas_hemvn_kernel_lowerILb0ELi64ELi4ELi33ELi32ELi16EiPKdS1_PdEviT6_lT7_lT5_lS4_lS5_lS3_lT8_i: ; @_ZL26rocblas_hemvn_kernel_lowerILb0ELi64ELi4ELi33ELi32ELi16EiPKdS1_PdEviT6_lT7_lT5_lS4_lS5_lS3_lT8_i
; %bb.0:
	s_load_dwordx2 s[2:3], s[4:5], 0x84
	s_add_u32 s0, s4, 0x78
	s_addc_u32 s1, s5, 0
	s_waitcnt lgkmcnt(0)
	s_lshr_b32 s8, s2, 16
	s_and_b32 s2, s2, 0xffff
	s_and_b32 s3, s3, 0xffff
	s_mul_i32 s2, s8, s2
	s_mul_i32 s2, s2, s3
	s_cmpk_lg_i32 s2, 0x100
	s_cbranch_scc1 .LBB108_78
; %bb.1:
	s_load_dwordx8 s[8:15], s[4:5], 0x8
	s_load_dwordx8 s[16:23], s[4:5], 0x50
	s_waitcnt lgkmcnt(0)
	s_mul_i32 s3, s11, s7
	s_mul_hi_u32 s11, s10, s7
	s_mul_i32 s2, s10, s7
	s_add_i32 s3, s11, s3
	s_lshl_b64 s[2:3], s[2:3], 3
	s_mul_i32 s10, s21, s7
	s_add_u32 s2, s8, s2
	s_mul_hi_u32 s8, s20, s7
	s_addc_u32 s3, s9, s3
	s_add_i32 s9, s8, s10
	s_mul_i32 s8, s20, s7
	s_lshl_b64 s[8:9], s[8:9], 3
	s_add_u32 s8, s18, s8
	s_addc_u32 s9, s19, s9
	s_load_dwordx2 s[2:3], s[2:3], 0x0
	s_waitcnt lgkmcnt(0)
	v_cmp_eq_f64_e64 s[2:3], s[2:3], 0
	s_load_dwordx2 s[8:9], s[8:9], 0x0
	s_waitcnt lgkmcnt(0)
	v_cmp_eq_f64_e64 s[8:9], s[8:9], 1.0
	s_and_b64 s[8:9], s[2:3], s[8:9]
	s_and_b64 vcc, exec, s[8:9]
	s_cbranch_vccnz .LBB108_78
; %bb.2:
	s_and_b64 vcc, exec, s[2:3]
	s_cbranch_vccnz .LBB108_78
; %bb.3:
	s_load_dword s41, s[0:1], 0x0
	s_load_dword s40, s[4:5], 0x0
	s_load_dwordx4 s[8:11], s[4:5], 0x30
	s_load_dwordx2 s[2:3], s[4:5], 0x40
	s_load_dword s33, s[4:5], 0x48
	s_mul_i32 s0, s17, s7
	s_mul_hi_u32 s1, s16, s7
	s_add_i32 s1, s1, s0
	s_mul_i32 s0, s16, s7
	s_lshl_b64 s[0:1], s[0:1], 3
	s_waitcnt lgkmcnt(0)
	s_add_u32 s10, s10, s0
	s_addc_u32 s11, s11, s1
	s_lshl_b64 s[0:1], s[2:3], 3
	s_add_u32 s0, s10, s0
	s_addc_u32 s1, s11, s1
	s_lshl_b32 s26, s6, 6
	v_add_u32_e32 v35, s26, v0
	v_mul_lo_u32 v3, s33, v35
	s_ashr_i32 s42, s40, 31
	s_lshr_b32 s3, s42, 26
	s_add_i32 s3, s40, s3
	v_ashrrev_i32_e32 v4, 31, v3
	s_andn2_b32 s3, s3, 63
	v_lshlrev_b64 v[3:4], 3, v[3:4]
	s_add_i32 s2, s41, -1
	s_sub_i32 s3, s40, s3
	v_mov_b32_e32 v2, v1
	s_cmp_eq_u32 s6, s2
	v_mov_b32_e32 v1, s1
	v_add_co_u32_e32 v19, vcc, s0, v3
	s_cselect_b32 s24, s3, 0
	v_addc_co_u32_e32 v20, vcc, v1, v4, vcc
	v_cmp_ne_u32_e64 s[0:1], 0, v2
	v_cmp_eq_u32_e64 s[2:3], 0, v2
	s_and_saveexec_b64 s[10:11], s[2:3]
	s_cbranch_execz .LBB108_7
; %bb.4:
	s_cmp_eq_u32 s24, 0
	s_cselect_b64 s[16:17], -1, 0
	v_cmp_gt_i32_e32 vcc, s24, v0
	v_mov_b32_e32 v3, 0
	v_mov_b32_e32 v4, 0
	s_or_b64 s[18:19], s[16:17], vcc
	s_and_saveexec_b64 s[16:17], s[18:19]
	s_cbranch_execz .LBB108_6
; %bb.5:
	global_load_dwordx2 v[3:4], v[19:20], off
.LBB108_6:
	s_or_b64 exec, exec, s[16:17]
	v_lshlrev_b32_e32 v1, 3, v0
	s_waitcnt vmcnt(0)
	ds_write_b64 v1, v[3:4] offset:9088
.LBB108_7:
	s_or_b64 exec, exec, s[10:11]
	s_load_dword s20, s[4:5], 0x28
	v_lshl_add_u32 v25, v2, 6, v0
	s_mul_i32 s9, s9, s7
	s_mul_hi_u32 s10, s8, s7
	v_and_b32_e32 v1, 31, v0
	v_lshrrev_b32_e32 v11, 5, v25
	s_add_i32 s9, s10, s9
	s_mul_i32 s8, s8, s7
	s_lshl_b64 s[8:9], s[8:9], 3
	s_waitcnt lgkmcnt(0)
	v_mad_u64_u32 v[3:4], s[4:5], s20, v11, v[1:2]
	s_add_u32 s10, s12, s8
	s_addc_u32 s11, s13, s9
	s_lshl_b64 s[8:9], s[14:15], 3
	s_add_u32 s8, s10, s8
	s_addc_u32 s9, s11, s9
	s_ashr_i32 s27, s26, 31
	v_ashrrev_i32_e32 v4, 31, v3
	s_lshl_b64 s[4:5], s[26:27], 3
	v_lshlrev_b64 v[21:22], 3, v[3:4]
	s_add_u32 s4, s8, s4
	s_addc_u32 s5, s9, s5
	v_add_co_u32_e32 v4, vcc, s4, v21
	s_mul_i32 s4, s20, s26
	v_mov_b32_e32 v3, s5
	s_ashr_i32 s5, s4, 31
	v_addc_co_u32_e32 v5, vcc, v3, v22, vcc
	s_lshl_b64 s[28:29], s[4:5], 3
	v_mov_b32_e32 v6, s29
	v_add_co_u32_e32 v3, vcc, s28, v4
	s_cmp_lg_u32 s24, 0
	v_addc_co_u32_e32 v4, vcc, v5, v6, vcc
	s_cselect_b64 s[30:31], -1, 0
	s_cmp_eq_u32 s24, 0
	s_cselect_b64 s[16:17], -1, 0
	s_mov_b64 s[4:5], -1
	s_and_b64 vcc, exec, s[30:31]
	s_cbranch_vccnz .LBB108_9
; %bb.8:
	s_lshl_b32 s4, s20, 3
	s_ashr_i32 s5, s4, 31
	s_lshl_b64 s[4:5], s[4:5], 3
	v_mov_b32_e32 v6, s5
	v_add_co_u32_e32 v5, vcc, s4, v3
	s_ashr_i32 s21, s20, 31
	v_addc_co_u32_e32 v6, vcc, v4, v6, vcc
	s_lshl_b64 s[4:5], s[20:21], 6
	v_mov_b32_e32 v10, s5
	v_add_co_u32_e32 v7, vcc, s4, v5
	v_addc_co_u32_e32 v8, vcc, v6, v10, vcc
	v_add_co_u32_e32 v9, vcc, s4, v7
	v_addc_co_u32_e32 v10, vcc, v8, v10, vcc
	global_load_dwordx2 v[12:13], v[3:4], off
	global_load_dwordx2 v[14:15], v[5:6], off
	;; [unrolled: 1-line block ×4, first 2 shown]
	v_mul_u32_u24_e32 v5, 0x108, v11
	v_lshl_add_u32 v5, v1, 3, v5
	s_mov_b64 s[4:5], 0
	s_waitcnt vmcnt(3)
	ds_write_b64 v5, v[12:13]
	s_waitcnt vmcnt(2)
	ds_write_b64 v5, v[14:15] offset:2112
	s_waitcnt vmcnt(1)
	ds_write_b64 v5, v[16:17] offset:4224
	;; [unrolled: 2-line block ×3, first 2 shown]
.LBB108_9:
	s_andn2_b64 vcc, exec, s[4:5]
	v_lshlrev_b32_e32 v12, 3, v1
	s_cbranch_vccnz .LBB108_19
; %bb.10:
	v_sub_co_u32_e32 v5, vcc, v3, v12
	s_ashr_i32 s25, s24, 31
	v_subbrev_co_u32_e32 v6, vcc, 0, v4, vcc
	s_lshl_b64 s[8:9], s[24:25], 3
	v_mov_b32_e32 v7, s9
	v_add_co_u32_e32 v5, vcc, s8, v5
	v_addc_co_u32_e32 v6, vcc, v6, v7, vcc
	v_add_co_u32_e32 v5, vcc, -8, v5
	v_addc_co_u32_e32 v6, vcc, -1, v6, vcc
	v_cmp_gt_i32_e32 vcc, s24, v1
	v_mov_b32_e32 v7, 0
	v_mov_b32_e32 v9, 0
	v_cndmask_b32_e32 v6, v6, v4, vcc
	v_cndmask_b32_e32 v5, v5, v3, vcc
	v_mov_b32_e32 v8, 0
	v_mov_b32_e32 v10, 0
	v_cmp_gt_i32_e64 s[4:5], s24, v11
	s_and_saveexec_b64 s[10:11], s[4:5]
	s_cbranch_execz .LBB108_12
; %bb.11:
	global_load_dwordx2 v[9:10], v[5:6], off
.LBB108_12:
	s_or_b64 exec, exec, s[10:11]
	s_movk_i32 s4, 0x108
	v_mad_u32_u24 v14, v11, s4, v12
	s_waitcnt vmcnt(0)
	ds_write_b64 v14, v[9:10]
	v_add_u32_e32 v9, 8, v11
	v_mul_u32_u24_e32 v13, 0x108, v11
	v_cmp_gt_i32_e64 s[4:5], s24, v9
	s_and_saveexec_b64 s[10:11], s[4:5]
	s_cbranch_execz .LBB108_14
; %bb.13:
	s_lshl_b32 s4, s20, 3
	s_ashr_i32 s5, s4, 31
	s_lshl_b64 s[4:5], s[4:5], 3
	v_mov_b32_e32 v8, s5
	v_add_co_u32_e64 v7, s[4:5], s4, v5
	v_addc_co_u32_e64 v8, s[4:5], v6, v8, s[4:5]
	global_load_dwordx2 v[7:8], v[7:8], off
.LBB108_14:
	s_or_b64 exec, exec, s[10:11]
	v_add_u32_e32 v13, v13, v12
	s_waitcnt vmcnt(0)
	ds_write_b64 v13, v[7:8] offset:2112
	v_add_u32_e32 v14, 16, v11
	v_mov_b32_e32 v7, 0
	v_mov_b32_e32 v9, 0
	;; [unrolled: 1-line block ×4, first 2 shown]
	v_cmp_gt_i32_e64 s[4:5], s24, v14
	s_and_saveexec_b64 s[10:11], s[4:5]
	s_cbranch_execz .LBB108_16
; %bb.15:
	s_lshl_b32 s4, s20, 4
	s_ashr_i32 s5, s4, 31
	s_lshl_b64 s[4:5], s[4:5], 3
	v_mov_b32_e32 v10, s5
	v_add_co_u32_e64 v9, s[4:5], s4, v5
	v_addc_co_u32_e64 v10, s[4:5], v6, v10, s[4:5]
	global_load_dwordx2 v[9:10], v[9:10], off
.LBB108_16:
	s_or_b64 exec, exec, s[10:11]
	s_waitcnt vmcnt(0)
	ds_write_b64 v13, v[9:10] offset:4224
	v_add_u32_e32 v9, 24, v11
	v_cmp_gt_i32_e64 s[4:5], s24, v9
	s_and_saveexec_b64 s[10:11], s[4:5]
	s_cbranch_execz .LBB108_18
; %bb.17:
	s_mul_i32 s4, s20, 24
	s_ashr_i32 s5, s4, 31
	s_lshl_b64 s[4:5], s[4:5], 3
	v_mov_b32_e32 v8, s5
	v_add_co_u32_e64 v7, s[4:5], s4, v5
	v_addc_co_u32_e64 v8, s[4:5], v6, v8, s[4:5]
	global_load_dwordx2 v[7:8], v[7:8], off
.LBB108_18:
	s_or_b64 exec, exec, s[10:11]
	v_add_co_u32_e64 v5, s[4:5], v5, v12
	v_addc_co_u32_e64 v6, s[4:5], 0, v6, s[4:5]
	s_waitcnt vmcnt(0)
	ds_write_b64 v13, v[7:8] offset:6336
	v_mov_b32_e32 v7, s9
	v_subrev_co_u32_e64 v5, s[4:5], s8, v5
	v_subb_co_u32_e64 v6, s[4:5], v6, v7, s[4:5]
	v_add_co_u32_e64 v5, s[4:5], 8, v5
	v_addc_co_u32_e64 v6, s[4:5], 0, v6, s[4:5]
	v_cndmask_b32_e32 v4, v6, v4, vcc
	v_cndmask_b32_e32 v3, v5, v3, vcc
.LBB108_19:
	v_lshlrev_b32_e32 v9, 2, v11
	v_lshl_or_b32 v5, v1, 8, v12
	v_cmp_lt_u32_e64 s[18:19], v9, v1
	s_waitcnt lgkmcnt(0)
	s_barrier
	s_and_saveexec_b64 s[4:5], s[18:19]
	s_cbranch_execz .LBB108_21
; %bb.20:
	s_movk_i32 s8, 0x420
	v_mad_u32_u24 v6, v11, s8, v12
	ds_read_b64 v[6:7], v6
	v_lshl_add_u32 v8, v9, 3, v5
	s_waitcnt lgkmcnt(0)
	ds_write_b64 v8, v[6:7]
.LBB108_21:
	s_or_b64 exec, exec, s[4:5]
	v_or_b32_e32 v13, 1, v9
	v_cmp_lt_u32_e64 s[8:9], v13, v1
	s_and_saveexec_b64 s[4:5], s[8:9]
	s_cbranch_execz .LBB108_23
; %bb.22:
	s_movk_i32 s10, 0x108
	v_mad_u32_u24 v6, v13, s10, v12
	ds_read_b64 v[6:7], v6
	v_lshl_add_u32 v8, v9, 3, v5
	s_waitcnt lgkmcnt(0)
	ds_write_b64 v8, v[6:7] offset:8
.LBB108_23:
	s_or_b64 exec, exec, s[4:5]
	v_or_b32_e32 v6, 2, v9
	v_cmp_lt_u32_e64 s[10:11], v6, v1
	s_and_saveexec_b64 s[4:5], s[10:11]
	s_cbranch_execz .LBB108_25
; %bb.24:
	s_movk_i32 s12, 0x108
	v_mad_u32_u24 v6, v6, s12, v12
	ds_read_b64 v[6:7], v6
	v_lshl_add_u32 v8, v9, 3, v5
	s_waitcnt lgkmcnt(0)
	ds_write_b64 v8, v[6:7] offset:16
.LBB108_25:
	s_or_b64 exec, exec, s[4:5]
	v_or_b32_e32 v7, 3, v9
	v_cmp_lt_u32_e64 s[12:13], v7, v1
	v_cmp_ge_u32_e32 vcc, v7, v1
                                        ; implicit-def: $vgpr6
	s_and_saveexec_b64 s[4:5], vcc
	s_xor_b64 s[4:5], exec, s[4:5]
; %bb.26:
	v_mul_u32_u24_e32 v6, 0x108, v7
                                        ; implicit-def: $vgpr5
                                        ; implicit-def: $vgpr7
; %bb.27:
	s_andn2_saveexec_b64 s[4:5], s[4:5]
	s_cbranch_execz .LBB108_29
; %bb.28:
	s_movk_i32 s14, 0x108
	v_mad_u32_u24 v6, v7, s14, v12
	ds_read_b64 v[14:15], v6
	v_lshl_add_u32 v5, v9, 3, v5
	v_mul_u32_u24_e32 v6, 0x108, v7
	s_waitcnt lgkmcnt(0)
	ds_write_b64 v5, v[14:15] offset:24
.LBB108_29:
	s_or_b64 exec, exec, s[4:5]
	s_movk_i32 s4, 0x420
	v_mad_u32_u24 v5, v11, s4, v12
	s_waitcnt lgkmcnt(0)
	s_barrier
	v_lshlrev_b32_e32 v10, 3, v9
	ds_read_b64 v[7:8], v5
	ds_read_b128 v[14:17], v10 offset:9088
	s_movk_i32 s4, 0x108
	v_mad_u32_u24 v5, v13, s4, v12
	ds_read2_b64 v[26:29], v5 offset1:33
	v_mov_b32_e32 v36, 0
	s_waitcnt lgkmcnt(1)
	v_fma_f64 v[7:8], v[7:8], v[14:15], 0
	v_add_u32_e32 v14, v12, v6
	v_mov_b32_e32 v37, 0
	v_cmp_gt_u32_e64 s[4:5], 32, v25
	ds_read_b64 v[5:6], v14
	s_waitcnt lgkmcnt(1)
	v_fma_f64 v[7:8], v[26:27], v[16:17], v[7:8]
	ds_read_b128 v[15:18], v10 offset:9104
	s_waitcnt lgkmcnt(0)
	s_barrier
	v_fma_f64 v[7:8], v[28:29], v[15:16], v[7:8]
	v_fma_f64 v[5:6], v[5:6], v[17:18], v[7:8]
	v_mul_u32_u24_e32 v7, 33, v1
	v_lshlrev_b32_e32 v26, 3, v7
	v_lshl_add_u32 v27, v11, 3, v26
	ds_write_b64 v27, v[5:6]
	s_waitcnt lgkmcnt(0)
	s_barrier
	s_and_saveexec_b64 s[14:15], s[4:5]
	s_cbranch_execz .LBB108_31
; %bb.30:
	ds_read2_b64 v[5:8], v26 offset1:1
	ds_read2_b64 v[15:18], v26 offset0:2 offset1:3
	s_waitcnt lgkmcnt(1)
	v_add_f64 v[5:6], v[5:6], v[7:8]
	s_waitcnt lgkmcnt(0)
	v_add_f64 v[5:6], v[5:6], v[15:16]
	v_add_f64 v[23:24], v[5:6], v[17:18]
	ds_read2_b64 v[5:8], v26 offset0:4 offset1:5
	ds_read2_b64 v[15:18], v26 offset0:6 offset1:7
	s_waitcnt lgkmcnt(1)
	v_add_f64 v[5:6], v[23:24], v[5:6]
	v_add_f64 v[5:6], v[5:6], v[7:8]
	s_waitcnt lgkmcnt(0)
	v_add_f64 v[5:6], v[5:6], v[15:16]
	v_add_f64 v[36:37], v[5:6], v[17:18]
.LBB108_31:
	s_or_b64 exec, exec, s[14:15]
	s_lshl_b32 s14, s20, 5
	s_ashr_i32 s15, s14, 31
	s_lshl_b64 s[34:35], s[14:15], 3
	v_mov_b32_e32 v5, s35
	v_add_co_u32_e32 v3, vcc, s34, v3
	v_addc_co_u32_e32 v4, vcc, v4, v5, vcc
	v_add_co_u32_e32 v15, vcc, 0x100, v3
	v_addc_co_u32_e32 v16, vcc, 0, v4, vcc
	v_cndmask_b32_e64 v5, 0, 1, s[16:17]
	v_cmp_ne_u32_e64 s[14:15], 1, v5
	s_andn2_b64 vcc, exec, s[16:17]
	s_mov_b64 s[16:17], -1
	s_barrier
	s_cbranch_vccnz .LBB108_33
; %bb.32:
	s_lshl_b32 s16, s20, 3
	s_ashr_i32 s17, s16, 31
	s_lshl_b64 s[16:17], s[16:17], 3
	v_mov_b32_e32 v6, s17
	v_add_co_u32_e32 v5, vcc, s16, v3
	s_ashr_i32 s21, s20, 31
	v_addc_co_u32_e32 v6, vcc, v4, v6, vcc
	s_lshl_b64 s[16:17], s[20:21], 6
	v_mov_b32_e32 v18, s17
	v_add_co_u32_e32 v7, vcc, s16, v5
	v_addc_co_u32_e32 v8, vcc, v6, v18, vcc
	v_add_co_u32_e32 v17, vcc, s16, v7
	v_addc_co_u32_e32 v18, vcc, v8, v18, vcc
	global_load_dwordx2 v[23:24], v[3:4], off offset:256
	global_load_dwordx2 v[28:29], v[5:6], off offset:256
	;; [unrolled: 1-line block ×4, first 2 shown]
	s_movk_i32 s16, 0x108
	v_mad_u32_u24 v5, v11, s16, v12
	s_mov_b64 s[16:17], 0
	s_waitcnt vmcnt(3)
	ds_write_b64 v5, v[23:24]
	s_waitcnt vmcnt(2)
	ds_write_b64 v5, v[28:29] offset:2112
	s_waitcnt vmcnt(1)
	ds_write_b64 v5, v[30:31] offset:4224
	;; [unrolled: 2-line block ×3, first 2 shown]
.LBB108_33:
	s_andn2_b64 vcc, exec, s[16:17]
	s_cbranch_vccnz .LBB108_43
; %bb.34:
	v_sub_co_u32_e32 v3, vcc, v3, v12
	s_ashr_i32 s25, s24, 31
	v_subbrev_co_u32_e32 v4, vcc, 0, v4, vcc
	s_lshl_b64 s[36:37], s[24:25], 3
	v_mov_b32_e32 v6, s37
	v_add_co_u32_e32 v3, vcc, s36, v3
	v_addc_co_u32_e32 v4, vcc, v4, v6, vcc
	v_or_b32_e32 v5, 32, v1
	v_add_co_u32_e32 v3, vcc, -8, v3
	v_addc_co_u32_e32 v4, vcc, -1, v4, vcc
	v_cmp_gt_i32_e64 s[16:17], s24, v5
	s_sub_i32 s21, s24, 32
	v_mov_b32_e32 v5, 0
	v_mov_b32_e32 v7, 0
	v_cndmask_b32_e64 v4, v4, v16, s[16:17]
	v_cndmask_b32_e64 v3, v3, v15, s[16:17]
	v_mov_b32_e32 v6, 0
	v_mov_b32_e32 v8, 0
	v_cmp_gt_i32_e32 vcc, s21, v11
	s_and_saveexec_b64 s[38:39], vcc
	s_cbranch_execz .LBB108_36
; %bb.35:
	global_load_dwordx2 v[7:8], v[3:4], off
.LBB108_36:
	s_or_b64 exec, exec, s[38:39]
	s_movk_i32 s25, 0x108
	v_mad_u32_u24 v18, v11, s25, v12
	s_waitcnt vmcnt(0)
	ds_write_b64 v18, v[7:8]
	v_add_u32_e32 v7, 8, v11
	v_mul_u32_u24_e32 v17, 0x108, v11
	v_cmp_gt_i32_e32 vcc, s21, v7
	s_and_saveexec_b64 s[38:39], vcc
	s_cbranch_execz .LBB108_38
; %bb.37:
	s_lshl_b32 s44, s20, 3
	s_ashr_i32 s45, s44, 31
	s_lshl_b64 s[44:45], s[44:45], 3
	v_mov_b32_e32 v6, s45
	v_add_co_u32_e32 v5, vcc, s44, v3
	v_addc_co_u32_e32 v6, vcc, v4, v6, vcc
	global_load_dwordx2 v[5:6], v[5:6], off
.LBB108_38:
	s_or_b64 exec, exec, s[38:39]
	v_add_u32_e32 v17, v17, v12
	s_waitcnt vmcnt(0)
	ds_write_b64 v17, v[5:6] offset:2112
	v_add_u32_e32 v18, 16, v11
	v_mov_b32_e32 v5, 0
	v_mov_b32_e32 v7, 0
	v_mov_b32_e32 v6, 0
	v_mov_b32_e32 v8, 0
	v_cmp_gt_i32_e32 vcc, s21, v18
	s_and_saveexec_b64 s[38:39], vcc
	s_cbranch_execz .LBB108_40
; %bb.39:
	s_lshl_b32 s44, s20, 4
	s_ashr_i32 s45, s44, 31
	s_lshl_b64 s[44:45], s[44:45], 3
	v_mov_b32_e32 v8, s45
	v_add_co_u32_e32 v7, vcc, s44, v3
	v_addc_co_u32_e32 v8, vcc, v4, v8, vcc
	global_load_dwordx2 v[7:8], v[7:8], off
.LBB108_40:
	s_or_b64 exec, exec, s[38:39]
	s_waitcnt vmcnt(0)
	ds_write_b64 v17, v[7:8] offset:4224
	v_add_u32_e32 v7, 24, v11
	v_cmp_gt_i32_e32 vcc, s21, v7
	s_and_saveexec_b64 s[38:39], vcc
	s_cbranch_execz .LBB108_42
; %bb.41:
	s_mul_i32 s44, s20, 24
	s_ashr_i32 s45, s44, 31
	s_lshl_b64 s[44:45], s[44:45], 3
	v_mov_b32_e32 v6, s45
	v_add_co_u32_e32 v5, vcc, s44, v3
	v_addc_co_u32_e32 v6, vcc, v4, v6, vcc
	global_load_dwordx2 v[5:6], v[5:6], off
.LBB108_42:
	s_or_b64 exec, exec, s[38:39]
	v_add_co_u32_e32 v3, vcc, v3, v12
	v_addc_co_u32_e32 v4, vcc, 0, v4, vcc
	s_waitcnt vmcnt(0)
	ds_write_b64 v17, v[5:6] offset:6336
	v_mov_b32_e32 v5, s37
	v_subrev_co_u32_e32 v3, vcc, s36, v3
	v_subb_co_u32_e32 v4, vcc, v4, v5, vcc
	v_add_co_u32_e32 v3, vcc, 0x108, v3
	v_addc_co_u32_e32 v4, vcc, 0, v4, vcc
	v_cndmask_b32_e64 v16, v4, v16, s[16:17]
	v_cndmask_b32_e64 v15, v3, v15, s[16:17]
.LBB108_43:
	v_mul_u32_u24_e32 v4, 0x420, v11
	v_add_u32_e32 v10, 0x2380, v10
	v_mul_u32_u24_e32 v3, 0x108, v13
	v_add_u32_e32 v4, v12, v4
	s_waitcnt lgkmcnt(0)
	s_barrier
	s_and_saveexec_b64 s[16:17], s[18:19]
	s_cbranch_execnz .LBB108_52
; %bb.44:
	s_or_b64 exec, exec, s[16:17]
	v_add_u32_e32 v3, v12, v3
	s_and_saveexec_b64 s[16:17], s[8:9]
	s_cbranch_execnz .LBB108_53
.LBB108_45:
	s_or_b64 exec, exec, s[16:17]
	s_and_saveexec_b64 s[8:9], s[10:11]
	s_cbranch_execnz .LBB108_54
.LBB108_46:
	s_or_b64 exec, exec, s[8:9]
	s_and_saveexec_b64 s[8:9], s[12:13]
	s_cbranch_execz .LBB108_48
.LBB108_47:
	ds_read_b64 v[5:6], v14
	v_lshl_add_u32 v7, v9, 3, v26
	s_waitcnt lgkmcnt(0)
	ds_write_b64 v7, v[5:6] offset:24
.LBB108_48:
	s_or_b64 exec, exec, s[8:9]
	s_waitcnt lgkmcnt(0)
	s_barrier
	ds_read_b64 v[17:18], v4
	ds_read_b128 v[4:7], v10 offset:256
	ds_read_b128 v[28:31], v10 offset:272
	ds_read_b64 v[13:14], v14
	ds_read2_b64 v[38:41], v3 offset1:33
	v_cmp_eq_u32_e64 s[10:11], 1, v11
	s_waitcnt lgkmcnt(3)
	v_fma_f64 v[4:5], v[17:18], v[4:5], 0
	s_waitcnt lgkmcnt(0)
	s_barrier
	v_fma_f64 v[3:4], v[38:39], v[6:7], v[4:5]
	v_fma_f64 v[3:4], v[40:41], v[28:29], v[3:4]
	;; [unrolled: 1-line block ×3, first 2 shown]
	ds_write_b64 v27, v[3:4]
	s_waitcnt lgkmcnt(0)
	s_barrier
	s_and_saveexec_b64 s[8:9], s[10:11]
	s_cbranch_execz .LBB108_50
; %bb.49:
	ds_read2_b64 v[3:6], v26 offset1:1
	ds_read2_b64 v[28:31], v26 offset0:2 offset1:3
	s_waitcnt lgkmcnt(1)
	v_add_f64 v[3:4], v[3:4], v[5:6]
	s_waitcnt lgkmcnt(0)
	v_add_f64 v[3:4], v[3:4], v[28:29]
	v_add_f64 v[7:8], v[3:4], v[30:31]
	ds_read2_b64 v[3:6], v26 offset0:4 offset1:5
	ds_read2_b64 v[28:31], v26 offset0:6 offset1:7
	s_waitcnt lgkmcnt(1)
	v_add_f64 v[3:4], v[7:8], v[3:4]
	v_add_f64 v[3:4], v[3:4], v[5:6]
	s_waitcnt lgkmcnt(0)
	v_add_f64 v[3:4], v[3:4], v[28:29]
	v_add_f64 v[36:37], v[3:4], v[30:31]
.LBB108_50:
	s_or_b64 exec, exec, s[8:9]
	v_mov_b32_e32 v3, s35
	v_subrev_co_u32_e64 v23, s[8:9], s34, v15
	s_and_b64 vcc, exec, s[14:15]
	v_subb_co_u32_e64 v24, s[8:9], v16, v3, s[8:9]
	s_barrier
	s_cbranch_vccnz .LBB108_55
; %bb.51:
	s_lshl_b32 s8, s20, 3
	s_ashr_i32 s9, s8, 31
	s_lshl_b64 s[8:9], s[8:9], 3
	v_mov_b32_e32 v4, s9
	v_add_co_u32_e32 v3, vcc, s8, v23
	s_ashr_i32 s21, s20, 31
	v_addc_co_u32_e32 v4, vcc, v24, v4, vcc
	s_lshl_b64 s[8:9], s[20:21], 6
	v_mov_b32_e32 v8, s9
	v_add_co_u32_e32 v5, vcc, s8, v3
	v_addc_co_u32_e32 v6, vcc, v4, v8, vcc
	v_add_co_u32_e32 v7, vcc, s8, v5
	v_addc_co_u32_e32 v8, vcc, v6, v8, vcc
	global_load_dwordx2 v[28:29], v[23:24], off
	global_load_dwordx2 v[30:31], v[3:4], off
	;; [unrolled: 1-line block ×4, first 2 shown]
	s_movk_i32 s8, 0x108
	v_mov_b32_e32 v3, 0x840
	v_mov_b32_e32 v4, 0x1080
	;; [unrolled: 1-line block ×3, first 2 shown]
	v_mul_u32_u24_e32 v14, 0x108, v11
	v_add_u32_e32 v13, 8, v11
	v_add_u32_e32 v15, 16, v11
	;; [unrolled: 1-line block ×3, first 2 shown]
	v_mad_u32_u24 v6, v11, s8, v12
	v_mad_u32_u24 v16, v11, s8, v3
	;; [unrolled: 1-line block ×4, first 2 shown]
	v_add_u32_e32 v3, v12, v16
	v_add_u32_e32 v4, v12, v17
	;; [unrolled: 1-line block ×3, first 2 shown]
	s_waitcnt vmcnt(3)
	ds_write_b64 v6, v[28:29]
	s_waitcnt vmcnt(2)
	ds_write_b64 v3, v[30:31]
	;; [unrolled: 2-line block ×4, first 2 shown]
	s_cbranch_execz .LBB108_56
	s_branch .LBB108_65
.LBB108_52:
	ds_read_b64 v[5:6], v4
	v_lshl_add_u32 v7, v9, 3, v26
	s_waitcnt lgkmcnt(0)
	ds_write_b64 v7, v[5:6]
	s_or_b64 exec, exec, s[16:17]
	v_add_u32_e32 v3, v12, v3
	s_and_saveexec_b64 s[16:17], s[8:9]
	s_cbranch_execz .LBB108_45
.LBB108_53:
	ds_read_b64 v[5:6], v3
	v_lshl_add_u32 v7, v9, 3, v26
	s_waitcnt lgkmcnt(0)
	ds_write_b64 v7, v[5:6] offset:8
	s_or_b64 exec, exec, s[16:17]
	s_and_saveexec_b64 s[8:9], s[10:11]
	s_cbranch_execz .LBB108_46
.LBB108_54:
	ds_read_b64 v[5:6], v3 offset:264
	v_lshl_add_u32 v7, v9, 3, v26
	s_waitcnt lgkmcnt(0)
	ds_write_b64 v7, v[5:6] offset:16
	s_or_b64 exec, exec, s[8:9]
	s_and_saveexec_b64 s[8:9], s[12:13]
	s_cbranch_execnz .LBB108_47
	s_branch .LBB108_48
.LBB108_55:
                                        ; implicit-def: $vgpr14
                                        ; implicit-def: $vgpr13
                                        ; implicit-def: $vgpr16
                                        ; implicit-def: $vgpr15
                                        ; implicit-def: $vgpr17
                                        ; implicit-def: $vgpr7
                                        ; implicit-def: $vgpr8
.LBB108_56:
	v_sub_co_u32_e32 v3, vcc, v23, v12
	s_ashr_i32 s25, s24, 31
	v_subbrev_co_u32_e32 v4, vcc, 0, v24, vcc
	s_lshl_b64 s[12:13], s[24:25], 3
	v_mov_b32_e32 v5, s13
	v_add_co_u32_e32 v3, vcc, s12, v3
	v_addc_co_u32_e32 v4, vcc, v4, v5, vcc
	v_or_b32_e32 v1, 32, v1
	v_add_co_u32_e32 v3, vcc, 0xfffffef8, v3
	v_addc_co_u32_e32 v4, vcc, -1, v4, vcc
	v_cmp_gt_i32_e64 s[8:9], s24, v1
	v_mov_b32_e32 v5, 0
	v_mov_b32_e32 v7, 0
	v_cndmask_b32_e64 v4, v4, v24, s[8:9]
	v_cndmask_b32_e64 v3, v3, v23, s[8:9]
	v_mov_b32_e32 v6, 0
	v_mov_b32_e32 v8, 0
	v_cmp_gt_i32_e32 vcc, s24, v11
	s_and_saveexec_b64 s[14:15], vcc
	s_cbranch_execz .LBB108_58
; %bb.57:
	global_load_dwordx2 v[7:8], v[3:4], off
.LBB108_58:
	s_or_b64 exec, exec, s[14:15]
	s_movk_i32 s14, 0x108
	v_add_u32_e32 v13, 8, v11
	v_mul_u32_u24_e32 v14, 0x108, v11
	v_mad_u32_u24 v1, v11, s14, v12
	v_cmp_gt_i32_e32 vcc, s24, v13
	s_waitcnt vmcnt(0)
	ds_write_b64 v1, v[7:8]
	s_and_saveexec_b64 s[14:15], vcc
	s_cbranch_execz .LBB108_60
; %bb.59:
	s_lshl_b32 s16, s20, 3
	s_ashr_i32 s17, s16, 31
	s_lshl_b64 s[16:17], s[16:17], 3
	v_mov_b32_e32 v1, s17
	v_add_co_u32_e32 v5, vcc, s16, v3
	v_addc_co_u32_e32 v6, vcc, v4, v1, vcc
	global_load_dwordx2 v[5:6], v[5:6], off
.LBB108_60:
	s_or_b64 exec, exec, s[14:15]
	v_add_u32_e32 v16, 0x840, v14
	v_add_u32_e32 v1, v12, v16
	s_waitcnt vmcnt(0)
	ds_write_b64 v1, v[5:6]
	v_add_u32_e32 v15, 16, v11
	v_mov_b32_e32 v5, 0
	v_mov_b32_e32 v7, 0
	;; [unrolled: 1-line block ×4, first 2 shown]
	v_cmp_gt_i32_e32 vcc, s24, v15
	s_and_saveexec_b64 s[14:15], vcc
	s_cbranch_execz .LBB108_62
; %bb.61:
	s_lshl_b32 s16, s20, 4
	s_ashr_i32 s17, s16, 31
	s_lshl_b64 s[16:17], s[16:17], 3
	v_mov_b32_e32 v1, s17
	v_add_co_u32_e32 v7, vcc, s16, v3
	v_addc_co_u32_e32 v8, vcc, v4, v1, vcc
	global_load_dwordx2 v[7:8], v[7:8], off
.LBB108_62:
	s_or_b64 exec, exec, s[14:15]
	v_add_u32_e32 v17, 0x840, v16
	v_add_u32_e32 v1, v12, v17
	s_waitcnt vmcnt(0)
	ds_write_b64 v1, v[7:8]
	v_add_u32_e32 v7, 24, v11
	v_cmp_gt_i32_e32 vcc, s24, v7
	s_and_saveexec_b64 s[14:15], vcc
	s_cbranch_execz .LBB108_64
; %bb.63:
	s_mul_i32 s16, s20, 24
	s_ashr_i32 s17, s16, 31
	s_lshl_b64 s[16:17], s[16:17], 3
	v_mov_b32_e32 v1, s17
	v_add_co_u32_e32 v5, vcc, s16, v3
	v_addc_co_u32_e32 v6, vcc, v4, v1, vcc
	global_load_dwordx2 v[5:6], v[5:6], off
.LBB108_64:
	s_or_b64 exec, exec, s[14:15]
	v_add_u32_e32 v8, 0x840, v17
	v_add_u32_e32 v1, v12, v8
	s_waitcnt vmcnt(0)
	ds_write_b64 v1, v[5:6]
	v_add_co_u32_e32 v1, vcc, v3, v12
	v_addc_co_u32_e32 v3, vcc, 0, v4, vcc
	v_mov_b32_e32 v4, s13
	v_subrev_co_u32_e32 v1, vcc, s12, v1
	v_subb_co_u32_e32 v3, vcc, v3, v4, vcc
	v_add_co_u32_e32 v1, vcc, 0x108, v1
	v_addc_co_u32_e32 v3, vcc, 0, v3, vcc
	v_cndmask_b32_e64 v24, v3, v24, s[8:9]
	v_cndmask_b32_e64 v23, v1, v23, s[8:9]
.LBB108_65:
	v_add_u32_e32 v1, v12, v14
	v_lshlrev_b32_e32 v5, 3, v11
	s_waitcnt lgkmcnt(0)
	s_barrier
	ds_read_b64 v[3:4], v1
	ds_read_b64 v[5:6], v5 offset:9088
	v_add_u32_e32 v1, v12, v16
	v_lshlrev_b32_e32 v11, 3, v13
	ds_read_b64 v[13:14], v1
	ds_read_b64 v[28:29], v11 offset:9088
	v_add_u32_e32 v1, v12, v17
	s_waitcnt lgkmcnt(2)
	v_fma_f64 v[3:4], v[3:4], v[5:6], 0
	v_lshlrev_b32_e32 v11, 3, v15
	s_waitcnt lgkmcnt(0)
	v_fma_f64 v[3:4], v[13:14], v[28:29], v[3:4]
	ds_read_b64 v[5:6], v1
	ds_read_b64 v[13:14], v11 offset:9088
	v_add_u32_e32 v1, v12, v8
	v_lshlrev_b32_e32 v11, 3, v7
	ds_read_b64 v[7:8], v1
	ds_read_b64 v[11:12], v11 offset:9088
	v_lshl_add_u32 v1, v9, 3, v26
	s_waitcnt lgkmcnt(2)
	v_fma_f64 v[3:4], v[5:6], v[13:14], v[3:4]
	s_waitcnt lgkmcnt(0)
	v_fma_f64 v[28:29], v[7:8], v[11:12], v[3:4]
	ds_read_b128 v[11:14], v10 offset:256
	ds_read_b128 v[3:6], v10 offset:272
	ds_read2_b64 v[15:18], v1 offset1:1
	ds_read2_b64 v[7:10], v1 offset0:2 offset1:3
	s_waitcnt lgkmcnt(0)
	s_barrier
	ds_write_b64 v27, v[28:29]
	s_waitcnt lgkmcnt(0)
	s_barrier
	s_and_saveexec_b64 s[8:9], s[10:11]
	s_cbranch_execz .LBB108_67
; %bb.66:
	ds_read2_b64 v[28:31], v26 offset1:1
	ds_read2_b64 v[38:41], v26 offset0:2 offset1:3
	s_waitcnt lgkmcnt(1)
	v_add_f64 v[28:29], v[36:37], v[28:29]
	v_add_f64 v[28:29], v[28:29], v[30:31]
	s_waitcnt lgkmcnt(0)
	v_add_f64 v[28:29], v[28:29], v[38:39]
	v_add_f64 v[32:33], v[28:29], v[40:41]
	ds_read2_b64 v[28:31], v26 offset0:4 offset1:5
	ds_read2_b64 v[36:39], v26 offset0:6 offset1:7
	s_waitcnt lgkmcnt(1)
	v_add_f64 v[28:29], v[32:33], v[28:29]
	v_add_f64 v[28:29], v[28:29], v[30:31]
	s_waitcnt lgkmcnt(0)
	v_add_f64 v[28:29], v[28:29], v[36:37]
	v_add_f64 v[36:37], v[28:29], v[38:39]
.LBB108_67:
	s_or_b64 exec, exec, s[8:9]
	v_fma_f64 v[11:12], v[15:16], v[11:12], 0
	s_barrier
	v_fma_f64 v[11:12], v[17:18], v[13:14], v[11:12]
	v_fma_f64 v[3:4], v[7:8], v[3:4], v[11:12]
	;; [unrolled: 1-line block ×3, first 2 shown]
	ds_write_b64 v27, v[3:4]
	s_waitcnt lgkmcnt(0)
	s_barrier
	s_and_saveexec_b64 s[8:9], s[4:5]
	s_cbranch_execz .LBB108_69
; %bb.68:
	ds_read2_b64 v[3:6], v26 offset1:1
	ds_read2_b64 v[7:10], v26 offset0:2 offset1:3
	s_waitcnt lgkmcnt(1)
	v_add_f64 v[3:4], v[36:37], v[3:4]
	v_add_f64 v[3:4], v[3:4], v[5:6]
	s_waitcnt lgkmcnt(0)
	v_add_f64 v[3:4], v[3:4], v[7:8]
	v_add_f64 v[11:12], v[3:4], v[9:10]
	ds_read2_b64 v[3:6], v26 offset0:4 offset1:5
	ds_read2_b64 v[7:10], v26 offset0:6 offset1:7
	s_waitcnt lgkmcnt(1)
	v_add_f64 v[3:4], v[11:12], v[3:4]
	v_add_f64 v[3:4], v[3:4], v[5:6]
	s_waitcnt lgkmcnt(0)
	v_add_f64 v[3:4], v[3:4], v[7:8]
	v_add_f64 v[36:37], v[3:4], v[9:10]
.LBB108_69:
	s_or_b64 exec, exec, s[8:9]
	s_mul_hi_u32 s4, s40, s7
	s_mul_i32 s42, s42, s7
	s_add_i32 s4, s4, s42
	s_mul_i32 s7, s40, s7
	s_mul_i32 s4, s4, s41
	s_mul_hi_u32 s5, s7, s41
	s_add_i32 s5, s5, s4
	s_mul_i32 s4, s7, s41
	s_lshl_b64 s[4:5], s[4:5], 3
	s_add_u32 s7, s22, s4
	s_mul_i32 s4, s40, s6
	s_addc_u32 s8, s23, s5
	s_ashr_i32 s5, s4, 31
	s_lshl_b64 s[4:5], s[4:5], 3
	s_add_u32 s7, s7, s4
	v_cmp_le_i32_e32 vcc, s24, v0
	s_addc_u32 s34, s8, s5
	s_and_b64 vcc, s[30:31], vcc
	s_cmp_lt_i32 s6, 1
	v_lshlrev_b32_e32 v72, 3, v0
	s_barrier
	s_cbranch_scc1 .LBB108_76
; %bb.70:
	s_mul_i32 s4, s33, s26
	s_ashr_i32 s5, s4, 31
	s_lshl_b64 s[4:5], s[4:5], 3
	v_mov_b32_e32 v1, s5
	v_subrev_co_u32_e64 v73, s[4:5], s4, v19
	v_mul_lo_u32 v4, v2, s20
	v_subb_co_u32_e64 v74, s[4:5], v20, v1, s[4:5]
	v_mov_b32_e32 v1, s29
	v_subrev_co_u32_e64 v3, s[4:5], s28, v23
	v_subb_co_u32_e64 v1, s[4:5], v24, v1, s[4:5]
	v_sub_co_u32_e64 v7, s[4:5], v3, v21
	v_lshl_add_u32 v3, v4, 2, v0
	v_ashrrev_i32_e32 v4, 31, v3
	v_lshlrev_b64 v[3:4], 3, v[3:4]
	v_subb_co_u32_e64 v1, s[4:5], v1, v22, s[4:5]
	v_add_co_u32_e64 v3, s[4:5], v7, v3
	v_addc_co_u32_e64 v4, s[4:5], v1, v4, s[4:5]
	s_movk_i32 s4, 0xff00
	v_add_co_u32_e64 v7, s[4:5], s4, v3
	v_addc_co_u32_e64 v8, s[4:5], -1, v4, s[4:5]
	v_sub_co_u32_e64 v3, s[4:5], v3, v72
	v_subbrev_co_u32_e64 v4, s[4:5], 0, v4, s[4:5]
	s_ashr_i32 s25, s24, 31
	s_lshl_b64 s[4:5], s[24:25], 3
	v_mov_b32_e32 v9, s5
	v_add_co_u32_e64 v3, s[4:5], s4, v3
	v_addc_co_u32_e64 v4, s[4:5], v4, v9, s[4:5]
	s_movk_i32 s4, 0xfef8
	v_add_co_u32_e64 v3, s[4:5], s4, v3
	v_addc_co_u32_e64 v4, s[4:5], -1, v4, s[4:5]
	v_cndmask_b32_e32 v39, v8, v4, vcc
	v_and_b32_e32 v4, 48, v0
	v_lshrrev_b32_e32 v5, 4, v25
	v_and_b32_e32 v6, 15, v0
	v_cndmask_b32_e32 v38, v7, v3, vcc
	v_mov_b32_e32 v3, 0x2180
	s_movk_i32 s8, 0x218
	v_lshlrev_b32_e32 v4, 3, v4
	v_lshl_add_u32 v76, v2, 5, v3
	v_lshlrev_b32_e32 v3, 5, v5
	v_mad_u32_u24 v80, v6, s8, v4
	v_or_b32_e32 v4, 0x78, v72
	s_ashr_i32 s21, s20, 31
	s_lshl_b32 s28, s33, 6
	s_movk_i32 s4, 0x860
	v_mad_u32_u24 v79, v6, s8, v3
	v_mul_i32_i24_e32 v3, 0xffffffe8, v5
	v_mad_u32_u24 v81, v6, s8, v4
	s_lshl_b64 s[16:17], s[20:21], 3
	s_lshl_b64 s[18:19], s[20:21], 9
	;; [unrolled: 1-line block ×3, first 2 shown]
	s_mul_hi_i32 s8, s20, 24
	s_mul_i32 s29, s20, 24
	s_mul_hi_i32 s9, s20, 0x90
	s_mul_i32 s30, s20, 0x90
	;; [unrolled: 2-line block ×10, first 2 shown]
	s_lshl_b64 s[24:25], s[20:21], 8
	s_mul_hi_i32 s43, s20, 0x88
	s_mul_i32 s41, s20, 0x88
	s_lshl_b64 s[20:21], s[20:21], 7
	v_mov_b32_e32 v1, 0
	v_add_u32_e32 v75, 0x2180, v72
	v_add_u32_e32 v77, 0x2380, v72
	v_mad_u32_u24 v78, v2, s4, v72
	v_cmp_gt_u32_e64 s[4:5], 64, v25
	s_mov_b32 s26, 0
	v_mov_b32_e32 v82, s17
	v_mov_b32_e32 v83, s23
	;; [unrolled: 1-line block ×15, first 2 shown]
	v_add_u32_e32 v97, v79, v3
	v_mov_b32_e32 v98, s19
	s_branch .LBB108_72
.LBB108_71:                             ;   in Loop: Header=BB108_72 Depth=1
	s_or_b64 exec, exec, s[10:11]
	v_fma_f64 v[7:8], v[40:41], v[7:8], v[36:37]
	v_add_co_u32_e64 v38, s[8:9], s18, v38
	s_add_i32 s6, s6, -1
	s_add_i32 s26, s26, s28
	v_addc_co_u32_e64 v39, s[8:9], v39, v98, s[8:9]
	s_cmp_eq_u32 s6, 0
	v_fma_f64 v[7:8], v[42:43], v[9:10], v[7:8]
	v_add_u32_e32 v0, 64, v0
	s_waitcnt vmcnt(0)
	s_barrier
	v_fma_f64 v[3:4], v[44:45], v[3:4], v[7:8]
	v_fma_f64 v[3:4], v[46:47], v[5:6], v[3:4]
	;; [unrolled: 1-line block ×14, first 2 shown]
	s_cbranch_scc1 .LBB108_76
.LBB108_72:                             ; =>This Inner Loop Header: Depth=1
	s_and_saveexec_b64 s[10:11], s[2:3]
	s_cbranch_execz .LBB108_74
; %bb.73:                               ;   in Loop: Header=BB108_72 Depth=1
	s_ashr_i32 s27, s26, 31
	s_lshl_b64 s[8:9], s[26:27], 3
	v_mov_b32_e32 v4, s9
	v_add_co_u32_e64 v3, s[8:9], s8, v73
	v_addc_co_u32_e64 v4, s[8:9], v74, v4, s[8:9]
	global_load_dwordx2 v[3:4], v[3:4], off
	s_waitcnt vmcnt(0)
	ds_write_b64 v75, v[3:4]
.LBB108_74:                             ;   in Loop: Header=BB108_72 Depth=1
	s_or_b64 exec, exec, s[10:11]
	v_add_co_u32_e64 v3, s[8:9], s16, v38
	v_addc_co_u32_e64 v4, s[8:9], v39, v82, s[8:9]
	s_waitcnt lgkmcnt(0)
	s_barrier
	global_load_dwordx2 v[40:41], v[38:39], off
	global_load_dwordx2 v[42:43], v[3:4], off
	v_add_co_u32_e64 v3, s[8:9], s22, v38
	v_addc_co_u32_e64 v4, s[8:9], v39, v83, s[8:9]
	v_add_co_u32_e64 v5, s[8:9], s29, v38
	v_addc_co_u32_e64 v6, s[8:9], v39, v84, s[8:9]
	global_load_dwordx2 v[44:45], v[3:4], off
	global_load_dwordx2 v[46:47], v[5:6], off
	ds_read_b64 v[11:12], v77
	ds_read_b128 v[7:10], v76
	ds_read_b128 v[3:6], v76 offset:16
	v_add_co_u32_e64 v15, s[8:9], s20, v38
	v_add_co_u32_e64 v17, s[10:11], s41, v38
	;; [unrolled: 1-line block ×4, first 2 shown]
	v_addc_co_u32_e64 v16, s[8:9], v39, v85, s[8:9]
	v_addc_co_u32_e64 v18, s[8:9], v39, v86, s[10:11]
	;; [unrolled: 1-line block ×4, first 2 shown]
	v_add_co_u32_e64 v27, s[8:9], s24, v38
	v_add_co_u32_e64 v60, s[10:11], s40, v38
	v_addc_co_u32_e64 v28, s[8:9], v39, v89, s[8:9]
	v_addc_co_u32_e64 v61, s[8:9], v39, v90, s[10:11]
	s_waitcnt vmcnt(3) lgkmcnt(2)
	v_mul_f64 v[13:14], v[40:41], v[11:12]
	s_waitcnt vmcnt(2)
	v_mul_f64 v[19:20], v[42:43], v[11:12]
	s_waitcnt vmcnt(1)
	v_mul_f64 v[21:22], v[44:45], v[11:12]
	s_waitcnt vmcnt(0)
	v_mul_f64 v[11:12], v[46:47], v[11:12]
	ds_write2_b64 v78, v[13:14], v[19:20] offset1:67
	ds_write2_b64 v78, v[21:22], v[11:12] offset0:134 offset1:201
	s_waitcnt lgkmcnt(0)
	s_barrier
	ds_read2_b64 v[11:14], v79 offset1:1
	ds_read2_b64 v[19:22], v79 offset0:2 offset1:3
	s_waitcnt lgkmcnt(0)
	s_barrier
	global_load_dwordx2 v[48:49], v[15:16], off
	global_load_dwordx2 v[50:51], v[17:18], off
	;; [unrolled: 1-line block ×4, first 2 shown]
	v_add_f64 v[11:12], v[11:12], 0
	ds_read_b64 v[15:16], v77
	v_add_f64 v[23:24], v[11:12], v[13:14]
	v_add_f64 v[19:20], v[23:24], v[19:20]
	;; [unrolled: 1-line block ×3, first 2 shown]
	s_waitcnt vmcnt(3) lgkmcnt(0)
	v_mul_f64 v[25:26], v[48:49], v[15:16]
	s_waitcnt vmcnt(2)
	v_mul_f64 v[29:30], v[50:51], v[15:16]
	s_waitcnt vmcnt(1)
	;; [unrolled: 2-line block ×3, first 2 shown]
	v_mul_f64 v[33:34], v[54:55], v[15:16]
	ds_read_b128 v[15:18], v76 offset:128
	ds_read_b128 v[11:14], v76 offset:144
	ds_write2_b64 v78, v[25:26], v[29:30] offset1:67
	ds_write2_b64 v78, v[31:32], v[33:34] offset0:134 offset1:201
	s_waitcnt lgkmcnt(0)
	s_barrier
	ds_read2_b64 v[23:26], v79 offset1:1
	ds_read2_b64 v[19:22], v79 offset0:2 offset1:3
	s_waitcnt lgkmcnt(0)
	s_barrier
	v_add_f64 v[23:24], v[23:24], 0
	global_load_dwordx2 v[56:57], v[27:28], off
	global_load_dwordx2 v[58:59], v[60:61], off
	v_add_co_u32_e64 v27, s[8:9], s33, v38
	v_addc_co_u32_e64 v28, s[8:9], v39, v91, s[8:9]
	v_add_f64 v[23:24], v[23:24], v[25:26]
	v_add_co_u32_e64 v25, s[10:11], s35, v38
	v_addc_co_u32_e64 v26, s[8:9], v39, v92, s[10:11]
	global_load_dwordx2 v[60:61], v[27:28], off
	global_load_dwordx2 v[62:63], v[25:26], off
	v_add_f64 v[19:20], v[23:24], v[19:20]
	ds_read_b64 v[23:24], v77
	v_add_f64 v[109:110], v[19:20], v[21:22]
	s_waitcnt vmcnt(3) lgkmcnt(0)
	v_mul_f64 v[19:20], v[56:57], v[23:24]
	s_waitcnt vmcnt(2)
	v_mul_f64 v[21:22], v[58:59], v[23:24]
	ds_write2_b64 v78, v[19:20], v[21:22] offset1:67
	s_waitcnt vmcnt(1)
	v_mul_f64 v[19:20], v[60:61], v[23:24]
	s_waitcnt vmcnt(0)
	v_mul_f64 v[21:22], v[62:63], v[23:24]
	ds_write2_b64 v78, v[19:20], v[21:22] offset0:134 offset1:201
	ds_read_b128 v[23:26], v76 offset:256
	ds_read_b128 v[19:22], v76 offset:272
	s_waitcnt lgkmcnt(0)
	s_barrier
	ds_read2_b64 v[27:30], v79 offset1:1
	ds_read2_b64 v[99:102], v79 offset0:2 offset1:3
	s_waitcnt lgkmcnt(0)
	s_barrier
	v_add_f64 v[27:28], v[27:28], 0
	v_add_f64 v[111:112], v[27:28], v[29:30]
	v_add_co_u32_e64 v27, s[8:9], s39, v38
	v_addc_co_u32_e64 v28, s[8:9], v39, v93, s[8:9]
	v_add_co_u32_e64 v29, s[8:9], s38, v38
	v_addc_co_u32_e64 v30, s[8:9], v39, v94, s[8:9]
	global_load_dwordx2 v[64:65], v[27:28], off
	global_load_dwordx2 v[66:67], v[29:30], off
	ds_read_b64 v[27:28], v77
	v_add_f64 v[99:100], v[111:112], v[99:100]
	s_waitcnt vmcnt(1) lgkmcnt(0)
	v_mul_f64 v[29:30], v[64:65], v[27:28]
	s_waitcnt vmcnt(0)
	v_mul_f64 v[31:32], v[66:67], v[27:28]
	ds_write2_b64 v78, v[29:30], v[31:32] offset1:67
	v_add_co_u32_e64 v29, s[8:9], s36, v38
	v_addc_co_u32_e64 v30, s[8:9], v39, v95, s[8:9]
	v_add_co_u32_e64 v31, s[8:9], s37, v38
	v_addc_co_u32_e64 v32, s[8:9], v39, v96, s[8:9]
	global_load_dwordx2 v[70:71], v[29:30], off
	global_load_dwordx2 v[68:69], v[31:32], off
	s_waitcnt vmcnt(1)
	v_mul_f64 v[29:30], v[70:71], v[27:28]
	s_waitcnt vmcnt(0)
	v_mul_f64 v[27:28], v[68:69], v[27:28]
	ds_write2_b64 v78, v[29:30], v[27:28] offset0:134 offset1:201
	ds_read_b128 v[31:34], v76 offset:384
	ds_read_b128 v[27:30], v76 offset:400
	s_waitcnt lgkmcnt(0)
	s_barrier
	ds_read2_b64 v[103:106], v79 offset1:1
	s_waitcnt lgkmcnt(0)
	v_add_f64 v[103:104], v[103:104], 0
	v_add_f64 v[103:104], v[103:104], v[105:106]
	;; [unrolled: 1-line block ×3, first 2 shown]
	ds_read2_b64 v[99:102], v79 offset0:2 offset1:3
	s_waitcnt lgkmcnt(0)
	s_barrier
	v_add_f64 v[99:100], v[103:104], v[99:100]
	v_add_f64 v[99:100], v[99:100], v[101:102]
	ds_write2_b64 v97, v[107:108], v[109:110] offset1:16
	ds_write2_b64 v97, v[105:106], v[99:100] offset0:32 offset1:48
	s_waitcnt lgkmcnt(0)
	s_barrier
	s_and_saveexec_b64 s[10:11], s[4:5]
	s_cbranch_execz .LBB108_71
; %bb.75:                               ;   in Loop: Header=BB108_72 Depth=1
	ds_read2_b64 v[99:102], v80 offset1:1
	ds_read2_b64 v[103:106], v80 offset0:2 offset1:3
	s_waitcnt lgkmcnt(1)
	v_add_f64 v[99:100], v[99:100], v[101:102]
	s_waitcnt lgkmcnt(0)
	v_add_f64 v[99:100], v[99:100], v[103:104]
	v_add_f64 v[107:108], v[99:100], v[105:106]
	ds_read2_b64 v[99:102], v80 offset0:4 offset1:5
	ds_read2_b64 v[103:106], v80 offset0:6 offset1:7
	s_waitcnt lgkmcnt(1)
	v_add_f64 v[99:100], v[107:108], v[99:100]
	v_add_f64 v[99:100], v[99:100], v[101:102]
	s_waitcnt lgkmcnt(0)
	v_add_f64 v[99:100], v[99:100], v[103:104]
	v_add_f64 v[107:108], v[99:100], v[105:106]
	ds_read2_b64 v[99:102], v80 offset0:8 offset1:9
	ds_read2_b64 v[103:106], v80 offset0:10 offset1:11
	s_waitcnt lgkmcnt(1)
	v_add_f64 v[99:100], v[107:108], v[99:100]
	v_add_f64 v[99:100], v[99:100], v[101:102]
	s_waitcnt lgkmcnt(0)
	v_add_f64 v[99:100], v[99:100], v[103:104]
	v_add_f64 v[103:104], v[99:100], v[105:106]
	ds_read2_b64 v[99:102], v80 offset0:12 offset1:13
	ds_read_b64 v[105:106], v80 offset:112
	s_waitcnt lgkmcnt(1)
	v_add_f64 v[99:100], v[103:104], v[99:100]
	v_mov_b32_e32 v103, s34
	v_add_f64 v[99:100], v[99:100], v[101:102]
	ds_read_b64 v[101:102], v81
	s_waitcnt lgkmcnt(1)
	v_add_f64 v[99:100], v[99:100], v[105:106]
	s_waitcnt lgkmcnt(0)
	v_add_f64 v[99:100], v[99:100], v[101:102]
	v_lshlrev_b64 v[101:102], 3, v[0:1]
	v_add_co_u32_e64 v101, s[8:9], s7, v101
	v_addc_co_u32_e64 v102, s[8:9], v103, v102, s[8:9]
	global_store_dwordx2 v[101:102], v[99:100], off
	s_branch .LBB108_71
.LBB108_76:
	s_movk_i32 s2, 0x218
	v_mad_u32_u24 v0, v2, s2, v72
	s_nor_b64 s[0:1], s[0:1], vcc
	ds_write_b64 v0, v[36:37]
	s_waitcnt lgkmcnt(0)
	s_barrier
	s_and_saveexec_b64 s[2:3], s[0:1]
	s_cbranch_execz .LBB108_78
; %bb.77:
	ds_read2_b64 v[0:3], v72 offset1:67
	v_ashrrev_i32_e32 v36, 31, v35
	s_waitcnt lgkmcnt(0)
	v_add_f64 v[4:5], v[0:1], v[2:3]
	ds_read2_b64 v[0:3], v72 offset0:134 offset1:201
	s_waitcnt lgkmcnt(0)
	v_add_f64 v[0:1], v[4:5], v[0:1]
	v_mov_b32_e32 v4, s34
	v_add_f64 v[0:1], v[0:1], v[2:3]
	v_lshlrev_b64 v[2:3], 3, v[35:36]
	v_add_co_u32_e32 v2, vcc, s7, v2
	v_addc_co_u32_e32 v3, vcc, v4, v3, vcc
	global_store_dwordx2 v[2:3], v[0:1], off
.LBB108_78:
	s_endpgm
	.section	.rodata,"a",@progbits
	.p2align	6, 0x0
	.amdhsa_kernel _ZL26rocblas_hemvn_kernel_lowerILb0ELi64ELi4ELi33ELi32ELi16EiPKdS1_PdEviT6_lT7_lT5_lS4_lS5_lS3_lT8_i
		.amdhsa_group_segment_fixed_size 9600
		.amdhsa_private_segment_fixed_size 0
		.amdhsa_kernarg_size 376
		.amdhsa_user_sgpr_count 6
		.amdhsa_user_sgpr_private_segment_buffer 1
		.amdhsa_user_sgpr_dispatch_ptr 0
		.amdhsa_user_sgpr_queue_ptr 0
		.amdhsa_user_sgpr_kernarg_segment_ptr 1
		.amdhsa_user_sgpr_dispatch_id 0
		.amdhsa_user_sgpr_flat_scratch_init 0
		.amdhsa_user_sgpr_private_segment_size 0
		.amdhsa_uses_dynamic_stack 0
		.amdhsa_system_sgpr_private_segment_wavefront_offset 0
		.amdhsa_system_sgpr_workgroup_id_x 1
		.amdhsa_system_sgpr_workgroup_id_y 0
		.amdhsa_system_sgpr_workgroup_id_z 1
		.amdhsa_system_sgpr_workgroup_info 0
		.amdhsa_system_vgpr_workitem_id 1
		.amdhsa_next_free_vgpr 113
		.amdhsa_next_free_sgpr 93
		.amdhsa_reserve_vcc 1
		.amdhsa_reserve_flat_scratch 0
		.amdhsa_float_round_mode_32 0
		.amdhsa_float_round_mode_16_64 0
		.amdhsa_float_denorm_mode_32 3
		.amdhsa_float_denorm_mode_16_64 3
		.amdhsa_dx10_clamp 1
		.amdhsa_ieee_mode 1
		.amdhsa_fp16_overflow 0
		.amdhsa_exception_fp_ieee_invalid_op 0
		.amdhsa_exception_fp_denorm_src 0
		.amdhsa_exception_fp_ieee_div_zero 0
		.amdhsa_exception_fp_ieee_overflow 0
		.amdhsa_exception_fp_ieee_underflow 0
		.amdhsa_exception_fp_ieee_inexact 0
		.amdhsa_exception_int_div_zero 0
	.end_amdhsa_kernel
	.section	.text._ZL26rocblas_hemvn_kernel_lowerILb0ELi64ELi4ELi33ELi32ELi16EiPKdS1_PdEviT6_lT7_lT5_lS4_lS5_lS3_lT8_i,"axG",@progbits,_ZL26rocblas_hemvn_kernel_lowerILb0ELi64ELi4ELi33ELi32ELi16EiPKdS1_PdEviT6_lT7_lT5_lS4_lS5_lS3_lT8_i,comdat
.Lfunc_end108:
	.size	_ZL26rocblas_hemvn_kernel_lowerILb0ELi64ELi4ELi33ELi32ELi16EiPKdS1_PdEviT6_lT7_lT5_lS4_lS5_lS3_lT8_i, .Lfunc_end108-_ZL26rocblas_hemvn_kernel_lowerILb0ELi64ELi4ELi33ELi32ELi16EiPKdS1_PdEviT6_lT7_lT5_lS4_lS5_lS3_lT8_i
                                        ; -- End function
	.set _ZL26rocblas_hemvn_kernel_lowerILb0ELi64ELi4ELi33ELi32ELi16EiPKdS1_PdEviT6_lT7_lT5_lS4_lS5_lS3_lT8_i.num_vgpr, 113
	.set _ZL26rocblas_hemvn_kernel_lowerILb0ELi64ELi4ELi33ELi32ELi16EiPKdS1_PdEviT6_lT7_lT5_lS4_lS5_lS3_lT8_i.num_agpr, 0
	.set _ZL26rocblas_hemvn_kernel_lowerILb0ELi64ELi4ELi33ELi32ELi16EiPKdS1_PdEviT6_lT7_lT5_lS4_lS5_lS3_lT8_i.numbered_sgpr, 46
	.set _ZL26rocblas_hemvn_kernel_lowerILb0ELi64ELi4ELi33ELi32ELi16EiPKdS1_PdEviT6_lT7_lT5_lS4_lS5_lS3_lT8_i.num_named_barrier, 0
	.set _ZL26rocblas_hemvn_kernel_lowerILb0ELi64ELi4ELi33ELi32ELi16EiPKdS1_PdEviT6_lT7_lT5_lS4_lS5_lS3_lT8_i.private_seg_size, 0
	.set _ZL26rocblas_hemvn_kernel_lowerILb0ELi64ELi4ELi33ELi32ELi16EiPKdS1_PdEviT6_lT7_lT5_lS4_lS5_lS3_lT8_i.uses_vcc, 1
	.set _ZL26rocblas_hemvn_kernel_lowerILb0ELi64ELi4ELi33ELi32ELi16EiPKdS1_PdEviT6_lT7_lT5_lS4_lS5_lS3_lT8_i.uses_flat_scratch, 0
	.set _ZL26rocblas_hemvn_kernel_lowerILb0ELi64ELi4ELi33ELi32ELi16EiPKdS1_PdEviT6_lT7_lT5_lS4_lS5_lS3_lT8_i.has_dyn_sized_stack, 0
	.set _ZL26rocblas_hemvn_kernel_lowerILb0ELi64ELi4ELi33ELi32ELi16EiPKdS1_PdEviT6_lT7_lT5_lS4_lS5_lS3_lT8_i.has_recursion, 0
	.set _ZL26rocblas_hemvn_kernel_lowerILb0ELi64ELi4ELi33ELi32ELi16EiPKdS1_PdEviT6_lT7_lT5_lS4_lS5_lS3_lT8_i.has_indirect_call, 0
	.section	.AMDGPU.csdata,"",@progbits
; Kernel info:
; codeLenInByte = 6444
; TotalNumSgprs: 50
; NumVgprs: 113
; ScratchSize: 0
; MemoryBound: 0
; FloatMode: 240
; IeeeMode: 1
; LDSByteSize: 9600 bytes/workgroup (compile time only)
; SGPRBlocks: 12
; VGPRBlocks: 28
; NumSGPRsForWavesPerEU: 97
; NumVGPRsForWavesPerEU: 113
; Occupancy: 2
; WaveLimiterHint : 1
; COMPUTE_PGM_RSRC2:SCRATCH_EN: 0
; COMPUTE_PGM_RSRC2:USER_SGPR: 6
; COMPUTE_PGM_RSRC2:TRAP_HANDLER: 0
; COMPUTE_PGM_RSRC2:TGID_X_EN: 1
; COMPUTE_PGM_RSRC2:TGID_Y_EN: 0
; COMPUTE_PGM_RSRC2:TGID_Z_EN: 1
; COMPUTE_PGM_RSRC2:TIDIG_COMP_CNT: 1
	.section	.text._ZL36rocblas_hemvn_kernel_lower_block_sumILi64EiPKdPddEviT1_lS3_lT2_lT0_lPT3_i,"axG",@progbits,_ZL36rocblas_hemvn_kernel_lower_block_sumILi64EiPKdPddEviT1_lS3_lT2_lT0_lPT3_i,comdat
	.globl	_ZL36rocblas_hemvn_kernel_lower_block_sumILi64EiPKdPddEviT1_lS3_lT2_lT0_lPT3_i ; -- Begin function _ZL36rocblas_hemvn_kernel_lower_block_sumILi64EiPKdPddEviT1_lS3_lT2_lT0_lPT3_i
	.p2align	8
	.type	_ZL36rocblas_hemvn_kernel_lower_block_sumILi64EiPKdPddEviT1_lS3_lT2_lT0_lPT3_i,@function
_ZL36rocblas_hemvn_kernel_lower_block_sumILi64EiPKdPddEviT1_lS3_lT2_lT0_lPT3_i: ; @_ZL36rocblas_hemvn_kernel_lower_block_sumILi64EiPKdPddEviT1_lS3_lT2_lT0_lPT3_i
; %bb.0:
	s_load_dwordx8 s[8:15], s[4:5], 0x8
	s_waitcnt lgkmcnt(0)
	s_mul_i32 s0, s11, s7
	s_mul_hi_u32 s1, s10, s7
	s_add_i32 s1, s1, s0
	s_mul_i32 s0, s10, s7
	s_lshl_b64 s[0:1], s[0:1], 3
	s_add_u32 s0, s8, s0
	s_addc_u32 s1, s9, s1
	s_load_dwordx2 s[2:3], s[0:1], 0x0
	s_mul_i32 s0, s15, s7
	s_mul_hi_u32 s1, s14, s7
	s_add_i32 s1, s1, s0
	s_mul_i32 s0, s14, s7
	s_lshl_b64 s[0:1], s[0:1], 3
	s_add_u32 s0, s12, s0
	s_addc_u32 s1, s13, s1
	s_load_dwordx2 s[8:9], s[0:1], 0x0
	s_waitcnt lgkmcnt(0)
	v_cmp_eq_f64_e64 s[0:1], s[2:3], 0
	v_cmp_eq_f64_e64 s[10:11], s[8:9], 1.0
	s_and_b64 s[0:1], s[0:1], s[10:11]
	s_and_b64 vcc, exec, s[0:1]
	s_cbranch_vccnz .LBB109_19
; %bb.1:
	s_load_dwordx2 s[0:1], s[4:5], 0x40
	s_load_dwordx4 s[16:19], s[4:5], 0x28
	s_load_dword s20, s[4:5], 0x38
	s_load_dword s12, s[4:5], 0x0
	v_cmp_neq_f64_e64 s[14:15], s[2:3], 0
	s_waitcnt lgkmcnt(0)
	s_mul_i32 s1, s1, s7
	s_mul_hi_u32 s10, s0, s7
	s_add_i32 s1, s10, s1
	s_mul_i32 s0, s0, s7
	s_lshl_b64 s[0:1], s[0:1], 3
	s_add_u32 s10, s16, s0
	s_addc_u32 s11, s17, s1
	s_lshl_b64 s[0:1], s[18:19], 3
	s_add_u32 s18, s10, s0
	v_lshl_or_b32 v6, s6, 6, v0
	s_addc_u32 s19, s11, s1
	s_mov_b64 s[10:11], 0
	s_and_b64 vcc, exec, s[14:15]
	v_cmp_gt_i32_e64 s[0:1], s12, v6
	s_cbranch_vccnz .LBB109_6
; %bb.2:
	s_mov_b64 s[14:15], 0
                                        ; implicit-def: $vgpr2_vgpr3
                                        ; implicit-def: $vgpr0_vgpr1
	s_and_saveexec_b64 s[16:17], s[0:1]
	s_cbranch_execz .LBB109_7
; %bb.3:
	v_cmp_eq_f64_e64 s[0:1], s[8:9], 0
	v_mul_lo_u32 v0, s20, v6
	v_mov_b32_e32 v2, 0
	v_mov_b32_e32 v3, 0
	v_ashrrev_i32_e32 v1, 31, v0
	s_and_b64 vcc, exec, s[0:1]
	s_cbranch_vccnz .LBB109_5
; %bb.4:
	v_lshlrev_b64 v[2:3], 3, v[0:1]
	v_mov_b32_e32 v4, s19
	v_add_co_u32_e32 v2, vcc, s18, v2
	v_addc_co_u32_e32 v3, vcc, v4, v3, vcc
	global_load_dwordx2 v[2:3], v[2:3], off
	s_waitcnt vmcnt(0)
	v_mul_f64 v[2:3], s[8:9], v[2:3]
.LBB109_5:
	s_mov_b64 s[10:11], exec
	s_or_b64 exec, exec, s[16:17]
	s_and_b64 vcc, exec, s[14:15]
	s_cbranch_vccnz .LBB109_8
	s_branch .LBB109_17
.LBB109_6:
                                        ; implicit-def: $vgpr2_vgpr3
                                        ; implicit-def: $vgpr0_vgpr1
	s_cbranch_execnz .LBB109_8
	s_branch .LBB109_17
.LBB109_7:
	s_or_b64 exec, exec, s[16:17]
	s_and_b64 vcc, exec, s[14:15]
	s_cbranch_vccz .LBB109_17
.LBB109_8:
	v_cmp_gt_i32_e32 vcc, s12, v6
                                        ; implicit-def: $vgpr2_vgpr3
                                        ; implicit-def: $vgpr0_vgpr1
	s_and_saveexec_b64 s[0:1], vcc
	s_cbranch_execz .LBB109_16
; %bb.9:
	s_load_dword s14, s[4:5], 0x58
	v_mov_b32_e32 v4, 0
	v_mov_b32_e32 v5, 0
	s_waitcnt lgkmcnt(0)
	s_cmp_ge_i32 s6, s14
	s_cbranch_scc1 .LBB109_12
; %bb.10:
	s_ashr_i32 s13, s12, 31
	s_mul_i32 s15, s12, s6
	s_load_dwordx2 s[4:5], s[4:5], 0x48
	v_add_u32_e32 v0, s15, v6
	s_mul_hi_u32 s15, s12, s7
	s_mul_i32 s16, s13, s7
	s_add_i32 s15, s15, s16
	s_mul_i32 s7, s12, s7
	s_mul_i32 s15, s15, s14
	s_mul_hi_u32 s16, s7, s14
	s_add_i32 s17, s16, s15
	s_mul_i32 s16, s7, s14
	v_ashrrev_i32_e32 v1, 31, v0
	s_lshl_b64 s[16:17], s[16:17], 3
	v_lshlrev_b64 v[0:1], 3, v[0:1]
	s_waitcnt lgkmcnt(0)
	s_add_u32 s4, s4, s16
	s_addc_u32 s5, s5, s17
	v_mov_b32_e32 v2, s5
	v_add_co_u32_e32 v0, vcc, s4, v0
	s_lshl_b64 s[4:5], s[12:13], 3
	v_mov_b32_e32 v4, 0
	v_addc_co_u32_e32 v1, vcc, v2, v1, vcc
	v_mov_b32_e32 v5, 0
	v_mov_b32_e32 v2, s5
.LBB109_11:                             ; =>This Inner Loop Header: Depth=1
	global_load_dwordx2 v[7:8], v[0:1], off
	s_add_i32 s6, s6, 1
	v_add_co_u32_e32 v0, vcc, s4, v0
	s_cmp_ge_i32 s6, s14
	v_addc_co_u32_e32 v1, vcc, v1, v2, vcc
	s_waitcnt vmcnt(0)
	v_add_f64 v[4:5], v[4:5], v[7:8]
	s_cbranch_scc0 .LBB109_11
.LBB109_12:
	v_cmp_eq_f64_e64 s[6:7], s[8:9], 0
	v_mul_lo_u32 v0, s20, v6
	s_mov_b64 s[4:5], 0
	v_ashrrev_i32_e32 v1, 31, v0
	s_and_b64 vcc, exec, s[6:7]
	s_cbranch_vccz .LBB109_20
; %bb.13:
	v_mul_f64 v[2:3], s[2:3], v[4:5]
	s_andn2_b64 vcc, exec, s[4:5]
	s_cbranch_vccnz .LBB109_15
.LBB109_14:
	v_lshlrev_b64 v[2:3], 3, v[0:1]
	v_mov_b32_e32 v6, s19
	v_add_co_u32_e32 v2, vcc, s18, v2
	v_addc_co_u32_e32 v3, vcc, v6, v3, vcc
	global_load_dwordx2 v[2:3], v[2:3], off
	s_waitcnt vmcnt(0)
	v_mul_f64 v[2:3], s[8:9], v[2:3]
	v_fma_f64 v[2:3], s[2:3], v[4:5], v[2:3]
.LBB109_15:
	s_or_b64 s[10:11], s[10:11], exec
.LBB109_16:
	s_or_b64 exec, exec, s[0:1]
.LBB109_17:
	s_and_saveexec_b64 s[0:1], s[10:11]
	s_cbranch_execz .LBB109_19
; %bb.18:
	v_lshlrev_b64 v[0:1], 3, v[0:1]
	v_mov_b32_e32 v4, s19
	v_add_co_u32_e32 v0, vcc, s18, v0
	v_addc_co_u32_e32 v1, vcc, v4, v1, vcc
	global_store_dwordx2 v[0:1], v[2:3], off
.LBB109_19:
	s_endpgm
.LBB109_20:
                                        ; implicit-def: $vgpr2_vgpr3
	s_branch .LBB109_14
	.section	.rodata,"a",@progbits
	.p2align	6, 0x0
	.amdhsa_kernel _ZL36rocblas_hemvn_kernel_lower_block_sumILi64EiPKdPddEviT1_lS3_lT2_lT0_lPT3_i
		.amdhsa_group_segment_fixed_size 0
		.amdhsa_private_segment_fixed_size 0
		.amdhsa_kernarg_size 344
		.amdhsa_user_sgpr_count 6
		.amdhsa_user_sgpr_private_segment_buffer 1
		.amdhsa_user_sgpr_dispatch_ptr 0
		.amdhsa_user_sgpr_queue_ptr 0
		.amdhsa_user_sgpr_kernarg_segment_ptr 1
		.amdhsa_user_sgpr_dispatch_id 0
		.amdhsa_user_sgpr_flat_scratch_init 0
		.amdhsa_user_sgpr_private_segment_size 0
		.amdhsa_uses_dynamic_stack 0
		.amdhsa_system_sgpr_private_segment_wavefront_offset 0
		.amdhsa_system_sgpr_workgroup_id_x 1
		.amdhsa_system_sgpr_workgroup_id_y 0
		.amdhsa_system_sgpr_workgroup_id_z 1
		.amdhsa_system_sgpr_workgroup_info 0
		.amdhsa_system_vgpr_workitem_id 0
		.amdhsa_next_free_vgpr 9
		.amdhsa_next_free_sgpr 21
		.amdhsa_reserve_vcc 1
		.amdhsa_reserve_flat_scratch 0
		.amdhsa_float_round_mode_32 0
		.amdhsa_float_round_mode_16_64 0
		.amdhsa_float_denorm_mode_32 3
		.amdhsa_float_denorm_mode_16_64 3
		.amdhsa_dx10_clamp 1
		.amdhsa_ieee_mode 1
		.amdhsa_fp16_overflow 0
		.amdhsa_exception_fp_ieee_invalid_op 0
		.amdhsa_exception_fp_denorm_src 0
		.amdhsa_exception_fp_ieee_div_zero 0
		.amdhsa_exception_fp_ieee_overflow 0
		.amdhsa_exception_fp_ieee_underflow 0
		.amdhsa_exception_fp_ieee_inexact 0
		.amdhsa_exception_int_div_zero 0
	.end_amdhsa_kernel
	.section	.text._ZL36rocblas_hemvn_kernel_lower_block_sumILi64EiPKdPddEviT1_lS3_lT2_lT0_lPT3_i,"axG",@progbits,_ZL36rocblas_hemvn_kernel_lower_block_sumILi64EiPKdPddEviT1_lS3_lT2_lT0_lPT3_i,comdat
.Lfunc_end109:
	.size	_ZL36rocblas_hemvn_kernel_lower_block_sumILi64EiPKdPddEviT1_lS3_lT2_lT0_lPT3_i, .Lfunc_end109-_ZL36rocblas_hemvn_kernel_lower_block_sumILi64EiPKdPddEviT1_lS3_lT2_lT0_lPT3_i
                                        ; -- End function
	.set _ZL36rocblas_hemvn_kernel_lower_block_sumILi64EiPKdPddEviT1_lS3_lT2_lT0_lPT3_i.num_vgpr, 9
	.set _ZL36rocblas_hemvn_kernel_lower_block_sumILi64EiPKdPddEviT1_lS3_lT2_lT0_lPT3_i.num_agpr, 0
	.set _ZL36rocblas_hemvn_kernel_lower_block_sumILi64EiPKdPddEviT1_lS3_lT2_lT0_lPT3_i.numbered_sgpr, 21
	.set _ZL36rocblas_hemvn_kernel_lower_block_sumILi64EiPKdPddEviT1_lS3_lT2_lT0_lPT3_i.num_named_barrier, 0
	.set _ZL36rocblas_hemvn_kernel_lower_block_sumILi64EiPKdPddEviT1_lS3_lT2_lT0_lPT3_i.private_seg_size, 0
	.set _ZL36rocblas_hemvn_kernel_lower_block_sumILi64EiPKdPddEviT1_lS3_lT2_lT0_lPT3_i.uses_vcc, 1
	.set _ZL36rocblas_hemvn_kernel_lower_block_sumILi64EiPKdPddEviT1_lS3_lT2_lT0_lPT3_i.uses_flat_scratch, 0
	.set _ZL36rocblas_hemvn_kernel_lower_block_sumILi64EiPKdPddEviT1_lS3_lT2_lT0_lPT3_i.has_dyn_sized_stack, 0
	.set _ZL36rocblas_hemvn_kernel_lower_block_sumILi64EiPKdPddEviT1_lS3_lT2_lT0_lPT3_i.has_recursion, 0
	.set _ZL36rocblas_hemvn_kernel_lower_block_sumILi64EiPKdPddEviT1_lS3_lT2_lT0_lPT3_i.has_indirect_call, 0
	.section	.AMDGPU.csdata,"",@progbits
; Kernel info:
; codeLenInByte = 692
; TotalNumSgprs: 25
; NumVgprs: 9
; ScratchSize: 0
; MemoryBound: 0
; FloatMode: 240
; IeeeMode: 1
; LDSByteSize: 0 bytes/workgroup (compile time only)
; SGPRBlocks: 3
; VGPRBlocks: 2
; NumSGPRsForWavesPerEU: 25
; NumVGPRsForWavesPerEU: 9
; Occupancy: 10
; WaveLimiterHint : 0
; COMPUTE_PGM_RSRC2:SCRATCH_EN: 0
; COMPUTE_PGM_RSRC2:USER_SGPR: 6
; COMPUTE_PGM_RSRC2:TRAP_HANDLER: 0
; COMPUTE_PGM_RSRC2:TGID_X_EN: 1
; COMPUTE_PGM_RSRC2:TGID_Y_EN: 0
; COMPUTE_PGM_RSRC2:TGID_Z_EN: 1
; COMPUTE_PGM_RSRC2:TIDIG_COMP_CNT: 0
	.section	.text._ZL26rocblas_hemvn_kernel_lowerILb0ELi64ELi4ELi33ELi32ELi16EldPKdPdEviT6_lT7_lT5_lS4_lS5_lS3_lT8_i,"axG",@progbits,_ZL26rocblas_hemvn_kernel_lowerILb0ELi64ELi4ELi33ELi32ELi16EldPKdPdEviT6_lT7_lT5_lS4_lS5_lS3_lT8_i,comdat
	.globl	_ZL26rocblas_hemvn_kernel_lowerILb0ELi64ELi4ELi33ELi32ELi16EldPKdPdEviT6_lT7_lT5_lS4_lS5_lS3_lT8_i ; -- Begin function _ZL26rocblas_hemvn_kernel_lowerILb0ELi64ELi4ELi33ELi32ELi16EldPKdPdEviT6_lT7_lT5_lS4_lS5_lS3_lT8_i
	.p2align	8
	.type	_ZL26rocblas_hemvn_kernel_lowerILb0ELi64ELi4ELi33ELi32ELi16EldPKdPdEviT6_lT7_lT5_lS4_lS5_lS3_lT8_i,@function
_ZL26rocblas_hemvn_kernel_lowerILb0ELi64ELi4ELi33ELi32ELi16EldPKdPdEviT6_lT7_lT5_lS4_lS5_lS3_lT8_i: ; @_ZL26rocblas_hemvn_kernel_lowerILb0ELi64ELi4ELi33ELi32ELi16EldPKdPdEviT6_lT7_lT5_lS4_lS5_lS3_lT8_i
; %bb.0:
	s_load_dwordx2 s[2:3], s[4:5], 0x84
	s_add_u32 s0, s4, 0x78
	s_addc_u32 s1, s5, 0
	s_waitcnt lgkmcnt(0)
	s_lshr_b32 s8, s2, 16
	s_and_b32 s2, s2, 0xffff
	s_and_b32 s3, s3, 0xffff
	s_mul_i32 s2, s8, s2
	s_mul_i32 s2, s2, s3
	s_cmpk_lg_i32 s2, 0x100
	s_cbranch_scc1 .LBB110_78
; %bb.1:
	s_load_dwordx2 s[2:3], s[4:5], 0x8
	s_load_dwordx2 s[8:9], s[4:5], 0x58
	s_waitcnt lgkmcnt(0)
	v_cmp_eq_f64_e64 s[2:3], s[2:3], 0
	v_cmp_eq_f64_e64 s[8:9], s[8:9], 1.0
	s_and_b64 s[8:9], s[2:3], s[8:9]
	s_and_b64 vcc, exec, s[8:9]
	s_cbranch_vccnz .LBB110_78
; %bb.2:
	s_and_b64 vcc, exec, s[2:3]
	s_cbranch_vccnz .LBB110_78
; %bb.3:
	s_load_dwordx16 s[36:51], s[4:5], 0x18
	s_load_dword s52, s[0:1], 0x0
	s_load_dword s33, s[4:5], 0x0
	s_waitcnt lgkmcnt(0)
	s_mul_i32 s1, s51, s7
	s_mul_hi_u32 s2, s50, s7
	s_mul_i32 s0, s50, s7
	s_add_i32 s1, s2, s1
	s_lshl_b64 s[0:1], s[0:1], 3
	s_add_u32 s2, s44, s0
	s_addc_u32 s3, s45, s1
	s_lshl_b64 s[0:1], s[46:47], 3
	s_add_u32 s2, s2, s0
	s_addc_u32 s3, s3, s1
	s_lshl_b32 s26, s6, 6
	s_ashr_i32 s44, s33, 31
	s_lshr_b32 s0, s44, 26
	v_add_u32_e32 v34, s26, v0
	s_add_i32 s0, s33, s0
	v_ashrrev_i32_e32 v35, 31, v34
	s_and_b32 s9, s0, 0xffffffc0
	v_mul_lo_u32 v4, s48, v35
	v_mul_lo_u32 v5, s49, v34
	v_mad_u64_u32 v[2:3], s[0:1], s48, v34, 0
	s_add_i32 s8, s52, -1
	s_sub_i32 s0, s33, s9
	v_add3_u32 v3, v3, v4, v5
	v_lshlrev_b64 v[2:3], 3, v[2:3]
	s_cmp_eq_u32 s6, s8
	v_mov_b32_e32 v4, s3
	v_add_co_u32_e32 v18, vcc, s2, v2
	s_cselect_b32 s24, s0, 0
	v_addc_co_u32_e32 v19, vcc, v4, v3, vcc
	v_cmp_ne_u32_e64 s[0:1], 0, v1
	v_cmp_eq_u32_e64 s[2:3], 0, v1
	s_and_saveexec_b64 s[8:9], s[2:3]
	s_cbranch_execz .LBB110_7
; %bb.4:
	s_cmp_eq_u32 s24, 0
	s_cselect_b64 s[10:11], -1, 0
	v_cmp_gt_i32_e32 vcc, s24, v0
	v_mov_b32_e32 v2, 0
	v_mov_b32_e32 v3, 0
	s_or_b64 s[12:13], s[10:11], vcc
	s_and_saveexec_b64 s[10:11], s[12:13]
	s_cbranch_execz .LBB110_6
; %bb.5:
	global_load_dwordx2 v[2:3], v[18:19], off
.LBB110_6:
	s_or_b64 exec, exec, s[10:11]
	v_lshlrev_b32_e32 v4, 3, v0
	s_waitcnt vmcnt(0)
	ds_write_b64 v4, v[2:3] offset:9088
.LBB110_7:
	s_or_b64 exec, exec, s[8:9]
	v_lshl_add_u32 v24, v1, 6, v0
	s_mul_i32 s8, s43, s7
	s_mul_hi_u32 s9, s42, s7
	v_and_b32_e32 v2, 31, v0
	v_lshrrev_b32_e32 v11, 5, v24
	s_add_i32 s9, s9, s8
	s_mul_i32 s8, s42, s7
	v_mov_b32_e32 v3, 0
	s_lshl_b64 s[8:9], s[8:9], 3
	v_mad_u64_u32 v[3:4], s[10:11], s40, v11, v[2:3]
	s_add_u32 s12, s36, s8
	s_addc_u32 s13, s37, s9
	s_lshl_b64 s[8:9], s[38:39], 3
	s_add_u32 s10, s12, s8
	s_addc_u32 s11, s13, s9
	v_mad_u64_u32 v[4:5], s[8:9], s41, v11, v[4:5]
	s_ashr_i32 s27, s26, 31
	s_lshl_b64 s[8:9], s[26:27], 3
	s_add_u32 s8, s10, s8
	v_lshlrev_b64 v[20:21], 3, v[3:4]
	s_addc_u32 s9, s11, s9
	v_mov_b32_e32 v3, s9
	v_add_co_u32_e32 v4, vcc, s8, v20
	s_mul_hi_u32 s8, s40, s26
	s_mul_i32 s9, s40, s27
	s_add_i32 s8, s8, s9
	s_mul_i32 s9, s41, s26
	s_add_i32 s9, s8, s9
	s_mul_i32 s8, s40, s26
	v_addc_co_u32_e32 v5, vcc, v3, v21, vcc
	s_lshl_b64 s[28:29], s[8:9], 3
	v_mov_b32_e32 v6, s29
	v_add_co_u32_e32 v3, vcc, s28, v4
	s_cmp_lg_u32 s24, 0
	v_addc_co_u32_e32 v4, vcc, v5, v6, vcc
	s_cselect_b64 s[30:31], -1, 0
	s_cmp_eq_u32 s24, 0
	s_cselect_b64 s[18:19], -1, 0
	s_mov_b64 s[8:9], -1
	s_and_b64 vcc, exec, s[30:31]
	s_cbranch_vccnz .LBB110_9
; %bb.8:
	s_lshl_b64 s[8:9], s[40:41], 6
	v_mov_b32_e32 v10, s9
	v_add_co_u32_e32 v5, vcc, s8, v3
	v_addc_co_u32_e32 v6, vcc, v4, v10, vcc
	v_add_co_u32_e32 v7, vcc, s8, v5
	v_addc_co_u32_e32 v8, vcc, v6, v10, vcc
	;; [unrolled: 2-line block ×3, first 2 shown]
	global_load_dwordx2 v[12:13], v[3:4], off
	global_load_dwordx2 v[14:15], v[5:6], off
	;; [unrolled: 1-line block ×4, first 2 shown]
	v_mul_u32_u24_e32 v5, 0x108, v11
	v_lshl_add_u32 v5, v2, 3, v5
	s_mov_b64 s[8:9], 0
	s_waitcnt vmcnt(3)
	ds_write_b64 v5, v[12:13]
	s_waitcnt vmcnt(2)
	ds_write_b64 v5, v[14:15] offset:2112
	s_waitcnt vmcnt(1)
	ds_write_b64 v5, v[16:17] offset:4224
	;; [unrolled: 2-line block ×3, first 2 shown]
.LBB110_9:
	s_andn2_b64 vcc, exec, s[8:9]
	s_cbranch_vccnz .LBB110_19
; %bb.10:
	v_lshlrev_b32_e32 v12, 3, v2
	v_sub_co_u32_e32 v5, vcc, v3, v12
	s_ashr_i32 s25, s24, 31
	v_subbrev_co_u32_e32 v6, vcc, 0, v4, vcc
	s_lshl_b64 s[10:11], s[24:25], 3
	v_mov_b32_e32 v7, s11
	v_add_co_u32_e32 v5, vcc, s10, v5
	v_addc_co_u32_e32 v6, vcc, v6, v7, vcc
	v_add_co_u32_e32 v5, vcc, -8, v5
	v_addc_co_u32_e32 v6, vcc, -1, v6, vcc
	v_cmp_gt_i32_e32 vcc, s24, v2
	v_mov_b32_e32 v7, 0
	v_mov_b32_e32 v9, 0
	v_cndmask_b32_e32 v6, v6, v4, vcc
	v_cndmask_b32_e32 v5, v5, v3, vcc
	v_mov_b32_e32 v8, 0
	v_mov_b32_e32 v10, 0
	v_cmp_gt_i32_e64 s[8:9], s24, v11
	s_and_saveexec_b64 s[12:13], s[8:9]
	s_cbranch_execz .LBB110_12
; %bb.11:
	global_load_dwordx2 v[9:10], v[5:6], off
.LBB110_12:
	s_or_b64 exec, exec, s[12:13]
	v_lshlrev_b32_e32 v13, 3, v2
	s_movk_i32 s8, 0x108
	v_mad_u32_u24 v15, v11, s8, v13
	s_waitcnt vmcnt(0)
	ds_write_b64 v15, v[9:10]
	v_add_u32_e32 v9, 8, v11
	v_mul_u32_u24_e32 v14, 0x108, v11
	v_cmp_gt_i32_e64 s[8:9], s24, v9
	s_and_saveexec_b64 s[12:13], s[8:9]
	s_cbranch_execz .LBB110_14
; %bb.13:
	s_lshl_b64 s[8:9], s[40:41], 6
	v_mov_b32_e32 v8, s9
	v_add_co_u32_e64 v7, s[8:9], s8, v5
	v_addc_co_u32_e64 v8, s[8:9], v6, v8, s[8:9]
	global_load_dwordx2 v[7:8], v[7:8], off
.LBB110_14:
	s_or_b64 exec, exec, s[12:13]
	v_add_u32_e32 v13, v14, v13
	s_waitcnt vmcnt(0)
	ds_write_b64 v13, v[7:8] offset:2112
	v_add_u32_e32 v14, 16, v11
	v_mov_b32_e32 v7, 0
	v_mov_b32_e32 v9, 0
	;; [unrolled: 1-line block ×4, first 2 shown]
	v_cmp_gt_i32_e64 s[8:9], s24, v14
	s_and_saveexec_b64 s[12:13], s[8:9]
	s_cbranch_execz .LBB110_16
; %bb.15:
	s_lshl_b64 s[8:9], s[40:41], 7
	v_mov_b32_e32 v10, s9
	v_add_co_u32_e64 v9, s[8:9], s8, v5
	v_addc_co_u32_e64 v10, s[8:9], v6, v10, s[8:9]
	global_load_dwordx2 v[9:10], v[9:10], off
.LBB110_16:
	s_or_b64 exec, exec, s[12:13]
	s_waitcnt vmcnt(0)
	ds_write_b64 v13, v[9:10] offset:4224
	v_add_u32_e32 v9, 24, v11
	v_cmp_gt_i32_e64 s[8:9], s24, v9
	s_and_saveexec_b64 s[12:13], s[8:9]
	s_cbranch_execz .LBB110_18
; %bb.17:
	v_mov_b32_e32 v7, 0xc0
	v_mad_u64_u32 v[7:8], s[8:9], s40, v7, v[5:6]
	s_mul_i32 s8, s41, 0xc0
	v_add_u32_e32 v8, s8, v8
	global_load_dwordx2 v[7:8], v[7:8], off
.LBB110_18:
	s_or_b64 exec, exec, s[12:13]
	v_add_co_u32_e64 v5, s[8:9], v5, v12
	v_addc_co_u32_e64 v6, s[8:9], 0, v6, s[8:9]
	s_waitcnt vmcnt(0)
	ds_write_b64 v13, v[7:8] offset:6336
	v_mov_b32_e32 v7, s11
	v_subrev_co_u32_e64 v5, s[8:9], s10, v5
	v_subb_co_u32_e64 v6, s[8:9], v6, v7, s[8:9]
	v_add_co_u32_e64 v5, s[8:9], 8, v5
	v_addc_co_u32_e64 v6, s[8:9], 0, v6, s[8:9]
	v_cndmask_b32_e32 v4, v6, v4, vcc
	v_cndmask_b32_e32 v3, v5, v3, vcc
.LBB110_19:
	v_lshlrev_b32_e32 v9, 2, v11
	v_lshlrev_b32_e32 v10, 3, v2
	v_lshl_or_b32 v5, v2, 8, v10
	v_cmp_lt_u32_e64 s[8:9], v9, v2
	s_waitcnt lgkmcnt(0)
	s_barrier
	s_and_saveexec_b64 s[10:11], s[8:9]
	s_cbranch_execz .LBB110_21
; %bb.20:
	s_movk_i32 s12, 0x420
	v_mad_u32_u24 v6, v11, s12, v10
	ds_read_b64 v[6:7], v6
	v_lshl_add_u32 v8, v9, 3, v5
	s_waitcnt lgkmcnt(0)
	ds_write_b64 v8, v[6:7]
.LBB110_21:
	s_or_b64 exec, exec, s[10:11]
	v_or_b32_e32 v12, 1, v9
	v_cmp_lt_u32_e64 s[10:11], v12, v2
	s_and_saveexec_b64 s[12:13], s[10:11]
	s_cbranch_execz .LBB110_23
; %bb.22:
	s_movk_i32 s14, 0x108
	v_mad_u32_u24 v6, v12, s14, v10
	ds_read_b64 v[6:7], v6
	v_lshl_add_u32 v8, v9, 3, v5
	s_waitcnt lgkmcnt(0)
	ds_write_b64 v8, v[6:7] offset:8
.LBB110_23:
	s_or_b64 exec, exec, s[12:13]
	v_or_b32_e32 v6, 2, v9
	v_cmp_lt_u32_e64 s[12:13], v6, v2
	s_and_saveexec_b64 s[14:15], s[12:13]
	s_cbranch_execz .LBB110_25
; %bb.24:
	s_movk_i32 s16, 0x108
	v_mad_u32_u24 v6, v6, s16, v10
	ds_read_b64 v[6:7], v6
	v_lshl_add_u32 v8, v9, 3, v5
	s_waitcnt lgkmcnt(0)
	ds_write_b64 v8, v[6:7] offset:16
.LBB110_25:
	s_or_b64 exec, exec, s[14:15]
	v_or_b32_e32 v7, 3, v9
	v_cmp_lt_u32_e64 s[14:15], v7, v2
	v_cmp_ge_u32_e32 vcc, v7, v2
                                        ; implicit-def: $vgpr6
	s_and_saveexec_b64 s[16:17], vcc
	s_xor_b64 s[16:17], exec, s[16:17]
; %bb.26:
	v_mul_u32_u24_e32 v6, 0x108, v7
                                        ; implicit-def: $vgpr5
                                        ; implicit-def: $vgpr7
; %bb.27:
	s_andn2_saveexec_b64 s[16:17], s[16:17]
	s_cbranch_execz .LBB110_29
; %bb.28:
	s_movk_i32 s20, 0x108
	v_mad_u32_u24 v6, v7, s20, v10
	ds_read_b64 v[13:14], v6
	v_lshl_add_u32 v5, v9, 3, v5
	v_mul_u32_u24_e32 v6, 0x108, v7
	s_waitcnt lgkmcnt(0)
	ds_write_b64 v5, v[13:14] offset:24
.LBB110_29:
	s_or_b64 exec, exec, s[16:17]
	s_movk_i32 s16, 0x420
	v_mad_u32_u24 v5, v11, s16, v10
	s_waitcnt lgkmcnt(0)
	s_barrier
	v_lshlrev_b32_e32 v16, 3, v9
	ds_read_b64 v[7:8], v5
	ds_read_b128 v[25:28], v16 offset:9088
	s_movk_i32 s16, 0x108
	v_mad_u32_u24 v5, v12, s16, v10
	ds_read2_b64 v[29:32], v5 offset1:33
	v_add_u32_e32 v13, v10, v6
	s_waitcnt lgkmcnt(1)
	v_fma_f64 v[7:8], v[7:8], v[25:26], 0
	v_mov_b32_e32 v36, 0
	v_mov_b32_e32 v37, 0
	v_cmp_gt_u32_e64 s[20:21], 32, v24
	ds_read_b64 v[5:6], v13
	s_waitcnt lgkmcnt(1)
	v_fma_f64 v[7:8], v[29:30], v[27:28], v[7:8]
	ds_read_b128 v[25:28], v16 offset:9104
	s_waitcnt lgkmcnt(0)
	s_barrier
	v_fma_f64 v[7:8], v[31:32], v[25:26], v[7:8]
	v_fma_f64 v[5:6], v[5:6], v[27:28], v[7:8]
	v_mul_u32_u24_e32 v7, 33, v2
	v_lshlrev_b32_e32 v25, 3, v7
	v_lshl_add_u32 v26, v11, 3, v25
	ds_write_b64 v26, v[5:6]
	s_waitcnt lgkmcnt(0)
	s_barrier
	s_and_saveexec_b64 s[16:17], s[20:21]
	s_cbranch_execz .LBB110_31
; %bb.30:
	ds_read2_b64 v[5:8], v25 offset1:1
	ds_read2_b64 v[27:30], v25 offset0:2 offset1:3
	s_waitcnt lgkmcnt(1)
	v_add_f64 v[5:6], v[5:6], v[7:8]
	s_waitcnt lgkmcnt(0)
	v_add_f64 v[5:6], v[5:6], v[27:28]
	v_add_f64 v[14:15], v[5:6], v[29:30]
	ds_read2_b64 v[5:8], v25 offset0:4 offset1:5
	ds_read2_b64 v[27:30], v25 offset0:6 offset1:7
	s_waitcnt lgkmcnt(1)
	v_add_f64 v[5:6], v[14:15], v[5:6]
	v_add_f64 v[5:6], v[5:6], v[7:8]
	s_waitcnt lgkmcnt(0)
	v_add_f64 v[5:6], v[5:6], v[27:28]
	v_add_f64 v[36:37], v[5:6], v[29:30]
.LBB110_31:
	s_or_b64 exec, exec, s[16:17]
	s_lshl_b64 s[22:23], s[40:41], 8
	v_mov_b32_e32 v5, s23
	v_add_co_u32_e32 v3, vcc, s22, v3
	v_addc_co_u32_e32 v4, vcc, v4, v5, vcc
	v_add_co_u32_e32 v14, vcc, 0x100, v3
	v_addc_co_u32_e32 v15, vcc, 0, v4, vcc
	v_cndmask_b32_e64 v5, 0, 1, s[18:19]
	v_cmp_ne_u32_e64 s[16:17], 1, v5
	s_andn2_b64 vcc, exec, s[18:19]
	s_mov_b64 s[18:19], -1
	s_barrier
	s_cbranch_vccnz .LBB110_33
; %bb.32:
	s_lshl_b64 s[18:19], s[40:41], 6
	v_mov_b32_e32 v17, s19
	v_add_co_u32_e32 v5, vcc, s18, v3
	v_addc_co_u32_e32 v6, vcc, v4, v17, vcc
	v_add_co_u32_e32 v7, vcc, s18, v5
	v_addc_co_u32_e32 v8, vcc, v6, v17, vcc
	;; [unrolled: 2-line block ×3, first 2 shown]
	global_load_dwordx2 v[27:28], v[3:4], off offset:256
	global_load_dwordx2 v[29:30], v[5:6], off offset:256
	;; [unrolled: 1-line block ×4, first 2 shown]
	s_movk_i32 s18, 0x108
	v_mad_u32_u24 v5, v11, s18, v10
	s_mov_b64 s[18:19], 0
	s_waitcnt vmcnt(3)
	ds_write_b64 v5, v[27:28]
	s_waitcnt vmcnt(2)
	ds_write_b64 v5, v[29:30] offset:2112
	s_waitcnt vmcnt(1)
	ds_write_b64 v5, v[31:32] offset:4224
	;; [unrolled: 2-line block ×3, first 2 shown]
.LBB110_33:
	s_andn2_b64 vcc, exec, s[18:19]
	s_cbranch_vccnz .LBB110_43
; %bb.34:
	v_lshlrev_b32_e32 v17, 3, v2
	v_sub_co_u32_e32 v3, vcc, v3, v17
	s_ashr_i32 s25, s24, 31
	v_subbrev_co_u32_e32 v4, vcc, 0, v4, vcc
	s_lshl_b64 s[34:35], s[24:25], 3
	v_mov_b32_e32 v6, s35
	v_add_co_u32_e32 v3, vcc, s34, v3
	v_addc_co_u32_e32 v4, vcc, v4, v6, vcc
	v_or_b32_e32 v5, 32, v2
	v_add_co_u32_e32 v3, vcc, -8, v3
	v_addc_co_u32_e32 v4, vcc, -1, v4, vcc
	v_cmp_gt_i32_e64 s[18:19], s24, v5
	s_sub_i32 s25, s24, 32
	v_mov_b32_e32 v5, 0
	v_mov_b32_e32 v7, 0
	v_cndmask_b32_e64 v4, v4, v15, s[18:19]
	v_cndmask_b32_e64 v3, v3, v14, s[18:19]
	v_mov_b32_e32 v6, 0
	v_mov_b32_e32 v8, 0
	v_cmp_gt_i32_e32 vcc, s25, v11
	s_and_saveexec_b64 s[36:37], vcc
	s_cbranch_execz .LBB110_36
; %bb.35:
	global_load_dwordx2 v[7:8], v[3:4], off
.LBB110_36:
	s_or_b64 exec, exec, s[36:37]
	s_movk_i32 s36, 0x108
	v_mad_u32_u24 v23, v11, s36, v10
	s_waitcnt vmcnt(0)
	ds_write_b64 v23, v[7:8]
	v_add_u32_e32 v7, 8, v11
	v_mul_u32_u24_e32 v22, 0x108, v11
	v_cmp_gt_i32_e32 vcc, s25, v7
	s_and_saveexec_b64 s[36:37], vcc
	s_cbranch_execz .LBB110_38
; %bb.37:
	s_lshl_b64 s[38:39], s[40:41], 6
	v_mov_b32_e32 v6, s39
	v_add_co_u32_e32 v5, vcc, s38, v3
	v_addc_co_u32_e32 v6, vcc, v4, v6, vcc
	global_load_dwordx2 v[5:6], v[5:6], off
.LBB110_38:
	s_or_b64 exec, exec, s[36:37]
	v_add_u32_e32 v22, v22, v10
	s_waitcnt vmcnt(0)
	ds_write_b64 v22, v[5:6] offset:2112
	v_add_u32_e32 v23, 16, v11
	v_mov_b32_e32 v5, 0
	v_mov_b32_e32 v7, 0
	;; [unrolled: 1-line block ×4, first 2 shown]
	v_cmp_gt_i32_e32 vcc, s25, v23
	s_and_saveexec_b64 s[36:37], vcc
	s_cbranch_execz .LBB110_40
; %bb.39:
	s_lshl_b64 s[38:39], s[40:41], 7
	v_mov_b32_e32 v8, s39
	v_add_co_u32_e32 v7, vcc, s38, v3
	v_addc_co_u32_e32 v8, vcc, v4, v8, vcc
	global_load_dwordx2 v[7:8], v[7:8], off
.LBB110_40:
	s_or_b64 exec, exec, s[36:37]
	s_waitcnt vmcnt(0)
	ds_write_b64 v22, v[7:8] offset:4224
	v_add_u32_e32 v7, 24, v11
	v_cmp_gt_i32_e32 vcc, s25, v7
	s_and_saveexec_b64 s[36:37], vcc
	s_cbranch_execz .LBB110_42
; %bb.41:
	v_mov_b32_e32 v5, 0xc0
	v_mad_u64_u32 v[5:6], s[38:39], s40, v5, v[3:4]
	s_mul_i32 s25, s41, 0xc0
	v_add_u32_e32 v6, s25, v6
	global_load_dwordx2 v[5:6], v[5:6], off
.LBB110_42:
	s_or_b64 exec, exec, s[36:37]
	v_add_co_u32_e32 v3, vcc, v3, v17
	v_addc_co_u32_e32 v4, vcc, 0, v4, vcc
	s_waitcnt vmcnt(0)
	ds_write_b64 v22, v[5:6] offset:6336
	v_mov_b32_e32 v5, s35
	v_subrev_co_u32_e32 v3, vcc, s34, v3
	v_subb_co_u32_e32 v4, vcc, v4, v5, vcc
	v_add_co_u32_e32 v3, vcc, 0x108, v3
	v_addc_co_u32_e32 v4, vcc, 0, v4, vcc
	v_cndmask_b32_e64 v15, v4, v15, s[18:19]
	v_cndmask_b32_e64 v14, v3, v14, s[18:19]
.LBB110_43:
	v_mul_u32_u24_e32 v4, 0x420, v11
	v_add_u32_e32 v8, 0x2380, v16
	v_mul_u32_u24_e32 v3, 0x108, v12
	s_lshl_b64 s[18:19], s[40:41], 5
	v_add_u32_e32 v4, v10, v4
	s_waitcnt lgkmcnt(0)
	s_barrier
	s_and_saveexec_b64 s[34:35], s[8:9]
	s_cbranch_execnz .LBB110_52
; %bb.44:
	s_or_b64 exec, exec, s[34:35]
	v_add_u32_e32 v3, v10, v3
	s_and_saveexec_b64 s[8:9], s[10:11]
	s_cbranch_execnz .LBB110_53
.LBB110_45:
	s_or_b64 exec, exec, s[8:9]
	s_and_saveexec_b64 s[8:9], s[12:13]
	s_cbranch_execnz .LBB110_54
.LBB110_46:
	s_or_b64 exec, exec, s[8:9]
	s_and_saveexec_b64 s[8:9], s[14:15]
	s_cbranch_execz .LBB110_48
.LBB110_47:
	ds_read_b64 v[5:6], v13
	v_lshl_add_u32 v7, v9, 3, v25
	s_waitcnt lgkmcnt(0)
	ds_write_b64 v7, v[5:6] offset:24
.LBB110_48:
	s_or_b64 exec, exec, s[8:9]
	s_waitcnt lgkmcnt(0)
	s_barrier
	ds_read_b64 v[16:17], v4
	ds_read_b128 v[4:7], v8 offset:256
	ds_read_b128 v[27:30], v8 offset:272
	ds_read_b64 v[12:13], v13
	ds_read2_b64 v[38:41], v3 offset1:33
	v_cmp_eq_u32_e64 s[8:9], 1, v11
	s_waitcnt lgkmcnt(3)
	v_fma_f64 v[4:5], v[16:17], v[4:5], 0
	s_waitcnt lgkmcnt(0)
	s_barrier
	v_fma_f64 v[3:4], v[38:39], v[6:7], v[4:5]
	v_fma_f64 v[3:4], v[40:41], v[27:28], v[3:4]
	;; [unrolled: 1-line block ×3, first 2 shown]
	ds_write_b64 v26, v[3:4]
	s_waitcnt lgkmcnt(0)
	s_barrier
	s_and_saveexec_b64 s[10:11], s[8:9]
	s_cbranch_execz .LBB110_50
; %bb.49:
	ds_read2_b64 v[3:6], v25 offset1:1
	ds_read2_b64 v[27:30], v25 offset0:2 offset1:3
	s_waitcnt lgkmcnt(1)
	v_add_f64 v[3:4], v[3:4], v[5:6]
	s_waitcnt lgkmcnt(0)
	v_add_f64 v[3:4], v[3:4], v[27:28]
	v_add_f64 v[12:13], v[3:4], v[29:30]
	ds_read2_b64 v[3:6], v25 offset0:4 offset1:5
	ds_read2_b64 v[27:30], v25 offset0:6 offset1:7
	s_waitcnt lgkmcnt(1)
	v_add_f64 v[3:4], v[12:13], v[3:4]
	v_add_f64 v[3:4], v[3:4], v[5:6]
	s_waitcnt lgkmcnt(0)
	v_add_f64 v[3:4], v[3:4], v[27:28]
	v_add_f64 v[36:37], v[3:4], v[29:30]
.LBB110_50:
	s_or_b64 exec, exec, s[10:11]
	s_lshl_b64 s[10:11], s[18:19], 3
	v_mov_b32_e32 v3, s11
	v_subrev_co_u32_e64 v22, s[10:11], s10, v14
	s_and_b64 vcc, exec, s[16:17]
	v_subb_co_u32_e64 v23, s[10:11], v15, v3, s[10:11]
	s_barrier
	s_cbranch_vccnz .LBB110_55
; %bb.51:
	s_lshl_b64 s[10:11], s[40:41], 6
	v_mov_b32_e32 v7, s11
	v_add_co_u32_e32 v3, vcc, s10, v22
	v_addc_co_u32_e32 v4, vcc, v23, v7, vcc
	v_add_co_u32_e32 v5, vcc, s10, v3
	v_addc_co_u32_e32 v6, vcc, v4, v7, vcc
	;; [unrolled: 2-line block ×3, first 2 shown]
	global_load_dwordx2 v[27:28], v[22:23], off
	global_load_dwordx2 v[29:30], v[3:4], off
	;; [unrolled: 1-line block ×4, first 2 shown]
	s_movk_i32 s10, 0x108
	v_mov_b32_e32 v3, 0x840
	v_mov_b32_e32 v4, 0x1080
	;; [unrolled: 1-line block ×3, first 2 shown]
	v_mul_u32_u24_e32 v13, 0x108, v11
	v_add_u32_e32 v12, 8, v11
	v_add_u32_e32 v14, 16, v11
	;; [unrolled: 1-line block ×3, first 2 shown]
	v_mad_u32_u24 v17, v11, s10, v10
	v_mad_u32_u24 v15, v11, s10, v3
	;; [unrolled: 1-line block ×4, first 2 shown]
	v_add_u32_e32 v3, v10, v15
	v_add_u32_e32 v4, v10, v16
	;; [unrolled: 1-line block ×3, first 2 shown]
	s_waitcnt vmcnt(3)
	ds_write_b64 v17, v[27:28]
	s_waitcnt vmcnt(2)
	ds_write_b64 v3, v[29:30]
	;; [unrolled: 2-line block ×4, first 2 shown]
	s_cbranch_execz .LBB110_56
	s_branch .LBB110_65
.LBB110_52:
	ds_read_b64 v[5:6], v4
	v_lshl_add_u32 v7, v9, 3, v25
	s_waitcnt lgkmcnt(0)
	ds_write_b64 v7, v[5:6]
	s_or_b64 exec, exec, s[34:35]
	v_add_u32_e32 v3, v10, v3
	s_and_saveexec_b64 s[8:9], s[10:11]
	s_cbranch_execz .LBB110_45
.LBB110_53:
	ds_read_b64 v[5:6], v3
	v_lshl_add_u32 v7, v9, 3, v25
	s_waitcnt lgkmcnt(0)
	ds_write_b64 v7, v[5:6] offset:8
	s_or_b64 exec, exec, s[8:9]
	s_and_saveexec_b64 s[8:9], s[12:13]
	s_cbranch_execz .LBB110_46
.LBB110_54:
	ds_read_b64 v[5:6], v3 offset:264
	v_lshl_add_u32 v7, v9, 3, v25
	s_waitcnt lgkmcnt(0)
	ds_write_b64 v7, v[5:6] offset:16
	s_or_b64 exec, exec, s[8:9]
	s_and_saveexec_b64 s[8:9], s[14:15]
	s_cbranch_execnz .LBB110_47
	s_branch .LBB110_48
.LBB110_55:
                                        ; implicit-def: $vgpr13
                                        ; implicit-def: $vgpr12
                                        ; implicit-def: $vgpr15
                                        ; implicit-def: $vgpr14
                                        ; implicit-def: $vgpr16
                                        ; implicit-def: $vgpr6
                                        ; implicit-def: $vgpr7
.LBB110_56:
	v_lshlrev_b32_e32 v17, 3, v2
	v_or_b32_e32 v3, 32, v2
	v_sub_co_u32_e32 v2, vcc, v22, v17
	s_ashr_i32 s25, s24, 31
	v_subbrev_co_u32_e32 v4, vcc, 0, v23, vcc
	s_lshl_b64 s[12:13], s[24:25], 3
	v_mov_b32_e32 v5, s13
	v_add_co_u32_e32 v2, vcc, s12, v2
	v_addc_co_u32_e32 v4, vcc, v4, v5, vcc
	v_add_co_u32_e32 v2, vcc, 0xfffffef8, v2
	v_addc_co_u32_e32 v4, vcc, -1, v4, vcc
	v_cmp_gt_i32_e64 s[10:11], s24, v3
	v_cndmask_b32_e64 v3, v4, v23, s[10:11]
	v_mov_b32_e32 v4, 0
	v_mov_b32_e32 v6, 0
	v_cndmask_b32_e64 v2, v2, v22, s[10:11]
	v_mov_b32_e32 v5, 0
	v_mov_b32_e32 v7, 0
	v_cmp_gt_i32_e32 vcc, s24, v11
	s_and_saveexec_b64 s[14:15], vcc
	s_cbranch_execz .LBB110_58
; %bb.57:
	global_load_dwordx2 v[6:7], v[2:3], off
.LBB110_58:
	s_or_b64 exec, exec, s[14:15]
	s_movk_i32 s14, 0x108
	v_mad_u32_u24 v12, v11, s14, v10
	s_waitcnt vmcnt(0)
	ds_write_b64 v12, v[6:7]
	v_add_u32_e32 v12, 8, v11
	v_mul_u32_u24_e32 v13, 0x108, v11
	v_cmp_gt_i32_e32 vcc, s24, v12
	s_and_saveexec_b64 s[14:15], vcc
	s_cbranch_execz .LBB110_60
; %bb.59:
	s_lshl_b64 s[16:17], s[40:41], 6
	v_mov_b32_e32 v5, s17
	v_add_co_u32_e32 v4, vcc, s16, v2
	v_addc_co_u32_e32 v5, vcc, v3, v5, vcc
	global_load_dwordx2 v[4:5], v[4:5], off
.LBB110_60:
	s_or_b64 exec, exec, s[14:15]
	v_add_u32_e32 v15, 0x840, v13
	v_add_u32_e32 v6, v10, v15
	s_waitcnt vmcnt(0)
	ds_write_b64 v6, v[4:5]
	v_add_u32_e32 v14, 16, v11
	v_mov_b32_e32 v4, 0
	v_mov_b32_e32 v6, 0
	;; [unrolled: 1-line block ×4, first 2 shown]
	v_cmp_gt_i32_e32 vcc, s24, v14
	s_and_saveexec_b64 s[14:15], vcc
	s_cbranch_execz .LBB110_62
; %bb.61:
	s_lshl_b64 s[16:17], s[40:41], 7
	v_mov_b32_e32 v7, s17
	v_add_co_u32_e32 v6, vcc, s16, v2
	v_addc_co_u32_e32 v7, vcc, v3, v7, vcc
	global_load_dwordx2 v[6:7], v[6:7], off
.LBB110_62:
	s_or_b64 exec, exec, s[14:15]
	v_add_u32_e32 v16, 0x840, v15
	v_add_u32_e32 v27, v10, v16
	s_waitcnt vmcnt(0)
	ds_write_b64 v27, v[6:7]
	v_add_u32_e32 v6, 24, v11
	v_cmp_gt_i32_e32 vcc, s24, v6
	s_and_saveexec_b64 s[14:15], vcc
	s_cbranch_execz .LBB110_64
; %bb.63:
	v_mov_b32_e32 v4, 0xc0
	v_mad_u64_u32 v[4:5], s[16:17], s40, v4, v[2:3]
	s_mul_i32 s16, s41, 0xc0
	v_add_u32_e32 v5, s16, v5
	global_load_dwordx2 v[4:5], v[4:5], off
.LBB110_64:
	s_or_b64 exec, exec, s[14:15]
	v_add_u32_e32 v7, 0x840, v16
	v_add_co_u32_e32 v2, vcc, v2, v17
	v_add_u32_e32 v27, v10, v7
	v_addc_co_u32_e32 v3, vcc, 0, v3, vcc
	s_waitcnt vmcnt(0)
	ds_write_b64 v27, v[4:5]
	v_mov_b32_e32 v4, s13
	v_subrev_co_u32_e32 v2, vcc, s12, v2
	v_subb_co_u32_e32 v3, vcc, v3, v4, vcc
	v_add_co_u32_e32 v2, vcc, 0x108, v2
	v_addc_co_u32_e32 v3, vcc, 0, v3, vcc
	v_cndmask_b32_e64 v23, v3, v23, s[10:11]
	v_cndmask_b32_e64 v22, v2, v22, s[10:11]
.LBB110_65:
	v_add_u32_e32 v2, v10, v13
	v_lshlrev_b32_e32 v4, 3, v11
	s_waitcnt lgkmcnt(0)
	s_barrier
	ds_read_b64 v[2:3], v2
	ds_read_b64 v[4:5], v4 offset:9088
	v_add_u32_e32 v11, v10, v15
	v_lshlrev_b32_e32 v13, 3, v12
	ds_read_b64 v[11:12], v11
	ds_read_b64 v[27:28], v13 offset:9088
	v_add_u32_e32 v7, v10, v7
	s_waitcnt lgkmcnt(2)
	v_fma_f64 v[2:3], v[2:3], v[4:5], 0
	v_add_u32_e32 v4, v10, v16
	v_lshlrev_b32_e32 v10, 3, v6
	v_lshl_add_u32 v9, v9, 3, v25
	s_waitcnt lgkmcnt(0)
	v_fma_f64 v[2:3], v[11:12], v[27:28], v[2:3]
	v_lshlrev_b32_e32 v11, 3, v14
	ds_read_b64 v[4:5], v4
	ds_read_b64 v[11:12], v11 offset:9088
	ds_read_b64 v[6:7], v7
	ds_read_b64 v[13:14], v10 offset:9088
	s_waitcnt lgkmcnt(2)
	v_fma_f64 v[2:3], v[4:5], v[11:12], v[2:3]
	s_waitcnt lgkmcnt(0)
	v_fma_f64 v[27:28], v[6:7], v[13:14], v[2:3]
	ds_read_b128 v[10:13], v8 offset:256
	ds_read_b128 v[2:5], v8 offset:272
	ds_read2_b64 v[14:17], v9 offset1:1
	ds_read2_b64 v[6:9], v9 offset0:2 offset1:3
	s_waitcnt lgkmcnt(0)
	s_barrier
	ds_write_b64 v26, v[27:28]
	s_waitcnt lgkmcnt(0)
	s_barrier
	s_and_saveexec_b64 s[10:11], s[8:9]
	s_cbranch_execz .LBB110_67
; %bb.66:
	ds_read2_b64 v[27:30], v25 offset1:1
	ds_read2_b64 v[38:41], v25 offset0:2 offset1:3
	s_waitcnt lgkmcnt(1)
	v_add_f64 v[27:28], v[36:37], v[27:28]
	v_add_f64 v[27:28], v[27:28], v[29:30]
	s_waitcnt lgkmcnt(0)
	v_add_f64 v[27:28], v[27:28], v[38:39]
	v_add_f64 v[31:32], v[27:28], v[40:41]
	ds_read2_b64 v[27:30], v25 offset0:4 offset1:5
	ds_read2_b64 v[36:39], v25 offset0:6 offset1:7
	s_waitcnt lgkmcnt(1)
	v_add_f64 v[27:28], v[31:32], v[27:28]
	v_add_f64 v[27:28], v[27:28], v[29:30]
	s_waitcnt lgkmcnt(0)
	v_add_f64 v[27:28], v[27:28], v[36:37]
	v_add_f64 v[36:37], v[27:28], v[38:39]
.LBB110_67:
	s_or_b64 exec, exec, s[10:11]
	v_fma_f64 v[10:11], v[14:15], v[10:11], 0
	s_barrier
	v_fma_f64 v[10:11], v[16:17], v[12:13], v[10:11]
	v_fma_f64 v[2:3], v[6:7], v[2:3], v[10:11]
	;; [unrolled: 1-line block ×3, first 2 shown]
	ds_write_b64 v26, v[2:3]
	s_waitcnt lgkmcnt(0)
	s_barrier
	s_and_saveexec_b64 s[8:9], s[20:21]
	s_cbranch_execz .LBB110_69
; %bb.68:
	ds_read2_b64 v[2:5], v25 offset1:1
	ds_read2_b64 v[6:9], v25 offset0:2 offset1:3
	s_waitcnt lgkmcnt(1)
	v_add_f64 v[2:3], v[36:37], v[2:3]
	v_add_f64 v[2:3], v[2:3], v[4:5]
	s_waitcnt lgkmcnt(0)
	v_add_f64 v[2:3], v[2:3], v[6:7]
	v_add_f64 v[10:11], v[2:3], v[8:9]
	ds_read2_b64 v[2:5], v25 offset0:4 offset1:5
	ds_read2_b64 v[6:9], v25 offset0:6 offset1:7
	s_waitcnt lgkmcnt(1)
	v_add_f64 v[2:3], v[10:11], v[2:3]
	v_add_f64 v[2:3], v[2:3], v[4:5]
	s_waitcnt lgkmcnt(0)
	v_add_f64 v[2:3], v[2:3], v[6:7]
	v_add_f64 v[36:37], v[2:3], v[8:9]
.LBB110_69:
	s_or_b64 exec, exec, s[8:9]
	s_load_dwordx2 s[4:5], s[4:5], 0x68
	s_mul_hi_u32 s8, s33, s7
	s_mul_i32 s44, s44, s7
	s_add_i32 s8, s8, s44
	s_mul_i32 s7, s33, s7
	s_mul_i32 s8, s8, s52
	s_mul_hi_u32 s9, s7, s52
	s_add_i32 s9, s9, s8
	s_mul_i32 s8, s7, s52
	s_lshl_b64 s[8:9], s[8:9], 3
	s_waitcnt lgkmcnt(0)
	s_add_u32 s7, s4, s8
	s_mul_i32 s4, s33, s6
	s_addc_u32 s8, s5, s9
	s_ashr_i32 s5, s4, 31
	s_lshl_b64 s[4:5], s[4:5], 3
	s_add_u32 s7, s7, s4
	v_cmp_le_i32_e32 vcc, s24, v0
	s_addc_u32 s33, s8, s5
	s_and_b64 vcc, s[30:31], vcc
	s_cmp_lt_i32 s6, 1
	v_lshlrev_b32_e32 v74, 3, v0
	s_barrier
	s_cbranch_scc1 .LBB110_76
; %bb.70:
	s_mul_i32 s4, s48, s27
	s_mul_hi_u32 s5, s48, s26
	s_add_i32 s4, s5, s4
	s_mul_i32 s5, s49, s26
	s_add_i32 s5, s4, s5
	s_mul_i32 s4, s48, s26
	s_lshl_b64 s[4:5], s[4:5], 3
	v_mov_b32_e32 v2, s5
	v_subrev_co_u32_e64 v75, s[4:5], s4, v18
	v_lshlrev_b32_e32 v7, 2, v1
	v_subb_co_u32_e64 v76, s[4:5], v19, v2, s[4:5]
	v_mad_u64_u32 v[2:3], s[4:5], s40, v7, 0
	v_mov_b32_e32 v4, s29
	v_subrev_co_u32_e64 v8, s[4:5], s28, v22
	v_subb_co_u32_e64 v9, s[4:5], v23, v4, s[4:5]
	v_mad_u64_u32 v[3:4], s[4:5], s41, v7, v[3:4]
	v_sub_co_u32_e64 v4, s[4:5], v8, v20
	v_lshlrev_b64 v[2:3], 3, v[2:3]
	v_subb_co_u32_e64 v7, s[4:5], v9, v21, s[4:5]
	v_add_co_u32_e64 v2, s[4:5], v4, v2
	v_addc_co_u32_e64 v3, s[4:5], v7, v3, s[4:5]
	s_ashr_i32 s25, s24, 31
	s_lshl_b64 s[4:5], s[24:25], 3
	v_mov_b32_e32 v4, s5
	v_add_co_u32_e64 v7, s[4:5], s4, v2
	v_addc_co_u32_e64 v4, s[4:5], v3, v4, s[4:5]
	s_movk_i32 s4, 0xfef8
	v_add_co_u32_e64 v7, s[4:5], s4, v7
	v_addc_co_u32_e64 v4, s[4:5], -1, v4, s[4:5]
	v_add_co_u32_e64 v2, s[4:5], v2, v74
	v_addc_co_u32_e64 v3, s[4:5], 0, v3, s[4:5]
	s_movk_i32 s4, 0xff00
	v_add_co_u32_e64 v2, s[4:5], s4, v2
	v_addc_co_u32_e64 v3, s[4:5], -1, v3, s[4:5]
	v_cndmask_b32_e32 v41, v3, v4, vcc
	v_and_b32_e32 v3, 48, v0
	v_lshrrev_b32_e32 v5, 4, v24
	v_and_b32_e32 v6, 15, v0
	v_cndmask_b32_e32 v40, v2, v7, vcc
	v_mov_b32_e32 v2, 0x2180
	s_movk_i32 s8, 0x218
	v_lshlrev_b32_e32 v3, 3, v3
	v_lshl_add_u32 v78, v1, 5, v2
	v_lshlrev_b32_e32 v2, 5, v5
	v_mad_u32_u24 v82, v6, s8, v3
	v_or_b32_e32 v3, 0x78, v74
	v_mad_u32_u24 v81, v6, s8, v2
	v_mad_u32_u24 v83, v6, s8, v3
	s_mul_i32 s8, s41, 24
	s_mul_hi_u32 s9, s40, 24
	s_add_i32 s8, s9, s8
	s_mul_i32 s9, s41, 0x90
	s_mul_hi_u32 s10, s40, 0x90
	s_add_i32 s9, s10, s9
	;; [unrolled: 3-line block ×10, first 2 shown]
	s_mul_i32 s24, s41, 0x88
	s_mul_hi_u32 s25, s40, 0x88
	s_movk_i32 s4, 0x860
	v_mul_i32_i24_e32 v2, 0xffffffe8, v5
	s_lshl_b64 s[16:17], s[40:41], 3
	s_lshl_b64 s[18:19], s[40:41], 9
	;; [unrolled: 1-line block ×3, first 2 shown]
	s_add_i32 s44, s25, s24
	s_lshl_b64 s[24:25], s[40:41], 7
	v_mov_b32_e32 v39, 0
	v_add_u32_e32 v77, 0x2180, v74
	v_add_u32_e32 v79, 0x2380, v74
	v_mad_u32_u24 v80, v1, s4, v74
	v_cmp_gt_u32_e64 s[4:5], 64, v24
	s_mul_i32 s26, s40, 24
	s_mul_i32 s27, s40, 0x90
	;; [unrolled: 1-line block ×11, first 2 shown]
	s_mov_b32 s39, 0
	v_mov_b32_e32 v84, s17
	v_mov_b32_e32 v85, s21
	v_mov_b32_e32 v86, s8
	v_mov_b32_e32 v87, s25
	v_mov_b32_e32 v88, s44
	v_mov_b32_e32 v89, s9
	v_mov_b32_e32 v90, s10
	v_mov_b32_e32 v91, s23
	v_mov_b32_e32 v92, s43
	v_mov_b32_e32 v93, s11
	v_mov_b32_e32 v94, s12
	v_mov_b32_e32 v95, s42
	v_mov_b32_e32 v96, s15
	v_mov_b32_e32 v97, s13
	v_mov_b32_e32 v98, s14
	v_add_u32_e32 v99, v81, v2
	v_mov_b32_e32 v100, s19
	s_branch .LBB110_72
.LBB110_71:                             ;   in Loop: Header=BB110_72 Depth=1
	s_or_b64 exec, exec, s[10:11]
	v_fma_f64 v[6:7], v[42:43], v[6:7], v[36:37]
	s_add_i32 s39, s39, 64
	s_add_i32 s6, s6, -1
	v_add_co_u32_e64 v40, s[8:9], s18, v40
	s_cmp_eq_u32 s6, 0
	v_addc_co_u32_e64 v41, s[8:9], v41, v100, s[8:9]
	v_fma_f64 v[6:7], v[44:45], v[8:9], v[6:7]
	s_waitcnt vmcnt(0)
	s_barrier
	v_fma_f64 v[2:3], v[46:47], v[2:3], v[6:7]
	v_fma_f64 v[2:3], v[48:49], v[4:5], v[2:3]
	;; [unrolled: 1-line block ×14, first 2 shown]
	s_cbranch_scc1 .LBB110_76
.LBB110_72:                             ; =>This Inner Loop Header: Depth=1
	s_and_saveexec_b64 s[10:11], s[2:3]
	s_cbranch_execz .LBB110_74
; %bb.73:                               ;   in Loop: Header=BB110_72 Depth=1
	s_mul_i32 s8, s49, s39
	s_mul_hi_u32 s9, s48, s39
	s_add_i32 s9, s9, s8
	s_mul_i32 s8, s48, s39
	s_lshl_b64 s[8:9], s[8:9], 3
	v_mov_b32_e32 v3, s9
	v_add_co_u32_e64 v2, s[8:9], s8, v75
	v_addc_co_u32_e64 v3, s[8:9], v76, v3, s[8:9]
	global_load_dwordx2 v[2:3], v[2:3], off
	s_waitcnt vmcnt(0)
	ds_write_b64 v77, v[2:3]
.LBB110_74:                             ;   in Loop: Header=BB110_72 Depth=1
	s_or_b64 exec, exec, s[10:11]
	v_add_co_u32_e64 v2, s[8:9], s16, v40
	v_addc_co_u32_e64 v3, s[8:9], v41, v84, s[8:9]
	s_waitcnt lgkmcnt(0)
	s_barrier
	global_load_dwordx2 v[42:43], v[40:41], off
	global_load_dwordx2 v[44:45], v[2:3], off
	v_add_co_u32_e64 v2, s[8:9], s20, v40
	v_addc_co_u32_e64 v3, s[8:9], v41, v85, s[8:9]
	v_add_co_u32_e64 v4, s[8:9], s26, v40
	v_addc_co_u32_e64 v5, s[8:9], v41, v86, s[8:9]
	global_load_dwordx2 v[46:47], v[2:3], off
	global_load_dwordx2 v[48:49], v[4:5], off
	ds_read_b64 v[10:11], v79
	ds_read_b128 v[6:9], v78
	ds_read_b128 v[2:5], v78 offset:16
	v_add_co_u32_e64 v14, s[8:9], s24, v40
	v_add_co_u32_e64 v16, s[10:11], s38, v40
	;; [unrolled: 1-line block ×4, first 2 shown]
	v_addc_co_u32_e64 v15, s[8:9], v41, v87, s[8:9]
	v_addc_co_u32_e64 v17, s[8:9], v41, v88, s[10:11]
	;; [unrolled: 1-line block ×4, first 2 shown]
	v_add_co_u32_e64 v26, s[8:9], s22, v40
	v_add_co_u32_e64 v62, s[10:11], s37, v40
	v_addc_co_u32_e64 v27, s[8:9], v41, v91, s[8:9]
	v_addc_co_u32_e64 v63, s[8:9], v41, v92, s[10:11]
	s_waitcnt vmcnt(3) lgkmcnt(2)
	v_mul_f64 v[12:13], v[42:43], v[10:11]
	s_waitcnt vmcnt(2)
	v_mul_f64 v[18:19], v[44:45], v[10:11]
	s_waitcnt vmcnt(1)
	;; [unrolled: 2-line block ×3, first 2 shown]
	v_mul_f64 v[10:11], v[48:49], v[10:11]
	ds_write2_b64 v80, v[12:13], v[18:19] offset1:67
	ds_write2_b64 v80, v[20:21], v[10:11] offset0:134 offset1:201
	s_waitcnt lgkmcnt(0)
	s_barrier
	ds_read2_b64 v[10:13], v81 offset1:1
	ds_read2_b64 v[18:21], v81 offset0:2 offset1:3
	s_waitcnt lgkmcnt(0)
	s_barrier
	global_load_dwordx2 v[50:51], v[14:15], off
	global_load_dwordx2 v[52:53], v[16:17], off
	;; [unrolled: 1-line block ×4, first 2 shown]
	v_add_f64 v[10:11], v[10:11], 0
	ds_read_b64 v[14:15], v79
	v_add_f64 v[22:23], v[10:11], v[12:13]
	v_add_f64 v[18:19], v[22:23], v[18:19]
	;; [unrolled: 1-line block ×3, first 2 shown]
	s_waitcnt vmcnt(3) lgkmcnt(0)
	v_mul_f64 v[24:25], v[50:51], v[14:15]
	s_waitcnt vmcnt(2)
	v_mul_f64 v[28:29], v[52:53], v[14:15]
	s_waitcnt vmcnt(1)
	;; [unrolled: 2-line block ×3, first 2 shown]
	v_mul_f64 v[32:33], v[56:57], v[14:15]
	ds_read_b128 v[14:17], v78 offset:128
	ds_read_b128 v[10:13], v78 offset:144
	ds_write2_b64 v80, v[24:25], v[28:29] offset1:67
	ds_write2_b64 v80, v[30:31], v[32:33] offset0:134 offset1:201
	s_waitcnt lgkmcnt(0)
	s_barrier
	ds_read2_b64 v[22:25], v81 offset1:1
	ds_read2_b64 v[18:21], v81 offset0:2 offset1:3
	s_waitcnt lgkmcnt(0)
	s_barrier
	v_add_f64 v[22:23], v[22:23], 0
	global_load_dwordx2 v[58:59], v[26:27], off
	global_load_dwordx2 v[60:61], v[62:63], off
	v_add_co_u32_e64 v26, s[8:9], s29, v40
	v_addc_co_u32_e64 v27, s[8:9], v41, v93, s[8:9]
	v_add_f64 v[22:23], v[22:23], v[24:25]
	v_add_co_u32_e64 v24, s[10:11], s30, v40
	v_addc_co_u32_e64 v25, s[8:9], v41, v94, s[10:11]
	global_load_dwordx2 v[62:63], v[26:27], off
	global_load_dwordx2 v[64:65], v[24:25], off
	v_add_f64 v[18:19], v[22:23], v[18:19]
	ds_read_b64 v[22:23], v79
	v_add_f64 v[111:112], v[18:19], v[20:21]
	s_waitcnt vmcnt(3) lgkmcnt(0)
	v_mul_f64 v[18:19], v[58:59], v[22:23]
	s_waitcnt vmcnt(2)
	v_mul_f64 v[20:21], v[60:61], v[22:23]
	ds_write2_b64 v80, v[18:19], v[20:21] offset1:67
	s_waitcnt vmcnt(1)
	v_mul_f64 v[18:19], v[62:63], v[22:23]
	s_waitcnt vmcnt(0)
	v_mul_f64 v[20:21], v[64:65], v[22:23]
	ds_write2_b64 v80, v[18:19], v[20:21] offset0:134 offset1:201
	ds_read_b128 v[22:25], v78 offset:256
	ds_read_b128 v[18:21], v78 offset:272
	s_waitcnt lgkmcnt(0)
	s_barrier
	ds_read2_b64 v[26:29], v81 offset1:1
	ds_read2_b64 v[101:104], v81 offset0:2 offset1:3
	s_waitcnt lgkmcnt(0)
	s_barrier
	v_add_f64 v[26:27], v[26:27], 0
	v_add_f64 v[113:114], v[26:27], v[28:29]
	v_add_co_u32_e64 v26, s[8:9], s36, v40
	v_addc_co_u32_e64 v27, s[8:9], v41, v95, s[8:9]
	v_add_co_u32_e64 v28, s[8:9], s35, v40
	v_addc_co_u32_e64 v29, s[8:9], v41, v96, s[8:9]
	global_load_dwordx2 v[66:67], v[26:27], off
	global_load_dwordx2 v[68:69], v[28:29], off
	ds_read_b64 v[26:27], v79
	v_add_f64 v[101:102], v[113:114], v[101:102]
	s_waitcnt vmcnt(1) lgkmcnt(0)
	v_mul_f64 v[28:29], v[66:67], v[26:27]
	s_waitcnt vmcnt(0)
	v_mul_f64 v[30:31], v[68:69], v[26:27]
	ds_write2_b64 v80, v[28:29], v[30:31] offset1:67
	v_add_co_u32_e64 v28, s[8:9], s31, v40
	v_addc_co_u32_e64 v29, s[8:9], v41, v97, s[8:9]
	v_add_co_u32_e64 v30, s[8:9], s34, v40
	v_addc_co_u32_e64 v31, s[8:9], v41, v98, s[8:9]
	global_load_dwordx2 v[72:73], v[28:29], off
	global_load_dwordx2 v[70:71], v[30:31], off
	s_waitcnt vmcnt(1)
	v_mul_f64 v[28:29], v[72:73], v[26:27]
	s_waitcnt vmcnt(0)
	v_mul_f64 v[26:27], v[70:71], v[26:27]
	ds_write2_b64 v80, v[28:29], v[26:27] offset0:134 offset1:201
	ds_read_b128 v[30:33], v78 offset:384
	ds_read_b128 v[26:29], v78 offset:400
	s_waitcnt lgkmcnt(0)
	s_barrier
	ds_read2_b64 v[105:108], v81 offset1:1
	s_waitcnt lgkmcnt(0)
	v_add_f64 v[105:106], v[105:106], 0
	v_add_f64 v[105:106], v[105:106], v[107:108]
	v_add_f64 v[107:108], v[101:102], v[103:104]
	ds_read2_b64 v[101:104], v81 offset0:2 offset1:3
	s_waitcnt lgkmcnt(0)
	s_barrier
	v_add_f64 v[101:102], v[105:106], v[101:102]
	v_add_f64 v[101:102], v[101:102], v[103:104]
	ds_write2_b64 v99, v[109:110], v[111:112] offset1:16
	ds_write2_b64 v99, v[107:108], v[101:102] offset0:32 offset1:48
	s_waitcnt lgkmcnt(0)
	s_barrier
	s_and_saveexec_b64 s[10:11], s[4:5]
	s_cbranch_execz .LBB110_71
; %bb.75:                               ;   in Loop: Header=BB110_72 Depth=1
	ds_read2_b64 v[101:104], v82 offset1:1
	ds_read2_b64 v[105:108], v82 offset0:2 offset1:3
	v_add_u32_e32 v38, s39, v0
	s_waitcnt lgkmcnt(1)
	v_add_f64 v[101:102], v[101:102], v[103:104]
	s_waitcnt lgkmcnt(0)
	v_add_f64 v[101:102], v[101:102], v[105:106]
	v_add_f64 v[109:110], v[101:102], v[107:108]
	ds_read2_b64 v[101:104], v82 offset0:4 offset1:5
	ds_read2_b64 v[105:108], v82 offset0:6 offset1:7
	s_waitcnt lgkmcnt(1)
	v_add_f64 v[101:102], v[109:110], v[101:102]
	v_add_f64 v[101:102], v[101:102], v[103:104]
	s_waitcnt lgkmcnt(0)
	v_add_f64 v[101:102], v[101:102], v[105:106]
	v_add_f64 v[109:110], v[101:102], v[107:108]
	ds_read2_b64 v[101:104], v82 offset0:8 offset1:9
	ds_read2_b64 v[105:108], v82 offset0:10 offset1:11
	s_waitcnt lgkmcnt(1)
	v_add_f64 v[101:102], v[109:110], v[101:102]
	v_add_f64 v[101:102], v[101:102], v[103:104]
	s_waitcnt lgkmcnt(0)
	v_add_f64 v[101:102], v[101:102], v[105:106]
	v_add_f64 v[105:106], v[101:102], v[107:108]
	ds_read2_b64 v[101:104], v82 offset0:12 offset1:13
	ds_read_b64 v[107:108], v82 offset:112
	s_waitcnt lgkmcnt(1)
	v_add_f64 v[101:102], v[105:106], v[101:102]
	v_add_f64 v[101:102], v[101:102], v[103:104]
	ds_read_b64 v[103:104], v83
	s_waitcnt lgkmcnt(1)
	v_add_f64 v[101:102], v[101:102], v[107:108]
	s_waitcnt lgkmcnt(0)
	v_add_f64 v[101:102], v[101:102], v[103:104]
	v_lshlrev_b64 v[103:104], 3, v[38:39]
	v_mov_b32_e32 v38, s33
	v_add_co_u32_e64 v103, s[8:9], s7, v103
	v_addc_co_u32_e64 v104, s[8:9], v38, v104, s[8:9]
	global_store_dwordx2 v[103:104], v[101:102], off
	s_branch .LBB110_71
.LBB110_76:
	s_movk_i32 s2, 0x218
	v_mad_u32_u24 v0, v1, s2, v74
	s_nor_b64 s[0:1], s[0:1], vcc
	ds_write_b64 v0, v[36:37]
	s_waitcnt lgkmcnt(0)
	s_barrier
	s_and_saveexec_b64 s[2:3], s[0:1]
	s_cbranch_execz .LBB110_78
; %bb.77:
	ds_read2_b64 v[0:3], v74 offset1:67
	s_waitcnt lgkmcnt(0)
	v_add_f64 v[4:5], v[0:1], v[2:3]
	ds_read2_b64 v[0:3], v74 offset0:134 offset1:201
	s_waitcnt lgkmcnt(0)
	v_add_f64 v[0:1], v[4:5], v[0:1]
	v_mov_b32_e32 v4, s33
	v_add_f64 v[0:1], v[0:1], v[2:3]
	v_lshlrev_b64 v[2:3], 3, v[34:35]
	v_add_co_u32_e32 v2, vcc, s7, v2
	v_addc_co_u32_e32 v3, vcc, v4, v3, vcc
	global_store_dwordx2 v[2:3], v[0:1], off
.LBB110_78:
	s_endpgm
	.section	.rodata,"a",@progbits
	.p2align	6, 0x0
	.amdhsa_kernel _ZL26rocblas_hemvn_kernel_lowerILb0ELi64ELi4ELi33ELi32ELi16EldPKdPdEviT6_lT7_lT5_lS4_lS5_lS3_lT8_i
		.amdhsa_group_segment_fixed_size 9600
		.amdhsa_private_segment_fixed_size 0
		.amdhsa_kernarg_size 376
		.amdhsa_user_sgpr_count 6
		.amdhsa_user_sgpr_private_segment_buffer 1
		.amdhsa_user_sgpr_dispatch_ptr 0
		.amdhsa_user_sgpr_queue_ptr 0
		.amdhsa_user_sgpr_kernarg_segment_ptr 1
		.amdhsa_user_sgpr_dispatch_id 0
		.amdhsa_user_sgpr_flat_scratch_init 0
		.amdhsa_user_sgpr_private_segment_size 0
		.amdhsa_uses_dynamic_stack 0
		.amdhsa_system_sgpr_private_segment_wavefront_offset 0
		.amdhsa_system_sgpr_workgroup_id_x 1
		.amdhsa_system_sgpr_workgroup_id_y 0
		.amdhsa_system_sgpr_workgroup_id_z 1
		.amdhsa_system_sgpr_workgroup_info 0
		.amdhsa_system_vgpr_workitem_id 1
		.amdhsa_next_free_vgpr 115
		.amdhsa_next_free_sgpr 93
		.amdhsa_reserve_vcc 1
		.amdhsa_reserve_flat_scratch 0
		.amdhsa_float_round_mode_32 0
		.amdhsa_float_round_mode_16_64 0
		.amdhsa_float_denorm_mode_32 3
		.amdhsa_float_denorm_mode_16_64 3
		.amdhsa_dx10_clamp 1
		.amdhsa_ieee_mode 1
		.amdhsa_fp16_overflow 0
		.amdhsa_exception_fp_ieee_invalid_op 0
		.amdhsa_exception_fp_denorm_src 0
		.amdhsa_exception_fp_ieee_div_zero 0
		.amdhsa_exception_fp_ieee_overflow 0
		.amdhsa_exception_fp_ieee_underflow 0
		.amdhsa_exception_fp_ieee_inexact 0
		.amdhsa_exception_int_div_zero 0
	.end_amdhsa_kernel
	.section	.text._ZL26rocblas_hemvn_kernel_lowerILb0ELi64ELi4ELi33ELi32ELi16EldPKdPdEviT6_lT7_lT5_lS4_lS5_lS3_lT8_i,"axG",@progbits,_ZL26rocblas_hemvn_kernel_lowerILb0ELi64ELi4ELi33ELi32ELi16EldPKdPdEviT6_lT7_lT5_lS4_lS5_lS3_lT8_i,comdat
.Lfunc_end110:
	.size	_ZL26rocblas_hemvn_kernel_lowerILb0ELi64ELi4ELi33ELi32ELi16EldPKdPdEviT6_lT7_lT5_lS4_lS5_lS3_lT8_i, .Lfunc_end110-_ZL26rocblas_hemvn_kernel_lowerILb0ELi64ELi4ELi33ELi32ELi16EldPKdPdEviT6_lT7_lT5_lS4_lS5_lS3_lT8_i
                                        ; -- End function
	.set _ZL26rocblas_hemvn_kernel_lowerILb0ELi64ELi4ELi33ELi32ELi16EldPKdPdEviT6_lT7_lT5_lS4_lS5_lS3_lT8_i.num_vgpr, 115
	.set _ZL26rocblas_hemvn_kernel_lowerILb0ELi64ELi4ELi33ELi32ELi16EldPKdPdEviT6_lT7_lT5_lS4_lS5_lS3_lT8_i.num_agpr, 0
	.set _ZL26rocblas_hemvn_kernel_lowerILb0ELi64ELi4ELi33ELi32ELi16EldPKdPdEviT6_lT7_lT5_lS4_lS5_lS3_lT8_i.numbered_sgpr, 53
	.set _ZL26rocblas_hemvn_kernel_lowerILb0ELi64ELi4ELi33ELi32ELi16EldPKdPdEviT6_lT7_lT5_lS4_lS5_lS3_lT8_i.num_named_barrier, 0
	.set _ZL26rocblas_hemvn_kernel_lowerILb0ELi64ELi4ELi33ELi32ELi16EldPKdPdEviT6_lT7_lT5_lS4_lS5_lS3_lT8_i.private_seg_size, 0
	.set _ZL26rocblas_hemvn_kernel_lowerILb0ELi64ELi4ELi33ELi32ELi16EldPKdPdEviT6_lT7_lT5_lS4_lS5_lS3_lT8_i.uses_vcc, 1
	.set _ZL26rocblas_hemvn_kernel_lowerILb0ELi64ELi4ELi33ELi32ELi16EldPKdPdEviT6_lT7_lT5_lS4_lS5_lS3_lT8_i.uses_flat_scratch, 0
	.set _ZL26rocblas_hemvn_kernel_lowerILb0ELi64ELi4ELi33ELi32ELi16EldPKdPdEviT6_lT7_lT5_lS4_lS5_lS3_lT8_i.has_dyn_sized_stack, 0
	.set _ZL26rocblas_hemvn_kernel_lowerILb0ELi64ELi4ELi33ELi32ELi16EldPKdPdEviT6_lT7_lT5_lS4_lS5_lS3_lT8_i.has_recursion, 0
	.set _ZL26rocblas_hemvn_kernel_lowerILb0ELi64ELi4ELi33ELi32ELi16EldPKdPdEviT6_lT7_lT5_lS4_lS5_lS3_lT8_i.has_indirect_call, 0
	.section	.AMDGPU.csdata,"",@progbits
; Kernel info:
; codeLenInByte = 6448
; TotalNumSgprs: 57
; NumVgprs: 115
; ScratchSize: 0
; MemoryBound: 0
; FloatMode: 240
; IeeeMode: 1
; LDSByteSize: 9600 bytes/workgroup (compile time only)
; SGPRBlocks: 12
; VGPRBlocks: 28
; NumSGPRsForWavesPerEU: 97
; NumVGPRsForWavesPerEU: 115
; Occupancy: 2
; WaveLimiterHint : 1
; COMPUTE_PGM_RSRC2:SCRATCH_EN: 0
; COMPUTE_PGM_RSRC2:USER_SGPR: 6
; COMPUTE_PGM_RSRC2:TRAP_HANDLER: 0
; COMPUTE_PGM_RSRC2:TGID_X_EN: 1
; COMPUTE_PGM_RSRC2:TGID_Y_EN: 0
; COMPUTE_PGM_RSRC2:TGID_Z_EN: 1
; COMPUTE_PGM_RSRC2:TIDIG_COMP_CNT: 1
	.section	.text._ZL36rocblas_hemvn_kernel_lower_block_sumILi64EldPddEviT1_lS1_lT2_lT0_lPT3_i,"axG",@progbits,_ZL36rocblas_hemvn_kernel_lower_block_sumILi64EldPddEviT1_lS1_lT2_lT0_lPT3_i,comdat
	.globl	_ZL36rocblas_hemvn_kernel_lower_block_sumILi64EldPddEviT1_lS1_lT2_lT0_lPT3_i ; -- Begin function _ZL36rocblas_hemvn_kernel_lower_block_sumILi64EldPddEviT1_lS1_lT2_lT0_lPT3_i
	.p2align	8
	.type	_ZL36rocblas_hemvn_kernel_lower_block_sumILi64EldPddEviT1_lS1_lT2_lT0_lPT3_i,@function
_ZL36rocblas_hemvn_kernel_lower_block_sumILi64EldPddEviT1_lS1_lT2_lT0_lPT3_i: ; @_ZL36rocblas_hemvn_kernel_lower_block_sumILi64EldPddEviT1_lS1_lT2_lT0_lPT3_i
; %bb.0:
	s_load_dwordx2 s[8:9], s[4:5], 0x8
	s_load_dwordx2 s[10:11], s[4:5], 0x18
	s_waitcnt lgkmcnt(0)
	v_cmp_eq_f64_e64 s[0:1], s[8:9], 0
	v_cmp_eq_f64_e64 s[2:3], s[10:11], 1.0
	s_and_b64 s[0:1], s[0:1], s[2:3]
	s_and_b64 vcc, exec, s[0:1]
	s_cbranch_vccnz .LBB111_19
; %bb.1:
	s_load_dwordx2 s[12:13], s[4:5], 0x40
	s_load_dwordx4 s[0:3], s[4:5], 0x30
	s_load_dwordx2 s[16:17], s[4:5], 0x28
	s_load_dword s14, s[4:5], 0x0
	v_cmp_neq_f64_e64 s[18:19], s[8:9], 0
	s_waitcnt lgkmcnt(0)
	s_mul_i32 s13, s13, s7
	s_mul_hi_u32 s15, s12, s7
	s_add_i32 s13, s15, s13
	s_mul_i32 s12, s12, s7
	s_lshl_b64 s[12:13], s[12:13], 3
	s_add_u32 s12, s16, s12
	s_addc_u32 s13, s17, s13
	s_lshl_b64 s[0:1], s[0:1], 3
	s_add_u32 s20, s12, s0
	v_lshl_or_b32 v6, s6, 6, v0
	s_addc_u32 s21, s13, s1
	s_mov_b64 s[12:13], 0
	s_and_b64 vcc, exec, s[18:19]
	v_cmp_gt_i32_e64 s[0:1], s14, v6
	s_cbranch_vccnz .LBB111_6
; %bb.2:
	s_mov_b64 s[16:17], 0
                                        ; implicit-def: $vgpr2_vgpr3
                                        ; implicit-def: $vgpr0_vgpr1
	s_and_saveexec_b64 s[18:19], s[0:1]
	s_cbranch_execz .LBB111_7
; %bb.3:
	v_cmp_eq_f64_e64 s[0:1], s[10:11], 0
	v_ashrrev_i32_e32 v0, 31, v6
	v_mul_lo_u32 v4, s3, v6
	v_mul_lo_u32 v5, s2, v0
	v_mad_u64_u32 v[0:1], s[12:13], s2, v6, 0
	v_mov_b32_e32 v2, 0
	v_mov_b32_e32 v3, 0
	v_add3_u32 v1, v1, v5, v4
	s_and_b64 vcc, exec, s[0:1]
	s_cbranch_vccnz .LBB111_5
; %bb.4:
	v_lshlrev_b64 v[2:3], 3, v[0:1]
	v_mov_b32_e32 v4, s21
	v_add_co_u32_e32 v2, vcc, s20, v2
	v_addc_co_u32_e32 v3, vcc, v4, v3, vcc
	global_load_dwordx2 v[2:3], v[2:3], off
	s_waitcnt vmcnt(0)
	v_mul_f64 v[2:3], s[10:11], v[2:3]
.LBB111_5:
	s_mov_b64 s[12:13], exec
	s_or_b64 exec, exec, s[18:19]
	s_and_b64 vcc, exec, s[16:17]
	s_cbranch_vccnz .LBB111_8
	s_branch .LBB111_17
.LBB111_6:
                                        ; implicit-def: $vgpr2_vgpr3
                                        ; implicit-def: $vgpr0_vgpr1
	s_cbranch_execnz .LBB111_8
	s_branch .LBB111_17
.LBB111_7:
	s_or_b64 exec, exec, s[18:19]
	s_and_b64 vcc, exec, s[16:17]
	s_cbranch_vccz .LBB111_17
.LBB111_8:
	v_cmp_gt_i32_e32 vcc, s14, v6
                                        ; implicit-def: $vgpr2_vgpr3
                                        ; implicit-def: $vgpr0_vgpr1
	s_and_saveexec_b64 s[0:1], vcc
	s_cbranch_execz .LBB111_16
; %bb.9:
	s_load_dword s16, s[4:5], 0x58
	v_mov_b32_e32 v4, 0
	v_mov_b32_e32 v5, 0
	s_waitcnt lgkmcnt(0)
	s_cmp_ge_i32 s6, s16
	s_cbranch_scc1 .LBB111_12
; %bb.10:
	s_ashr_i32 s15, s14, 31
	s_mul_i32 s17, s14, s6
	s_load_dwordx2 s[4:5], s[4:5], 0x48
	v_add_u32_e32 v0, s17, v6
	s_mul_hi_u32 s17, s14, s7
	s_mul_i32 s18, s15, s7
	s_add_i32 s17, s17, s18
	s_mul_i32 s7, s14, s7
	s_mul_i32 s17, s17, s16
	s_mul_hi_u32 s18, s7, s16
	s_add_i32 s19, s18, s17
	s_mul_i32 s18, s7, s16
	v_ashrrev_i32_e32 v1, 31, v0
	s_lshl_b64 s[18:19], s[18:19], 3
	v_lshlrev_b64 v[0:1], 3, v[0:1]
	s_waitcnt lgkmcnt(0)
	s_add_u32 s4, s4, s18
	s_addc_u32 s5, s5, s19
	v_mov_b32_e32 v2, s5
	v_add_co_u32_e32 v0, vcc, s4, v0
	s_lshl_b64 s[4:5], s[14:15], 3
	v_mov_b32_e32 v4, 0
	v_addc_co_u32_e32 v1, vcc, v2, v1, vcc
	v_mov_b32_e32 v5, 0
	v_mov_b32_e32 v2, s5
.LBB111_11:                             ; =>This Inner Loop Header: Depth=1
	global_load_dwordx2 v[7:8], v[0:1], off
	s_add_i32 s6, s6, 1
	v_add_co_u32_e32 v0, vcc, s4, v0
	s_cmp_ge_i32 s6, s16
	v_addc_co_u32_e32 v1, vcc, v1, v2, vcc
	s_waitcnt vmcnt(0)
	v_add_f64 v[4:5], v[4:5], v[7:8]
	s_cbranch_scc0 .LBB111_11
.LBB111_12:
	v_cmp_eq_f64_e64 s[6:7], s[10:11], 0
	v_ashrrev_i32_e32 v0, 31, v6
	v_mul_lo_u32 v7, s3, v6
	v_mul_lo_u32 v8, s2, v0
	s_mov_b64 s[4:5], 0
	s_and_b64 vcc, exec, s[6:7]
	s_cbranch_vccz .LBB111_20
; %bb.13:
	v_mad_u64_u32 v[0:1], s[6:7], s2, v6, 0
	v_mul_f64 v[2:3], s[8:9], v[4:5]
	v_add3_u32 v1, v1, v8, v7
	s_andn2_b64 vcc, exec, s[4:5]
	s_cbranch_vccnz .LBB111_15
.LBB111_14:
	v_mad_u64_u32 v[0:1], s[2:3], s2, v6, 0
	v_mov_b32_e32 v6, s21
	v_add3_u32 v1, v1, v8, v7
	v_lshlrev_b64 v[2:3], 3, v[0:1]
	v_add_co_u32_e32 v2, vcc, s20, v2
	v_addc_co_u32_e32 v3, vcc, v6, v3, vcc
	global_load_dwordx2 v[2:3], v[2:3], off
	s_waitcnt vmcnt(0)
	v_mul_f64 v[2:3], s[10:11], v[2:3]
	v_fma_f64 v[2:3], s[8:9], v[4:5], v[2:3]
.LBB111_15:
	s_or_b64 s[12:13], s[12:13], exec
.LBB111_16:
	s_or_b64 exec, exec, s[0:1]
.LBB111_17:
	s_and_saveexec_b64 s[0:1], s[12:13]
	s_cbranch_execz .LBB111_19
; %bb.18:
	v_lshlrev_b64 v[0:1], 3, v[0:1]
	v_mov_b32_e32 v4, s21
	v_add_co_u32_e32 v0, vcc, s20, v0
	v_addc_co_u32_e32 v1, vcc, v4, v1, vcc
	global_store_dwordx2 v[0:1], v[2:3], off
.LBB111_19:
	s_endpgm
.LBB111_20:
                                        ; implicit-def: $vgpr2_vgpr3
                                        ; implicit-def: $vgpr0_vgpr1
	s_branch .LBB111_14
	.section	.rodata,"a",@progbits
	.p2align	6, 0x0
	.amdhsa_kernel _ZL36rocblas_hemvn_kernel_lower_block_sumILi64EldPddEviT1_lS1_lT2_lT0_lPT3_i
		.amdhsa_group_segment_fixed_size 0
		.amdhsa_private_segment_fixed_size 0
		.amdhsa_kernarg_size 344
		.amdhsa_user_sgpr_count 6
		.amdhsa_user_sgpr_private_segment_buffer 1
		.amdhsa_user_sgpr_dispatch_ptr 0
		.amdhsa_user_sgpr_queue_ptr 0
		.amdhsa_user_sgpr_kernarg_segment_ptr 1
		.amdhsa_user_sgpr_dispatch_id 0
		.amdhsa_user_sgpr_flat_scratch_init 0
		.amdhsa_user_sgpr_private_segment_size 0
		.amdhsa_uses_dynamic_stack 0
		.amdhsa_system_sgpr_private_segment_wavefront_offset 0
		.amdhsa_system_sgpr_workgroup_id_x 1
		.amdhsa_system_sgpr_workgroup_id_y 0
		.amdhsa_system_sgpr_workgroup_id_z 1
		.amdhsa_system_sgpr_workgroup_info 0
		.amdhsa_system_vgpr_workitem_id 0
		.amdhsa_next_free_vgpr 9
		.amdhsa_next_free_sgpr 22
		.amdhsa_reserve_vcc 1
		.amdhsa_reserve_flat_scratch 0
		.amdhsa_float_round_mode_32 0
		.amdhsa_float_round_mode_16_64 0
		.amdhsa_float_denorm_mode_32 3
		.amdhsa_float_denorm_mode_16_64 3
		.amdhsa_dx10_clamp 1
		.amdhsa_ieee_mode 1
		.amdhsa_fp16_overflow 0
		.amdhsa_exception_fp_ieee_invalid_op 0
		.amdhsa_exception_fp_denorm_src 0
		.amdhsa_exception_fp_ieee_div_zero 0
		.amdhsa_exception_fp_ieee_overflow 0
		.amdhsa_exception_fp_ieee_underflow 0
		.amdhsa_exception_fp_ieee_inexact 0
		.amdhsa_exception_int_div_zero 0
	.end_amdhsa_kernel
	.section	.text._ZL36rocblas_hemvn_kernel_lower_block_sumILi64EldPddEviT1_lS1_lT2_lT0_lPT3_i,"axG",@progbits,_ZL36rocblas_hemvn_kernel_lower_block_sumILi64EldPddEviT1_lS1_lT2_lT0_lPT3_i,comdat
.Lfunc_end111:
	.size	_ZL36rocblas_hemvn_kernel_lower_block_sumILi64EldPddEviT1_lS1_lT2_lT0_lPT3_i, .Lfunc_end111-_ZL36rocblas_hemvn_kernel_lower_block_sumILi64EldPddEviT1_lS1_lT2_lT0_lPT3_i
                                        ; -- End function
	.set _ZL36rocblas_hemvn_kernel_lower_block_sumILi64EldPddEviT1_lS1_lT2_lT0_lPT3_i.num_vgpr, 9
	.set _ZL36rocblas_hemvn_kernel_lower_block_sumILi64EldPddEviT1_lS1_lT2_lT0_lPT3_i.num_agpr, 0
	.set _ZL36rocblas_hemvn_kernel_lower_block_sumILi64EldPddEviT1_lS1_lT2_lT0_lPT3_i.numbered_sgpr, 22
	.set _ZL36rocblas_hemvn_kernel_lower_block_sumILi64EldPddEviT1_lS1_lT2_lT0_lPT3_i.num_named_barrier, 0
	.set _ZL36rocblas_hemvn_kernel_lower_block_sumILi64EldPddEviT1_lS1_lT2_lT0_lPT3_i.private_seg_size, 0
	.set _ZL36rocblas_hemvn_kernel_lower_block_sumILi64EldPddEviT1_lS1_lT2_lT0_lPT3_i.uses_vcc, 1
	.set _ZL36rocblas_hemvn_kernel_lower_block_sumILi64EldPddEviT1_lS1_lT2_lT0_lPT3_i.uses_flat_scratch, 0
	.set _ZL36rocblas_hemvn_kernel_lower_block_sumILi64EldPddEviT1_lS1_lT2_lT0_lPT3_i.has_dyn_sized_stack, 0
	.set _ZL36rocblas_hemvn_kernel_lower_block_sumILi64EldPddEviT1_lS1_lT2_lT0_lPT3_i.has_recursion, 0
	.set _ZL36rocblas_hemvn_kernel_lower_block_sumILi64EldPddEviT1_lS1_lT2_lT0_lPT3_i.has_indirect_call, 0
	.section	.AMDGPU.csdata,"",@progbits
; Kernel info:
; codeLenInByte = 688
; TotalNumSgprs: 26
; NumVgprs: 9
; ScratchSize: 0
; MemoryBound: 0
; FloatMode: 240
; IeeeMode: 1
; LDSByteSize: 0 bytes/workgroup (compile time only)
; SGPRBlocks: 3
; VGPRBlocks: 2
; NumSGPRsForWavesPerEU: 26
; NumVGPRsForWavesPerEU: 9
; Occupancy: 10
; WaveLimiterHint : 0
; COMPUTE_PGM_RSRC2:SCRATCH_EN: 0
; COMPUTE_PGM_RSRC2:USER_SGPR: 6
; COMPUTE_PGM_RSRC2:TRAP_HANDLER: 0
; COMPUTE_PGM_RSRC2:TGID_X_EN: 1
; COMPUTE_PGM_RSRC2:TGID_Y_EN: 0
; COMPUTE_PGM_RSRC2:TGID_Z_EN: 1
; COMPUTE_PGM_RSRC2:TIDIG_COMP_CNT: 0
	.section	.text._ZL26rocblas_hemvn_kernel_lowerILb0ELi64ELi4ELi33ELi32ELi16EidPKdPdEviT6_lT7_lT5_lS4_lS5_lS3_lT8_i,"axG",@progbits,_ZL26rocblas_hemvn_kernel_lowerILb0ELi64ELi4ELi33ELi32ELi16EidPKdPdEviT6_lT7_lT5_lS4_lS5_lS3_lT8_i,comdat
	.globl	_ZL26rocblas_hemvn_kernel_lowerILb0ELi64ELi4ELi33ELi32ELi16EidPKdPdEviT6_lT7_lT5_lS4_lS5_lS3_lT8_i ; -- Begin function _ZL26rocblas_hemvn_kernel_lowerILb0ELi64ELi4ELi33ELi32ELi16EidPKdPdEviT6_lT7_lT5_lS4_lS5_lS3_lT8_i
	.p2align	8
	.type	_ZL26rocblas_hemvn_kernel_lowerILb0ELi64ELi4ELi33ELi32ELi16EidPKdPdEviT6_lT7_lT5_lS4_lS5_lS3_lT8_i,@function
_ZL26rocblas_hemvn_kernel_lowerILb0ELi64ELi4ELi33ELi32ELi16EidPKdPdEviT6_lT7_lT5_lS4_lS5_lS3_lT8_i: ; @_ZL26rocblas_hemvn_kernel_lowerILb0ELi64ELi4ELi33ELi32ELi16EidPKdPdEviT6_lT7_lT5_lS4_lS5_lS3_lT8_i
; %bb.0:
	s_load_dwordx2 s[0:1], s[4:5], 0x84
	s_add_u32 s12, s4, 0x78
	s_addc_u32 s13, s5, 0
	s_waitcnt lgkmcnt(0)
	s_lshr_b32 s2, s0, 16
	s_and_b32 s0, s0, 0xffff
	s_and_b32 s1, s1, 0xffff
	s_mul_i32 s0, s2, s0
	s_mul_i32 s0, s0, s1
	s_cmpk_lg_i32 s0, 0x100
	s_cbranch_scc1 .LBB112_78
; %bb.1:
	s_load_dwordx2 s[8:9], s[4:5], 0x8
	s_load_dwordx4 s[0:3], s[4:5], 0x50
	s_waitcnt lgkmcnt(0)
	v_cmp_eq_f64_e64 s[8:9], s[8:9], 0
	v_cmp_eq_f64_e64 s[2:3], s[2:3], 1.0
	s_and_b64 s[2:3], s[8:9], s[2:3]
	s_and_b64 vcc, exec, s[2:3]
	s_cbranch_vccnz .LBB112_78
; %bb.2:
	s_and_b64 vcc, exec, s[8:9]
	s_cbranch_vccnz .LBB112_78
; %bb.3:
	s_load_dword s41, s[12:13], 0x0
	s_load_dword s40, s[4:5], 0x0
	s_load_dwordx4 s[8:11], s[4:5], 0x30
	s_load_dwordx2 s[2:3], s[4:5], 0x40
	s_load_dword s33, s[4:5], 0x48
	s_mul_i32 s1, s1, s7
	s_mul_hi_u32 s12, s0, s7
	s_add_i32 s1, s12, s1
	s_mul_i32 s0, s0, s7
	s_lshl_b64 s[0:1], s[0:1], 3
	s_waitcnt lgkmcnt(0)
	s_add_u32 s10, s10, s0
	s_addc_u32 s11, s11, s1
	s_lshl_b64 s[0:1], s[2:3], 3
	s_add_u32 s0, s10, s0
	s_addc_u32 s1, s11, s1
	s_lshl_b32 s26, s6, 6
	v_add_u32_e32 v35, s26, v0
	v_mul_lo_u32 v3, s33, v35
	s_ashr_i32 s42, s40, 31
	s_lshr_b32 s3, s42, 26
	s_add_i32 s3, s40, s3
	v_ashrrev_i32_e32 v4, 31, v3
	s_andn2_b32 s3, s3, 63
	v_lshlrev_b64 v[3:4], 3, v[3:4]
	s_add_i32 s2, s41, -1
	s_sub_i32 s3, s40, s3
	v_mov_b32_e32 v2, v1
	s_cmp_eq_u32 s6, s2
	v_mov_b32_e32 v1, s1
	v_add_co_u32_e32 v19, vcc, s0, v3
	s_cselect_b32 s24, s3, 0
	v_addc_co_u32_e32 v20, vcc, v1, v4, vcc
	v_cmp_ne_u32_e64 s[0:1], 0, v2
	v_cmp_eq_u32_e64 s[2:3], 0, v2
	s_and_saveexec_b64 s[10:11], s[2:3]
	s_cbranch_execz .LBB112_7
; %bb.4:
	s_cmp_eq_u32 s24, 0
	s_cselect_b64 s[12:13], -1, 0
	v_cmp_gt_i32_e32 vcc, s24, v0
	v_mov_b32_e32 v3, 0
	v_mov_b32_e32 v4, 0
	s_or_b64 s[14:15], s[12:13], vcc
	s_and_saveexec_b64 s[12:13], s[14:15]
	s_cbranch_execz .LBB112_6
; %bb.5:
	global_load_dwordx2 v[3:4], v[19:20], off
.LBB112_6:
	s_or_b64 exec, exec, s[12:13]
	v_lshlrev_b32_e32 v1, 3, v0
	s_waitcnt vmcnt(0)
	ds_write_b64 v1, v[3:4] offset:9088
.LBB112_7:
	s_or_b64 exec, exec, s[10:11]
	s_load_dwordx4 s[12:15], s[4:5], 0x18
	s_load_dword s22, s[4:5], 0x28
	s_mul_i32 s9, s9, s7
	s_mul_hi_u32 s10, s8, s7
	s_add_i32 s9, s10, s9
	s_mul_i32 s8, s8, s7
	s_lshl_b64 s[8:9], s[8:9], 3
	s_waitcnt lgkmcnt(0)
	s_add_u32 s10, s12, s8
	v_lshl_add_u32 v25, v2, 6, v0
	s_addc_u32 s11, s13, s9
	s_lshl_b64 s[8:9], s[14:15], 3
	v_and_b32_e32 v1, 31, v0
	v_lshrrev_b32_e32 v11, 5, v25
	s_add_u32 s10, s10, s8
	s_addc_u32 s11, s11, s9
	v_mad_u64_u32 v[3:4], s[8:9], s22, v11, v[1:2]
	s_ashr_i32 s27, s26, 31
	s_lshl_b64 s[8:9], s[26:27], 3
	v_ashrrev_i32_e32 v4, 31, v3
	v_lshlrev_b64 v[21:22], 3, v[3:4]
	s_add_u32 s8, s10, s8
	s_addc_u32 s9, s11, s9
	v_add_co_u32_e32 v4, vcc, s8, v21
	s_mul_i32 s8, s22, s26
	v_mov_b32_e32 v3, s9
	s_ashr_i32 s9, s8, 31
	v_addc_co_u32_e32 v5, vcc, v3, v22, vcc
	s_lshl_b64 s[28:29], s[8:9], 3
	v_mov_b32_e32 v6, s29
	v_add_co_u32_e32 v3, vcc, s28, v4
	s_cmp_lg_u32 s24, 0
	v_addc_co_u32_e32 v4, vcc, v5, v6, vcc
	s_cselect_b64 s[30:31], -1, 0
	s_cmp_eq_u32 s24, 0
	s_cselect_b64 s[18:19], -1, 0
	s_mov_b64 s[8:9], -1
	s_and_b64 vcc, exec, s[30:31]
	s_cbranch_vccnz .LBB112_9
; %bb.8:
	s_lshl_b32 s8, s22, 3
	s_ashr_i32 s9, s8, 31
	s_lshl_b64 s[8:9], s[8:9], 3
	v_mov_b32_e32 v6, s9
	v_add_co_u32_e32 v5, vcc, s8, v3
	s_ashr_i32 s23, s22, 31
	v_addc_co_u32_e32 v6, vcc, v4, v6, vcc
	s_lshl_b64 s[8:9], s[22:23], 6
	v_mov_b32_e32 v10, s9
	v_add_co_u32_e32 v7, vcc, s8, v5
	v_addc_co_u32_e32 v8, vcc, v6, v10, vcc
	v_add_co_u32_e32 v9, vcc, s8, v7
	v_addc_co_u32_e32 v10, vcc, v8, v10, vcc
	global_load_dwordx2 v[12:13], v[3:4], off
	global_load_dwordx2 v[14:15], v[5:6], off
	;; [unrolled: 1-line block ×4, first 2 shown]
	v_mul_u32_u24_e32 v5, 0x108, v11
	v_lshl_add_u32 v5, v1, 3, v5
	s_mov_b64 s[8:9], 0
	s_waitcnt vmcnt(3)
	ds_write_b64 v5, v[12:13]
	s_waitcnt vmcnt(2)
	ds_write_b64 v5, v[14:15] offset:2112
	s_waitcnt vmcnt(1)
	ds_write_b64 v5, v[16:17] offset:4224
	;; [unrolled: 2-line block ×3, first 2 shown]
.LBB112_9:
	s_andn2_b64 vcc, exec, s[8:9]
	v_lshlrev_b32_e32 v12, 3, v1
	s_cbranch_vccnz .LBB112_19
; %bb.10:
	v_sub_co_u32_e32 v5, vcc, v3, v12
	s_ashr_i32 s25, s24, 31
	v_subbrev_co_u32_e32 v6, vcc, 0, v4, vcc
	s_lshl_b64 s[10:11], s[24:25], 3
	v_mov_b32_e32 v7, s11
	v_add_co_u32_e32 v5, vcc, s10, v5
	v_addc_co_u32_e32 v6, vcc, v6, v7, vcc
	v_add_co_u32_e32 v5, vcc, -8, v5
	v_addc_co_u32_e32 v6, vcc, -1, v6, vcc
	v_cmp_gt_i32_e32 vcc, s24, v1
	v_mov_b32_e32 v7, 0
	v_mov_b32_e32 v9, 0
	v_cndmask_b32_e32 v6, v6, v4, vcc
	v_cndmask_b32_e32 v5, v5, v3, vcc
	v_mov_b32_e32 v8, 0
	v_mov_b32_e32 v10, 0
	v_cmp_gt_i32_e64 s[8:9], s24, v11
	s_and_saveexec_b64 s[12:13], s[8:9]
	s_cbranch_execz .LBB112_12
; %bb.11:
	global_load_dwordx2 v[9:10], v[5:6], off
.LBB112_12:
	s_or_b64 exec, exec, s[12:13]
	s_movk_i32 s8, 0x108
	v_mad_u32_u24 v14, v11, s8, v12
	s_waitcnt vmcnt(0)
	ds_write_b64 v14, v[9:10]
	v_add_u32_e32 v9, 8, v11
	v_mul_u32_u24_e32 v13, 0x108, v11
	v_cmp_gt_i32_e64 s[8:9], s24, v9
	s_and_saveexec_b64 s[12:13], s[8:9]
	s_cbranch_execz .LBB112_14
; %bb.13:
	s_lshl_b32 s8, s22, 3
	s_ashr_i32 s9, s8, 31
	s_lshl_b64 s[8:9], s[8:9], 3
	v_mov_b32_e32 v8, s9
	v_add_co_u32_e64 v7, s[8:9], s8, v5
	v_addc_co_u32_e64 v8, s[8:9], v6, v8, s[8:9]
	global_load_dwordx2 v[7:8], v[7:8], off
.LBB112_14:
	s_or_b64 exec, exec, s[12:13]
	v_add_u32_e32 v13, v13, v12
	s_waitcnt vmcnt(0)
	ds_write_b64 v13, v[7:8] offset:2112
	v_add_u32_e32 v14, 16, v11
	v_mov_b32_e32 v7, 0
	v_mov_b32_e32 v9, 0
	;; [unrolled: 1-line block ×4, first 2 shown]
	v_cmp_gt_i32_e64 s[8:9], s24, v14
	s_and_saveexec_b64 s[12:13], s[8:9]
	s_cbranch_execz .LBB112_16
; %bb.15:
	s_lshl_b32 s8, s22, 4
	s_ashr_i32 s9, s8, 31
	s_lshl_b64 s[8:9], s[8:9], 3
	v_mov_b32_e32 v10, s9
	v_add_co_u32_e64 v9, s[8:9], s8, v5
	v_addc_co_u32_e64 v10, s[8:9], v6, v10, s[8:9]
	global_load_dwordx2 v[9:10], v[9:10], off
.LBB112_16:
	s_or_b64 exec, exec, s[12:13]
	s_waitcnt vmcnt(0)
	ds_write_b64 v13, v[9:10] offset:4224
	v_add_u32_e32 v9, 24, v11
	v_cmp_gt_i32_e64 s[8:9], s24, v9
	s_and_saveexec_b64 s[12:13], s[8:9]
	s_cbranch_execz .LBB112_18
; %bb.17:
	s_mul_i32 s8, s22, 24
	s_ashr_i32 s9, s8, 31
	s_lshl_b64 s[8:9], s[8:9], 3
	v_mov_b32_e32 v8, s9
	v_add_co_u32_e64 v7, s[8:9], s8, v5
	v_addc_co_u32_e64 v8, s[8:9], v6, v8, s[8:9]
	global_load_dwordx2 v[7:8], v[7:8], off
.LBB112_18:
	s_or_b64 exec, exec, s[12:13]
	v_add_co_u32_e64 v5, s[8:9], v5, v12
	v_addc_co_u32_e64 v6, s[8:9], 0, v6, s[8:9]
	s_waitcnt vmcnt(0)
	ds_write_b64 v13, v[7:8] offset:6336
	v_mov_b32_e32 v7, s11
	v_subrev_co_u32_e64 v5, s[8:9], s10, v5
	v_subb_co_u32_e64 v6, s[8:9], v6, v7, s[8:9]
	v_add_co_u32_e64 v5, s[8:9], 8, v5
	v_addc_co_u32_e64 v6, s[8:9], 0, v6, s[8:9]
	v_cndmask_b32_e32 v4, v6, v4, vcc
	v_cndmask_b32_e32 v3, v5, v3, vcc
.LBB112_19:
	v_lshlrev_b32_e32 v9, 2, v11
	v_lshl_or_b32 v5, v1, 8, v12
	v_cmp_lt_u32_e64 s[8:9], v9, v1
	s_waitcnt lgkmcnt(0)
	s_barrier
	s_and_saveexec_b64 s[10:11], s[8:9]
	s_cbranch_execz .LBB112_21
; %bb.20:
	s_movk_i32 s12, 0x420
	v_mad_u32_u24 v6, v11, s12, v12
	ds_read_b64 v[6:7], v6
	v_lshl_add_u32 v8, v9, 3, v5
	s_waitcnt lgkmcnt(0)
	ds_write_b64 v8, v[6:7]
.LBB112_21:
	s_or_b64 exec, exec, s[10:11]
	v_or_b32_e32 v13, 1, v9
	v_cmp_lt_u32_e64 s[10:11], v13, v1
	s_and_saveexec_b64 s[12:13], s[10:11]
	s_cbranch_execz .LBB112_23
; %bb.22:
	s_movk_i32 s14, 0x108
	v_mad_u32_u24 v6, v13, s14, v12
	ds_read_b64 v[6:7], v6
	v_lshl_add_u32 v8, v9, 3, v5
	s_waitcnt lgkmcnt(0)
	ds_write_b64 v8, v[6:7] offset:8
.LBB112_23:
	s_or_b64 exec, exec, s[12:13]
	v_or_b32_e32 v6, 2, v9
	v_cmp_lt_u32_e64 s[12:13], v6, v1
	s_and_saveexec_b64 s[14:15], s[12:13]
	s_cbranch_execz .LBB112_25
; %bb.24:
	s_movk_i32 s16, 0x108
	v_mad_u32_u24 v6, v6, s16, v12
	ds_read_b64 v[6:7], v6
	v_lshl_add_u32 v8, v9, 3, v5
	s_waitcnt lgkmcnt(0)
	ds_write_b64 v8, v[6:7] offset:16
.LBB112_25:
	s_or_b64 exec, exec, s[14:15]
	v_or_b32_e32 v7, 3, v9
	v_cmp_lt_u32_e64 s[14:15], v7, v1
	v_cmp_ge_u32_e32 vcc, v7, v1
                                        ; implicit-def: $vgpr6
	s_and_saveexec_b64 s[16:17], vcc
	s_xor_b64 s[16:17], exec, s[16:17]
; %bb.26:
	v_mul_u32_u24_e32 v6, 0x108, v7
                                        ; implicit-def: $vgpr5
                                        ; implicit-def: $vgpr7
; %bb.27:
	s_andn2_saveexec_b64 s[16:17], s[16:17]
	s_cbranch_execz .LBB112_29
; %bb.28:
	s_movk_i32 s20, 0x108
	v_mad_u32_u24 v6, v7, s20, v12
	ds_read_b64 v[14:15], v6
	v_lshl_add_u32 v5, v9, 3, v5
	v_mul_u32_u24_e32 v6, 0x108, v7
	s_waitcnt lgkmcnt(0)
	ds_write_b64 v5, v[14:15] offset:24
.LBB112_29:
	s_or_b64 exec, exec, s[16:17]
	s_movk_i32 s16, 0x420
	v_mad_u32_u24 v5, v11, s16, v12
	s_waitcnt lgkmcnt(0)
	s_barrier
	v_lshlrev_b32_e32 v10, 3, v9
	ds_read_b64 v[7:8], v5
	ds_read_b128 v[14:17], v10 offset:9088
	s_movk_i32 s16, 0x108
	v_mad_u32_u24 v5, v13, s16, v12
	ds_read2_b64 v[26:29], v5 offset1:33
	v_mov_b32_e32 v36, 0
	s_waitcnt lgkmcnt(1)
	v_fma_f64 v[7:8], v[7:8], v[14:15], 0
	v_add_u32_e32 v14, v12, v6
	v_mov_b32_e32 v37, 0
	v_cmp_gt_u32_e64 s[20:21], 32, v25
	ds_read_b64 v[5:6], v14
	s_waitcnt lgkmcnt(1)
	v_fma_f64 v[7:8], v[26:27], v[16:17], v[7:8]
	ds_read_b128 v[15:18], v10 offset:9104
	s_waitcnt lgkmcnt(0)
	s_barrier
	v_fma_f64 v[7:8], v[28:29], v[15:16], v[7:8]
	v_fma_f64 v[5:6], v[5:6], v[17:18], v[7:8]
	v_mul_u32_u24_e32 v7, 33, v1
	v_lshlrev_b32_e32 v26, 3, v7
	v_lshl_add_u32 v27, v11, 3, v26
	ds_write_b64 v27, v[5:6]
	s_waitcnt lgkmcnt(0)
	s_barrier
	s_and_saveexec_b64 s[16:17], s[20:21]
	s_cbranch_execz .LBB112_31
; %bb.30:
	ds_read2_b64 v[5:8], v26 offset1:1
	ds_read2_b64 v[15:18], v26 offset0:2 offset1:3
	s_waitcnt lgkmcnt(1)
	v_add_f64 v[5:6], v[5:6], v[7:8]
	s_waitcnt lgkmcnt(0)
	v_add_f64 v[5:6], v[5:6], v[15:16]
	v_add_f64 v[23:24], v[5:6], v[17:18]
	ds_read2_b64 v[5:8], v26 offset0:4 offset1:5
	ds_read2_b64 v[15:18], v26 offset0:6 offset1:7
	s_waitcnt lgkmcnt(1)
	v_add_f64 v[5:6], v[23:24], v[5:6]
	v_add_f64 v[5:6], v[5:6], v[7:8]
	s_waitcnt lgkmcnt(0)
	v_add_f64 v[5:6], v[5:6], v[15:16]
	v_add_f64 v[36:37], v[5:6], v[17:18]
.LBB112_31:
	s_or_b64 exec, exec, s[16:17]
	s_lshl_b32 s16, s22, 5
	s_ashr_i32 s17, s16, 31
	s_lshl_b64 s[34:35], s[16:17], 3
	v_mov_b32_e32 v5, s35
	v_add_co_u32_e32 v3, vcc, s34, v3
	v_addc_co_u32_e32 v4, vcc, v4, v5, vcc
	v_add_co_u32_e32 v15, vcc, 0x100, v3
	v_addc_co_u32_e32 v16, vcc, 0, v4, vcc
	v_cndmask_b32_e64 v5, 0, 1, s[18:19]
	v_cmp_ne_u32_e64 s[16:17], 1, v5
	s_andn2_b64 vcc, exec, s[18:19]
	s_mov_b64 s[18:19], -1
	s_barrier
	s_cbranch_vccnz .LBB112_33
; %bb.32:
	s_lshl_b32 s18, s22, 3
	s_ashr_i32 s19, s18, 31
	s_lshl_b64 s[18:19], s[18:19], 3
	v_mov_b32_e32 v6, s19
	v_add_co_u32_e32 v5, vcc, s18, v3
	s_ashr_i32 s23, s22, 31
	v_addc_co_u32_e32 v6, vcc, v4, v6, vcc
	s_lshl_b64 s[18:19], s[22:23], 6
	v_mov_b32_e32 v18, s19
	v_add_co_u32_e32 v7, vcc, s18, v5
	v_addc_co_u32_e32 v8, vcc, v6, v18, vcc
	v_add_co_u32_e32 v17, vcc, s18, v7
	v_addc_co_u32_e32 v18, vcc, v8, v18, vcc
	global_load_dwordx2 v[23:24], v[3:4], off offset:256
	global_load_dwordx2 v[28:29], v[5:6], off offset:256
	;; [unrolled: 1-line block ×4, first 2 shown]
	s_movk_i32 s18, 0x108
	v_mad_u32_u24 v5, v11, s18, v12
	s_mov_b64 s[18:19], 0
	s_waitcnt vmcnt(3)
	ds_write_b64 v5, v[23:24]
	s_waitcnt vmcnt(2)
	ds_write_b64 v5, v[28:29] offset:2112
	s_waitcnt vmcnt(1)
	ds_write_b64 v5, v[30:31] offset:4224
	;; [unrolled: 2-line block ×3, first 2 shown]
.LBB112_33:
	s_andn2_b64 vcc, exec, s[18:19]
	s_cbranch_vccnz .LBB112_43
; %bb.34:
	v_sub_co_u32_e32 v3, vcc, v3, v12
	s_ashr_i32 s25, s24, 31
	v_subbrev_co_u32_e32 v4, vcc, 0, v4, vcc
	s_lshl_b64 s[36:37], s[24:25], 3
	v_mov_b32_e32 v6, s37
	v_add_co_u32_e32 v3, vcc, s36, v3
	v_addc_co_u32_e32 v4, vcc, v4, v6, vcc
	v_or_b32_e32 v5, 32, v1
	v_add_co_u32_e32 v3, vcc, -8, v3
	v_addc_co_u32_e32 v4, vcc, -1, v4, vcc
	v_cmp_gt_i32_e64 s[18:19], s24, v5
	s_sub_i32 s23, s24, 32
	v_mov_b32_e32 v5, 0
	v_mov_b32_e32 v7, 0
	v_cndmask_b32_e64 v4, v4, v16, s[18:19]
	v_cndmask_b32_e64 v3, v3, v15, s[18:19]
	v_mov_b32_e32 v6, 0
	v_mov_b32_e32 v8, 0
	v_cmp_gt_i32_e32 vcc, s23, v11
	s_and_saveexec_b64 s[38:39], vcc
	s_cbranch_execz .LBB112_36
; %bb.35:
	global_load_dwordx2 v[7:8], v[3:4], off
.LBB112_36:
	s_or_b64 exec, exec, s[38:39]
	s_movk_i32 s25, 0x108
	v_mad_u32_u24 v18, v11, s25, v12
	s_waitcnt vmcnt(0)
	ds_write_b64 v18, v[7:8]
	v_add_u32_e32 v7, 8, v11
	v_mul_u32_u24_e32 v17, 0x108, v11
	v_cmp_gt_i32_e32 vcc, s23, v7
	s_and_saveexec_b64 s[38:39], vcc
	s_cbranch_execz .LBB112_38
; %bb.37:
	s_lshl_b32 s44, s22, 3
	s_ashr_i32 s45, s44, 31
	s_lshl_b64 s[44:45], s[44:45], 3
	v_mov_b32_e32 v6, s45
	v_add_co_u32_e32 v5, vcc, s44, v3
	v_addc_co_u32_e32 v6, vcc, v4, v6, vcc
	global_load_dwordx2 v[5:6], v[5:6], off
.LBB112_38:
	s_or_b64 exec, exec, s[38:39]
	v_add_u32_e32 v17, v17, v12
	s_waitcnt vmcnt(0)
	ds_write_b64 v17, v[5:6] offset:2112
	v_add_u32_e32 v18, 16, v11
	v_mov_b32_e32 v5, 0
	v_mov_b32_e32 v7, 0
	;; [unrolled: 1-line block ×4, first 2 shown]
	v_cmp_gt_i32_e32 vcc, s23, v18
	s_and_saveexec_b64 s[38:39], vcc
	s_cbranch_execz .LBB112_40
; %bb.39:
	s_lshl_b32 s44, s22, 4
	s_ashr_i32 s45, s44, 31
	s_lshl_b64 s[44:45], s[44:45], 3
	v_mov_b32_e32 v8, s45
	v_add_co_u32_e32 v7, vcc, s44, v3
	v_addc_co_u32_e32 v8, vcc, v4, v8, vcc
	global_load_dwordx2 v[7:8], v[7:8], off
.LBB112_40:
	s_or_b64 exec, exec, s[38:39]
	s_waitcnt vmcnt(0)
	ds_write_b64 v17, v[7:8] offset:4224
	v_add_u32_e32 v7, 24, v11
	v_cmp_gt_i32_e32 vcc, s23, v7
	s_and_saveexec_b64 s[38:39], vcc
	s_cbranch_execz .LBB112_42
; %bb.41:
	s_mul_i32 s44, s22, 24
	s_ashr_i32 s45, s44, 31
	s_lshl_b64 s[44:45], s[44:45], 3
	v_mov_b32_e32 v6, s45
	v_add_co_u32_e32 v5, vcc, s44, v3
	v_addc_co_u32_e32 v6, vcc, v4, v6, vcc
	global_load_dwordx2 v[5:6], v[5:6], off
.LBB112_42:
	s_or_b64 exec, exec, s[38:39]
	v_add_co_u32_e32 v3, vcc, v3, v12
	v_addc_co_u32_e32 v4, vcc, 0, v4, vcc
	s_waitcnt vmcnt(0)
	ds_write_b64 v17, v[5:6] offset:6336
	v_mov_b32_e32 v5, s37
	v_subrev_co_u32_e32 v3, vcc, s36, v3
	v_subb_co_u32_e32 v4, vcc, v4, v5, vcc
	v_add_co_u32_e32 v3, vcc, 0x108, v3
	v_addc_co_u32_e32 v4, vcc, 0, v4, vcc
	v_cndmask_b32_e64 v16, v4, v16, s[18:19]
	v_cndmask_b32_e64 v15, v3, v15, s[18:19]
.LBB112_43:
	v_mul_u32_u24_e32 v4, 0x420, v11
	v_add_u32_e32 v10, 0x2380, v10
	v_mul_u32_u24_e32 v3, 0x108, v13
	v_add_u32_e32 v4, v12, v4
	s_waitcnt lgkmcnt(0)
	s_barrier
	s_and_saveexec_b64 s[18:19], s[8:9]
	s_cbranch_execnz .LBB112_52
; %bb.44:
	s_or_b64 exec, exec, s[18:19]
	v_add_u32_e32 v3, v12, v3
	s_and_saveexec_b64 s[8:9], s[10:11]
	s_cbranch_execnz .LBB112_53
.LBB112_45:
	s_or_b64 exec, exec, s[8:9]
	s_and_saveexec_b64 s[8:9], s[12:13]
	s_cbranch_execnz .LBB112_54
.LBB112_46:
	s_or_b64 exec, exec, s[8:9]
	s_and_saveexec_b64 s[8:9], s[14:15]
	s_cbranch_execz .LBB112_48
.LBB112_47:
	ds_read_b64 v[5:6], v14
	v_lshl_add_u32 v7, v9, 3, v26
	s_waitcnt lgkmcnt(0)
	ds_write_b64 v7, v[5:6] offset:24
.LBB112_48:
	s_or_b64 exec, exec, s[8:9]
	s_waitcnt lgkmcnt(0)
	s_barrier
	ds_read_b64 v[17:18], v4
	ds_read_b128 v[4:7], v10 offset:256
	ds_read_b128 v[28:31], v10 offset:272
	ds_read_b64 v[13:14], v14
	ds_read2_b64 v[38:41], v3 offset1:33
	v_cmp_eq_u32_e64 s[8:9], 1, v11
	s_waitcnt lgkmcnt(3)
	v_fma_f64 v[4:5], v[17:18], v[4:5], 0
	s_waitcnt lgkmcnt(0)
	s_barrier
	v_fma_f64 v[3:4], v[38:39], v[6:7], v[4:5]
	v_fma_f64 v[3:4], v[40:41], v[28:29], v[3:4]
	;; [unrolled: 1-line block ×3, first 2 shown]
	ds_write_b64 v27, v[3:4]
	s_waitcnt lgkmcnt(0)
	s_barrier
	s_and_saveexec_b64 s[10:11], s[8:9]
	s_cbranch_execz .LBB112_50
; %bb.49:
	ds_read2_b64 v[3:6], v26 offset1:1
	ds_read2_b64 v[28:31], v26 offset0:2 offset1:3
	s_waitcnt lgkmcnt(1)
	v_add_f64 v[3:4], v[3:4], v[5:6]
	s_waitcnt lgkmcnt(0)
	v_add_f64 v[3:4], v[3:4], v[28:29]
	v_add_f64 v[7:8], v[3:4], v[30:31]
	ds_read2_b64 v[3:6], v26 offset0:4 offset1:5
	ds_read2_b64 v[28:31], v26 offset0:6 offset1:7
	s_waitcnt lgkmcnt(1)
	v_add_f64 v[3:4], v[7:8], v[3:4]
	v_add_f64 v[3:4], v[3:4], v[5:6]
	s_waitcnt lgkmcnt(0)
	v_add_f64 v[3:4], v[3:4], v[28:29]
	v_add_f64 v[36:37], v[3:4], v[30:31]
.LBB112_50:
	s_or_b64 exec, exec, s[10:11]
	v_mov_b32_e32 v3, s35
	v_subrev_co_u32_e64 v23, s[10:11], s34, v15
	s_and_b64 vcc, exec, s[16:17]
	v_subb_co_u32_e64 v24, s[10:11], v16, v3, s[10:11]
	s_barrier
	s_cbranch_vccnz .LBB112_55
; %bb.51:
	s_lshl_b32 s10, s22, 3
	s_ashr_i32 s11, s10, 31
	s_lshl_b64 s[10:11], s[10:11], 3
	v_mov_b32_e32 v4, s11
	v_add_co_u32_e32 v3, vcc, s10, v23
	s_ashr_i32 s23, s22, 31
	v_addc_co_u32_e32 v4, vcc, v24, v4, vcc
	s_lshl_b64 s[10:11], s[22:23], 6
	v_mov_b32_e32 v8, s11
	v_add_co_u32_e32 v5, vcc, s10, v3
	v_addc_co_u32_e32 v6, vcc, v4, v8, vcc
	v_add_co_u32_e32 v7, vcc, s10, v5
	v_addc_co_u32_e32 v8, vcc, v6, v8, vcc
	global_load_dwordx2 v[28:29], v[23:24], off
	global_load_dwordx2 v[30:31], v[3:4], off
	;; [unrolled: 1-line block ×4, first 2 shown]
	s_movk_i32 s10, 0x108
	v_mov_b32_e32 v3, 0x840
	v_mov_b32_e32 v4, 0x1080
	v_mov_b32_e32 v5, 0x18c0
	v_mul_u32_u24_e32 v14, 0x108, v11
	v_add_u32_e32 v13, 8, v11
	v_add_u32_e32 v15, 16, v11
	;; [unrolled: 1-line block ×3, first 2 shown]
	v_mad_u32_u24 v6, v11, s10, v12
	v_mad_u32_u24 v16, v11, s10, v3
	;; [unrolled: 1-line block ×4, first 2 shown]
	v_add_u32_e32 v3, v12, v16
	v_add_u32_e32 v4, v12, v17
	;; [unrolled: 1-line block ×3, first 2 shown]
	s_waitcnt vmcnt(3)
	ds_write_b64 v6, v[28:29]
	s_waitcnt vmcnt(2)
	ds_write_b64 v3, v[30:31]
	;; [unrolled: 2-line block ×4, first 2 shown]
	s_cbranch_execz .LBB112_56
	s_branch .LBB112_65
.LBB112_52:
	ds_read_b64 v[5:6], v4
	v_lshl_add_u32 v7, v9, 3, v26
	s_waitcnt lgkmcnt(0)
	ds_write_b64 v7, v[5:6]
	s_or_b64 exec, exec, s[18:19]
	v_add_u32_e32 v3, v12, v3
	s_and_saveexec_b64 s[8:9], s[10:11]
	s_cbranch_execz .LBB112_45
.LBB112_53:
	ds_read_b64 v[5:6], v3
	v_lshl_add_u32 v7, v9, 3, v26
	s_waitcnt lgkmcnt(0)
	ds_write_b64 v7, v[5:6] offset:8
	s_or_b64 exec, exec, s[8:9]
	s_and_saveexec_b64 s[8:9], s[12:13]
	s_cbranch_execz .LBB112_46
.LBB112_54:
	ds_read_b64 v[5:6], v3 offset:264
	v_lshl_add_u32 v7, v9, 3, v26
	s_waitcnt lgkmcnt(0)
	ds_write_b64 v7, v[5:6] offset:16
	s_or_b64 exec, exec, s[8:9]
	s_and_saveexec_b64 s[8:9], s[14:15]
	s_cbranch_execnz .LBB112_47
	s_branch .LBB112_48
.LBB112_55:
                                        ; implicit-def: $vgpr14
                                        ; implicit-def: $vgpr13
                                        ; implicit-def: $vgpr16
                                        ; implicit-def: $vgpr15
                                        ; implicit-def: $vgpr17
                                        ; implicit-def: $vgpr7
                                        ; implicit-def: $vgpr8
.LBB112_56:
	v_sub_co_u32_e32 v3, vcc, v23, v12
	s_ashr_i32 s25, s24, 31
	v_subbrev_co_u32_e32 v4, vcc, 0, v24, vcc
	s_lshl_b64 s[12:13], s[24:25], 3
	v_mov_b32_e32 v5, s13
	v_add_co_u32_e32 v3, vcc, s12, v3
	v_addc_co_u32_e32 v4, vcc, v4, v5, vcc
	v_or_b32_e32 v1, 32, v1
	v_add_co_u32_e32 v3, vcc, 0xfffffef8, v3
	v_addc_co_u32_e32 v4, vcc, -1, v4, vcc
	v_cmp_gt_i32_e64 s[10:11], s24, v1
	v_mov_b32_e32 v5, 0
	v_mov_b32_e32 v7, 0
	v_cndmask_b32_e64 v4, v4, v24, s[10:11]
	v_cndmask_b32_e64 v3, v3, v23, s[10:11]
	v_mov_b32_e32 v6, 0
	v_mov_b32_e32 v8, 0
	v_cmp_gt_i32_e32 vcc, s24, v11
	s_and_saveexec_b64 s[14:15], vcc
	s_cbranch_execz .LBB112_58
; %bb.57:
	global_load_dwordx2 v[7:8], v[3:4], off
.LBB112_58:
	s_or_b64 exec, exec, s[14:15]
	s_movk_i32 s14, 0x108
	v_add_u32_e32 v13, 8, v11
	v_mul_u32_u24_e32 v14, 0x108, v11
	v_mad_u32_u24 v1, v11, s14, v12
	v_cmp_gt_i32_e32 vcc, s24, v13
	s_waitcnt vmcnt(0)
	ds_write_b64 v1, v[7:8]
	s_and_saveexec_b64 s[14:15], vcc
	s_cbranch_execz .LBB112_60
; %bb.59:
	s_lshl_b32 s16, s22, 3
	s_ashr_i32 s17, s16, 31
	s_lshl_b64 s[16:17], s[16:17], 3
	v_mov_b32_e32 v1, s17
	v_add_co_u32_e32 v5, vcc, s16, v3
	v_addc_co_u32_e32 v6, vcc, v4, v1, vcc
	global_load_dwordx2 v[5:6], v[5:6], off
.LBB112_60:
	s_or_b64 exec, exec, s[14:15]
	v_add_u32_e32 v16, 0x840, v14
	v_add_u32_e32 v1, v12, v16
	s_waitcnt vmcnt(0)
	ds_write_b64 v1, v[5:6]
	v_add_u32_e32 v15, 16, v11
	v_mov_b32_e32 v5, 0
	v_mov_b32_e32 v7, 0
	;; [unrolled: 1-line block ×4, first 2 shown]
	v_cmp_gt_i32_e32 vcc, s24, v15
	s_and_saveexec_b64 s[14:15], vcc
	s_cbranch_execz .LBB112_62
; %bb.61:
	s_lshl_b32 s16, s22, 4
	s_ashr_i32 s17, s16, 31
	s_lshl_b64 s[16:17], s[16:17], 3
	v_mov_b32_e32 v1, s17
	v_add_co_u32_e32 v7, vcc, s16, v3
	v_addc_co_u32_e32 v8, vcc, v4, v1, vcc
	global_load_dwordx2 v[7:8], v[7:8], off
.LBB112_62:
	s_or_b64 exec, exec, s[14:15]
	v_add_u32_e32 v17, 0x840, v16
	v_add_u32_e32 v1, v12, v17
	s_waitcnt vmcnt(0)
	ds_write_b64 v1, v[7:8]
	v_add_u32_e32 v7, 24, v11
	v_cmp_gt_i32_e32 vcc, s24, v7
	s_and_saveexec_b64 s[14:15], vcc
	s_cbranch_execz .LBB112_64
; %bb.63:
	s_mul_i32 s16, s22, 24
	s_ashr_i32 s17, s16, 31
	s_lshl_b64 s[16:17], s[16:17], 3
	v_mov_b32_e32 v1, s17
	v_add_co_u32_e32 v5, vcc, s16, v3
	v_addc_co_u32_e32 v6, vcc, v4, v1, vcc
	global_load_dwordx2 v[5:6], v[5:6], off
.LBB112_64:
	s_or_b64 exec, exec, s[14:15]
	v_add_u32_e32 v8, 0x840, v17
	v_add_u32_e32 v1, v12, v8
	s_waitcnt vmcnt(0)
	ds_write_b64 v1, v[5:6]
	v_add_co_u32_e32 v1, vcc, v3, v12
	v_addc_co_u32_e32 v3, vcc, 0, v4, vcc
	v_mov_b32_e32 v4, s13
	v_subrev_co_u32_e32 v1, vcc, s12, v1
	v_subb_co_u32_e32 v3, vcc, v3, v4, vcc
	v_add_co_u32_e32 v1, vcc, 0x108, v1
	v_addc_co_u32_e32 v3, vcc, 0, v3, vcc
	v_cndmask_b32_e64 v24, v3, v24, s[10:11]
	v_cndmask_b32_e64 v23, v1, v23, s[10:11]
.LBB112_65:
	v_add_u32_e32 v1, v12, v14
	v_lshlrev_b32_e32 v5, 3, v11
	s_waitcnt lgkmcnt(0)
	s_barrier
	ds_read_b64 v[3:4], v1
	ds_read_b64 v[5:6], v5 offset:9088
	v_add_u32_e32 v1, v12, v16
	v_lshlrev_b32_e32 v11, 3, v13
	ds_read_b64 v[13:14], v1
	ds_read_b64 v[28:29], v11 offset:9088
	v_add_u32_e32 v1, v12, v17
	s_waitcnt lgkmcnt(2)
	v_fma_f64 v[3:4], v[3:4], v[5:6], 0
	v_lshlrev_b32_e32 v11, 3, v15
	s_waitcnt lgkmcnt(0)
	v_fma_f64 v[3:4], v[13:14], v[28:29], v[3:4]
	ds_read_b64 v[5:6], v1
	ds_read_b64 v[13:14], v11 offset:9088
	v_add_u32_e32 v1, v12, v8
	v_lshlrev_b32_e32 v11, 3, v7
	ds_read_b64 v[7:8], v1
	ds_read_b64 v[11:12], v11 offset:9088
	v_lshl_add_u32 v1, v9, 3, v26
	s_waitcnt lgkmcnt(2)
	v_fma_f64 v[3:4], v[5:6], v[13:14], v[3:4]
	s_waitcnt lgkmcnt(0)
	v_fma_f64 v[28:29], v[7:8], v[11:12], v[3:4]
	ds_read_b128 v[11:14], v10 offset:256
	ds_read_b128 v[3:6], v10 offset:272
	ds_read2_b64 v[15:18], v1 offset1:1
	ds_read2_b64 v[7:10], v1 offset0:2 offset1:3
	s_waitcnt lgkmcnt(0)
	s_barrier
	ds_write_b64 v27, v[28:29]
	s_waitcnt lgkmcnt(0)
	s_barrier
	s_and_saveexec_b64 s[10:11], s[8:9]
	s_cbranch_execz .LBB112_67
; %bb.66:
	ds_read2_b64 v[28:31], v26 offset1:1
	ds_read2_b64 v[38:41], v26 offset0:2 offset1:3
	s_waitcnt lgkmcnt(1)
	v_add_f64 v[28:29], v[36:37], v[28:29]
	v_add_f64 v[28:29], v[28:29], v[30:31]
	s_waitcnt lgkmcnt(0)
	v_add_f64 v[28:29], v[28:29], v[38:39]
	v_add_f64 v[32:33], v[28:29], v[40:41]
	ds_read2_b64 v[28:31], v26 offset0:4 offset1:5
	ds_read2_b64 v[36:39], v26 offset0:6 offset1:7
	s_waitcnt lgkmcnt(1)
	v_add_f64 v[28:29], v[32:33], v[28:29]
	v_add_f64 v[28:29], v[28:29], v[30:31]
	s_waitcnt lgkmcnt(0)
	v_add_f64 v[28:29], v[28:29], v[36:37]
	v_add_f64 v[36:37], v[28:29], v[38:39]
.LBB112_67:
	s_or_b64 exec, exec, s[10:11]
	v_fma_f64 v[11:12], v[15:16], v[11:12], 0
	s_barrier
	v_fma_f64 v[11:12], v[17:18], v[13:14], v[11:12]
	v_fma_f64 v[3:4], v[7:8], v[3:4], v[11:12]
	;; [unrolled: 1-line block ×3, first 2 shown]
	ds_write_b64 v27, v[3:4]
	s_waitcnt lgkmcnt(0)
	s_barrier
	s_and_saveexec_b64 s[8:9], s[20:21]
	s_cbranch_execz .LBB112_69
; %bb.68:
	ds_read2_b64 v[3:6], v26 offset1:1
	ds_read2_b64 v[7:10], v26 offset0:2 offset1:3
	s_waitcnt lgkmcnt(1)
	v_add_f64 v[3:4], v[36:37], v[3:4]
	v_add_f64 v[3:4], v[3:4], v[5:6]
	s_waitcnt lgkmcnt(0)
	v_add_f64 v[3:4], v[3:4], v[7:8]
	v_add_f64 v[11:12], v[3:4], v[9:10]
	ds_read2_b64 v[3:6], v26 offset0:4 offset1:5
	ds_read2_b64 v[7:10], v26 offset0:6 offset1:7
	s_waitcnt lgkmcnt(1)
	v_add_f64 v[3:4], v[11:12], v[3:4]
	v_add_f64 v[3:4], v[3:4], v[5:6]
	s_waitcnt lgkmcnt(0)
	v_add_f64 v[3:4], v[3:4], v[7:8]
	v_add_f64 v[36:37], v[3:4], v[9:10]
.LBB112_69:
	s_or_b64 exec, exec, s[8:9]
	s_load_dwordx2 s[4:5], s[4:5], 0x68
	s_mul_hi_u32 s8, s40, s7
	s_mul_i32 s42, s42, s7
	s_add_i32 s8, s8, s42
	s_mul_i32 s7, s40, s7
	s_mul_i32 s8, s8, s41
	s_mul_hi_u32 s9, s7, s41
	s_add_i32 s9, s9, s8
	s_mul_i32 s8, s7, s41
	s_lshl_b64 s[8:9], s[8:9], 3
	s_waitcnt lgkmcnt(0)
	s_add_u32 s7, s4, s8
	s_mul_i32 s4, s40, s6
	s_addc_u32 s8, s5, s9
	s_ashr_i32 s5, s4, 31
	s_lshl_b64 s[4:5], s[4:5], 3
	s_add_u32 s7, s7, s4
	v_cmp_le_i32_e32 vcc, s24, v0
	s_addc_u32 s34, s8, s5
	s_and_b64 vcc, s[30:31], vcc
	s_cmp_lt_i32 s6, 1
	v_lshlrev_b32_e32 v72, 3, v0
	s_barrier
	s_cbranch_scc1 .LBB112_76
; %bb.70:
	s_mul_i32 s4, s33, s26
	s_ashr_i32 s5, s4, 31
	s_lshl_b64 s[4:5], s[4:5], 3
	v_mov_b32_e32 v1, s5
	v_subrev_co_u32_e64 v73, s[4:5], s4, v19
	v_mul_lo_u32 v4, v2, s22
	v_subb_co_u32_e64 v74, s[4:5], v20, v1, s[4:5]
	v_mov_b32_e32 v1, s29
	v_subrev_co_u32_e64 v3, s[4:5], s28, v23
	v_subb_co_u32_e64 v1, s[4:5], v24, v1, s[4:5]
	v_sub_co_u32_e64 v7, s[4:5], v3, v21
	v_lshl_add_u32 v3, v4, 2, v0
	v_ashrrev_i32_e32 v4, 31, v3
	v_lshlrev_b64 v[3:4], 3, v[3:4]
	v_subb_co_u32_e64 v1, s[4:5], v1, v22, s[4:5]
	v_add_co_u32_e64 v3, s[4:5], v7, v3
	v_addc_co_u32_e64 v4, s[4:5], v1, v4, s[4:5]
	s_movk_i32 s4, 0xff00
	v_add_co_u32_e64 v7, s[4:5], s4, v3
	v_addc_co_u32_e64 v8, s[4:5], -1, v4, s[4:5]
	v_sub_co_u32_e64 v3, s[4:5], v3, v72
	v_subbrev_co_u32_e64 v4, s[4:5], 0, v4, s[4:5]
	s_ashr_i32 s25, s24, 31
	s_lshl_b64 s[4:5], s[24:25], 3
	v_mov_b32_e32 v9, s5
	v_add_co_u32_e64 v3, s[4:5], s4, v3
	v_addc_co_u32_e64 v4, s[4:5], v4, v9, s[4:5]
	s_movk_i32 s4, 0xfef8
	v_add_co_u32_e64 v3, s[4:5], s4, v3
	v_addc_co_u32_e64 v4, s[4:5], -1, v4, s[4:5]
	v_cndmask_b32_e32 v39, v8, v4, vcc
	v_and_b32_e32 v4, 48, v0
	v_lshrrev_b32_e32 v5, 4, v25
	v_and_b32_e32 v6, 15, v0
	v_cndmask_b32_e32 v38, v7, v3, vcc
	v_mov_b32_e32 v3, 0x2180
	s_movk_i32 s8, 0x218
	v_lshlrev_b32_e32 v4, 3, v4
	v_lshl_add_u32 v76, v2, 5, v3
	v_lshlrev_b32_e32 v3, 5, v5
	v_mad_u32_u24 v80, v6, s8, v4
	v_or_b32_e32 v4, 0x78, v72
	s_ashr_i32 s23, s22, 31
	s_lshl_b32 s28, s33, 6
	s_movk_i32 s4, 0x860
	v_mad_u32_u24 v79, v6, s8, v3
	v_mul_i32_i24_e32 v3, 0xffffffe8, v5
	v_mad_u32_u24 v81, v6, s8, v4
	s_lshl_b64 s[16:17], s[22:23], 3
	s_lshl_b64 s[18:19], s[22:23], 9
	;; [unrolled: 1-line block ×3, first 2 shown]
	s_mul_hi_i32 s8, s22, 24
	s_mul_i32 s29, s22, 24
	s_mul_hi_i32 s9, s22, 0x90
	s_mul_i32 s30, s22, 0x90
	s_mul_hi_i32 s10, s22, 0x98
	s_mul_i32 s31, s22, 0x98
	s_mul_hi_i32 s11, s22, 0x110
	s_mul_i32 s33, s22, 0x110
	s_mul_hi_i32 s12, s22, 0x118
	s_mul_i32 s35, s22, 0x118
	s_mul_hi_i32 s13, s22, 0x190
	s_mul_i32 s36, s22, 0x190
	s_mul_hi_i32 s14, s22, 0x198
	s_mul_i32 s37, s22, 0x198
	s_mul_hi_i32 s15, s22, 0x188
	s_mul_i32 s38, s22, 0x188
	s_mul_hi_i32 s27, s22, 0x180
	s_mul_i32 s39, s22, 0x180
	s_mul_hi_i32 s42, s22, 0x108
	s_mul_i32 s40, s22, 0x108
	s_lshl_b64 s[24:25], s[22:23], 8
	s_mul_hi_i32 s43, s22, 0x88
	s_mul_i32 s41, s22, 0x88
	s_lshl_b64 s[22:23], s[22:23], 7
	v_mov_b32_e32 v1, 0
	v_add_u32_e32 v75, 0x2180, v72
	v_add_u32_e32 v77, 0x2380, v72
	v_mad_u32_u24 v78, v2, s4, v72
	v_cmp_gt_u32_e64 s[4:5], 64, v25
	s_mov_b32 s26, 0
	v_mov_b32_e32 v82, s17
	v_mov_b32_e32 v83, s21
	v_mov_b32_e32 v84, s8
	v_mov_b32_e32 v85, s23
	v_mov_b32_e32 v86, s43
	v_mov_b32_e32 v87, s9
	v_mov_b32_e32 v88, s10
	v_mov_b32_e32 v89, s25
	v_mov_b32_e32 v90, s42
	v_mov_b32_e32 v91, s11
	v_mov_b32_e32 v92, s12
	v_mov_b32_e32 v93, s27
	v_mov_b32_e32 v94, s15
	v_mov_b32_e32 v95, s13
	v_mov_b32_e32 v96, s14
	v_add_u32_e32 v97, v79, v3
	v_mov_b32_e32 v98, s19
	s_branch .LBB112_72
.LBB112_71:                             ;   in Loop: Header=BB112_72 Depth=1
	s_or_b64 exec, exec, s[10:11]
	v_fma_f64 v[7:8], v[40:41], v[7:8], v[36:37]
	v_add_co_u32_e64 v38, s[8:9], s18, v38
	s_add_i32 s6, s6, -1
	s_add_i32 s26, s26, s28
	v_addc_co_u32_e64 v39, s[8:9], v39, v98, s[8:9]
	s_cmp_eq_u32 s6, 0
	v_fma_f64 v[7:8], v[42:43], v[9:10], v[7:8]
	v_add_u32_e32 v0, 64, v0
	s_waitcnt vmcnt(0)
	s_barrier
	v_fma_f64 v[3:4], v[44:45], v[3:4], v[7:8]
	v_fma_f64 v[3:4], v[46:47], v[5:6], v[3:4]
	;; [unrolled: 1-line block ×14, first 2 shown]
	s_cbranch_scc1 .LBB112_76
.LBB112_72:                             ; =>This Inner Loop Header: Depth=1
	s_and_saveexec_b64 s[10:11], s[2:3]
	s_cbranch_execz .LBB112_74
; %bb.73:                               ;   in Loop: Header=BB112_72 Depth=1
	s_ashr_i32 s27, s26, 31
	s_lshl_b64 s[8:9], s[26:27], 3
	v_mov_b32_e32 v4, s9
	v_add_co_u32_e64 v3, s[8:9], s8, v73
	v_addc_co_u32_e64 v4, s[8:9], v74, v4, s[8:9]
	global_load_dwordx2 v[3:4], v[3:4], off
	s_waitcnt vmcnt(0)
	ds_write_b64 v75, v[3:4]
.LBB112_74:                             ;   in Loop: Header=BB112_72 Depth=1
	s_or_b64 exec, exec, s[10:11]
	v_add_co_u32_e64 v3, s[8:9], s16, v38
	v_addc_co_u32_e64 v4, s[8:9], v39, v82, s[8:9]
	s_waitcnt lgkmcnt(0)
	s_barrier
	global_load_dwordx2 v[40:41], v[38:39], off
	global_load_dwordx2 v[42:43], v[3:4], off
	v_add_co_u32_e64 v3, s[8:9], s20, v38
	v_addc_co_u32_e64 v4, s[8:9], v39, v83, s[8:9]
	v_add_co_u32_e64 v5, s[8:9], s29, v38
	v_addc_co_u32_e64 v6, s[8:9], v39, v84, s[8:9]
	global_load_dwordx2 v[44:45], v[3:4], off
	global_load_dwordx2 v[46:47], v[5:6], off
	ds_read_b64 v[11:12], v77
	ds_read_b128 v[7:10], v76
	ds_read_b128 v[3:6], v76 offset:16
	v_add_co_u32_e64 v15, s[8:9], s22, v38
	v_add_co_u32_e64 v17, s[10:11], s41, v38
	;; [unrolled: 1-line block ×4, first 2 shown]
	v_addc_co_u32_e64 v16, s[8:9], v39, v85, s[8:9]
	v_addc_co_u32_e64 v18, s[8:9], v39, v86, s[10:11]
	;; [unrolled: 1-line block ×4, first 2 shown]
	v_add_co_u32_e64 v27, s[8:9], s24, v38
	v_add_co_u32_e64 v60, s[10:11], s40, v38
	v_addc_co_u32_e64 v28, s[8:9], v39, v89, s[8:9]
	v_addc_co_u32_e64 v61, s[8:9], v39, v90, s[10:11]
	s_waitcnt vmcnt(3) lgkmcnt(2)
	v_mul_f64 v[13:14], v[40:41], v[11:12]
	s_waitcnt vmcnt(2)
	v_mul_f64 v[19:20], v[42:43], v[11:12]
	s_waitcnt vmcnt(1)
	;; [unrolled: 2-line block ×3, first 2 shown]
	v_mul_f64 v[11:12], v[46:47], v[11:12]
	ds_write2_b64 v78, v[13:14], v[19:20] offset1:67
	ds_write2_b64 v78, v[21:22], v[11:12] offset0:134 offset1:201
	s_waitcnt lgkmcnt(0)
	s_barrier
	ds_read2_b64 v[11:14], v79 offset1:1
	ds_read2_b64 v[19:22], v79 offset0:2 offset1:3
	s_waitcnt lgkmcnt(0)
	s_barrier
	global_load_dwordx2 v[48:49], v[15:16], off
	global_load_dwordx2 v[50:51], v[17:18], off
	;; [unrolled: 1-line block ×4, first 2 shown]
	v_add_f64 v[11:12], v[11:12], 0
	ds_read_b64 v[15:16], v77
	v_add_f64 v[23:24], v[11:12], v[13:14]
	v_add_f64 v[19:20], v[23:24], v[19:20]
	;; [unrolled: 1-line block ×3, first 2 shown]
	s_waitcnt vmcnt(3) lgkmcnt(0)
	v_mul_f64 v[25:26], v[48:49], v[15:16]
	s_waitcnt vmcnt(2)
	v_mul_f64 v[29:30], v[50:51], v[15:16]
	s_waitcnt vmcnt(1)
	;; [unrolled: 2-line block ×3, first 2 shown]
	v_mul_f64 v[33:34], v[54:55], v[15:16]
	ds_read_b128 v[15:18], v76 offset:128
	ds_read_b128 v[11:14], v76 offset:144
	ds_write2_b64 v78, v[25:26], v[29:30] offset1:67
	ds_write2_b64 v78, v[31:32], v[33:34] offset0:134 offset1:201
	s_waitcnt lgkmcnt(0)
	s_barrier
	ds_read2_b64 v[23:26], v79 offset1:1
	ds_read2_b64 v[19:22], v79 offset0:2 offset1:3
	s_waitcnt lgkmcnt(0)
	s_barrier
	v_add_f64 v[23:24], v[23:24], 0
	global_load_dwordx2 v[56:57], v[27:28], off
	global_load_dwordx2 v[58:59], v[60:61], off
	v_add_co_u32_e64 v27, s[8:9], s33, v38
	v_addc_co_u32_e64 v28, s[8:9], v39, v91, s[8:9]
	v_add_f64 v[23:24], v[23:24], v[25:26]
	v_add_co_u32_e64 v25, s[10:11], s35, v38
	v_addc_co_u32_e64 v26, s[8:9], v39, v92, s[10:11]
	global_load_dwordx2 v[60:61], v[27:28], off
	global_load_dwordx2 v[62:63], v[25:26], off
	v_add_f64 v[19:20], v[23:24], v[19:20]
	ds_read_b64 v[23:24], v77
	v_add_f64 v[109:110], v[19:20], v[21:22]
	s_waitcnt vmcnt(3) lgkmcnt(0)
	v_mul_f64 v[19:20], v[56:57], v[23:24]
	s_waitcnt vmcnt(2)
	v_mul_f64 v[21:22], v[58:59], v[23:24]
	ds_write2_b64 v78, v[19:20], v[21:22] offset1:67
	s_waitcnt vmcnt(1)
	v_mul_f64 v[19:20], v[60:61], v[23:24]
	s_waitcnt vmcnt(0)
	v_mul_f64 v[21:22], v[62:63], v[23:24]
	ds_write2_b64 v78, v[19:20], v[21:22] offset0:134 offset1:201
	ds_read_b128 v[23:26], v76 offset:256
	ds_read_b128 v[19:22], v76 offset:272
	s_waitcnt lgkmcnt(0)
	s_barrier
	ds_read2_b64 v[27:30], v79 offset1:1
	ds_read2_b64 v[99:102], v79 offset0:2 offset1:3
	s_waitcnt lgkmcnt(0)
	s_barrier
	v_add_f64 v[27:28], v[27:28], 0
	v_add_f64 v[111:112], v[27:28], v[29:30]
	v_add_co_u32_e64 v27, s[8:9], s39, v38
	v_addc_co_u32_e64 v28, s[8:9], v39, v93, s[8:9]
	v_add_co_u32_e64 v29, s[8:9], s38, v38
	v_addc_co_u32_e64 v30, s[8:9], v39, v94, s[8:9]
	global_load_dwordx2 v[64:65], v[27:28], off
	global_load_dwordx2 v[66:67], v[29:30], off
	ds_read_b64 v[27:28], v77
	v_add_f64 v[99:100], v[111:112], v[99:100]
	s_waitcnt vmcnt(1) lgkmcnt(0)
	v_mul_f64 v[29:30], v[64:65], v[27:28]
	s_waitcnt vmcnt(0)
	v_mul_f64 v[31:32], v[66:67], v[27:28]
	ds_write2_b64 v78, v[29:30], v[31:32] offset1:67
	v_add_co_u32_e64 v29, s[8:9], s36, v38
	v_addc_co_u32_e64 v30, s[8:9], v39, v95, s[8:9]
	v_add_co_u32_e64 v31, s[8:9], s37, v38
	v_addc_co_u32_e64 v32, s[8:9], v39, v96, s[8:9]
	global_load_dwordx2 v[70:71], v[29:30], off
	global_load_dwordx2 v[68:69], v[31:32], off
	s_waitcnt vmcnt(1)
	v_mul_f64 v[29:30], v[70:71], v[27:28]
	s_waitcnt vmcnt(0)
	v_mul_f64 v[27:28], v[68:69], v[27:28]
	ds_write2_b64 v78, v[29:30], v[27:28] offset0:134 offset1:201
	ds_read_b128 v[31:34], v76 offset:384
	ds_read_b128 v[27:30], v76 offset:400
	s_waitcnt lgkmcnt(0)
	s_barrier
	ds_read2_b64 v[103:106], v79 offset1:1
	s_waitcnt lgkmcnt(0)
	v_add_f64 v[103:104], v[103:104], 0
	v_add_f64 v[103:104], v[103:104], v[105:106]
	;; [unrolled: 1-line block ×3, first 2 shown]
	ds_read2_b64 v[99:102], v79 offset0:2 offset1:3
	s_waitcnt lgkmcnt(0)
	s_barrier
	v_add_f64 v[99:100], v[103:104], v[99:100]
	v_add_f64 v[99:100], v[99:100], v[101:102]
	ds_write2_b64 v97, v[107:108], v[109:110] offset1:16
	ds_write2_b64 v97, v[105:106], v[99:100] offset0:32 offset1:48
	s_waitcnt lgkmcnt(0)
	s_barrier
	s_and_saveexec_b64 s[10:11], s[4:5]
	s_cbranch_execz .LBB112_71
; %bb.75:                               ;   in Loop: Header=BB112_72 Depth=1
	ds_read2_b64 v[99:102], v80 offset1:1
	ds_read2_b64 v[103:106], v80 offset0:2 offset1:3
	s_waitcnt lgkmcnt(1)
	v_add_f64 v[99:100], v[99:100], v[101:102]
	s_waitcnt lgkmcnt(0)
	v_add_f64 v[99:100], v[99:100], v[103:104]
	v_add_f64 v[107:108], v[99:100], v[105:106]
	ds_read2_b64 v[99:102], v80 offset0:4 offset1:5
	ds_read2_b64 v[103:106], v80 offset0:6 offset1:7
	s_waitcnt lgkmcnt(1)
	v_add_f64 v[99:100], v[107:108], v[99:100]
	v_add_f64 v[99:100], v[99:100], v[101:102]
	s_waitcnt lgkmcnt(0)
	v_add_f64 v[99:100], v[99:100], v[103:104]
	v_add_f64 v[107:108], v[99:100], v[105:106]
	ds_read2_b64 v[99:102], v80 offset0:8 offset1:9
	ds_read2_b64 v[103:106], v80 offset0:10 offset1:11
	s_waitcnt lgkmcnt(1)
	v_add_f64 v[99:100], v[107:108], v[99:100]
	v_add_f64 v[99:100], v[99:100], v[101:102]
	s_waitcnt lgkmcnt(0)
	v_add_f64 v[99:100], v[99:100], v[103:104]
	v_add_f64 v[103:104], v[99:100], v[105:106]
	ds_read2_b64 v[99:102], v80 offset0:12 offset1:13
	ds_read_b64 v[105:106], v80 offset:112
	s_waitcnt lgkmcnt(1)
	v_add_f64 v[99:100], v[103:104], v[99:100]
	v_mov_b32_e32 v103, s34
	v_add_f64 v[99:100], v[99:100], v[101:102]
	ds_read_b64 v[101:102], v81
	s_waitcnt lgkmcnt(1)
	v_add_f64 v[99:100], v[99:100], v[105:106]
	s_waitcnt lgkmcnt(0)
	v_add_f64 v[99:100], v[99:100], v[101:102]
	v_lshlrev_b64 v[101:102], 3, v[0:1]
	v_add_co_u32_e64 v101, s[8:9], s7, v101
	v_addc_co_u32_e64 v102, s[8:9], v103, v102, s[8:9]
	global_store_dwordx2 v[101:102], v[99:100], off
	s_branch .LBB112_71
.LBB112_76:
	s_movk_i32 s2, 0x218
	v_mad_u32_u24 v0, v2, s2, v72
	s_nor_b64 s[0:1], s[0:1], vcc
	ds_write_b64 v0, v[36:37]
	s_waitcnt lgkmcnt(0)
	s_barrier
	s_and_saveexec_b64 s[2:3], s[0:1]
	s_cbranch_execz .LBB112_78
; %bb.77:
	ds_read2_b64 v[0:3], v72 offset1:67
	v_ashrrev_i32_e32 v36, 31, v35
	s_waitcnt lgkmcnt(0)
	v_add_f64 v[4:5], v[0:1], v[2:3]
	ds_read2_b64 v[0:3], v72 offset0:134 offset1:201
	s_waitcnt lgkmcnt(0)
	v_add_f64 v[0:1], v[4:5], v[0:1]
	v_mov_b32_e32 v4, s34
	v_add_f64 v[0:1], v[0:1], v[2:3]
	v_lshlrev_b64 v[2:3], 3, v[35:36]
	v_add_co_u32_e32 v2, vcc, s7, v2
	v_addc_co_u32_e32 v3, vcc, v4, v3, vcc
	global_store_dwordx2 v[2:3], v[0:1], off
.LBB112_78:
	s_endpgm
	.section	.rodata,"a",@progbits
	.p2align	6, 0x0
	.amdhsa_kernel _ZL26rocblas_hemvn_kernel_lowerILb0ELi64ELi4ELi33ELi32ELi16EidPKdPdEviT6_lT7_lT5_lS4_lS5_lS3_lT8_i
		.amdhsa_group_segment_fixed_size 9600
		.amdhsa_private_segment_fixed_size 0
		.amdhsa_kernarg_size 376
		.amdhsa_user_sgpr_count 6
		.amdhsa_user_sgpr_private_segment_buffer 1
		.amdhsa_user_sgpr_dispatch_ptr 0
		.amdhsa_user_sgpr_queue_ptr 0
		.amdhsa_user_sgpr_kernarg_segment_ptr 1
		.amdhsa_user_sgpr_dispatch_id 0
		.amdhsa_user_sgpr_flat_scratch_init 0
		.amdhsa_user_sgpr_private_segment_size 0
		.amdhsa_uses_dynamic_stack 0
		.amdhsa_system_sgpr_private_segment_wavefront_offset 0
		.amdhsa_system_sgpr_workgroup_id_x 1
		.amdhsa_system_sgpr_workgroup_id_y 0
		.amdhsa_system_sgpr_workgroup_id_z 1
		.amdhsa_system_sgpr_workgroup_info 0
		.amdhsa_system_vgpr_workitem_id 1
		.amdhsa_next_free_vgpr 113
		.amdhsa_next_free_sgpr 93
		.amdhsa_reserve_vcc 1
		.amdhsa_reserve_flat_scratch 0
		.amdhsa_float_round_mode_32 0
		.amdhsa_float_round_mode_16_64 0
		.amdhsa_float_denorm_mode_32 3
		.amdhsa_float_denorm_mode_16_64 3
		.amdhsa_dx10_clamp 1
		.amdhsa_ieee_mode 1
		.amdhsa_fp16_overflow 0
		.amdhsa_exception_fp_ieee_invalid_op 0
		.amdhsa_exception_fp_denorm_src 0
		.amdhsa_exception_fp_ieee_div_zero 0
		.amdhsa_exception_fp_ieee_overflow 0
		.amdhsa_exception_fp_ieee_underflow 0
		.amdhsa_exception_fp_ieee_inexact 0
		.amdhsa_exception_int_div_zero 0
	.end_amdhsa_kernel
	.section	.text._ZL26rocblas_hemvn_kernel_lowerILb0ELi64ELi4ELi33ELi32ELi16EidPKdPdEviT6_lT7_lT5_lS4_lS5_lS3_lT8_i,"axG",@progbits,_ZL26rocblas_hemvn_kernel_lowerILb0ELi64ELi4ELi33ELi32ELi16EidPKdPdEviT6_lT7_lT5_lS4_lS5_lS3_lT8_i,comdat
.Lfunc_end112:
	.size	_ZL26rocblas_hemvn_kernel_lowerILb0ELi64ELi4ELi33ELi32ELi16EidPKdPdEviT6_lT7_lT5_lS4_lS5_lS3_lT8_i, .Lfunc_end112-_ZL26rocblas_hemvn_kernel_lowerILb0ELi64ELi4ELi33ELi32ELi16EidPKdPdEviT6_lT7_lT5_lS4_lS5_lS3_lT8_i
                                        ; -- End function
	.set _ZL26rocblas_hemvn_kernel_lowerILb0ELi64ELi4ELi33ELi32ELi16EidPKdPdEviT6_lT7_lT5_lS4_lS5_lS3_lT8_i.num_vgpr, 113
	.set _ZL26rocblas_hemvn_kernel_lowerILb0ELi64ELi4ELi33ELi32ELi16EidPKdPdEviT6_lT7_lT5_lS4_lS5_lS3_lT8_i.num_agpr, 0
	.set _ZL26rocblas_hemvn_kernel_lowerILb0ELi64ELi4ELi33ELi32ELi16EidPKdPdEviT6_lT7_lT5_lS4_lS5_lS3_lT8_i.numbered_sgpr, 46
	.set _ZL26rocblas_hemvn_kernel_lowerILb0ELi64ELi4ELi33ELi32ELi16EidPKdPdEviT6_lT7_lT5_lS4_lS5_lS3_lT8_i.num_named_barrier, 0
	.set _ZL26rocblas_hemvn_kernel_lowerILb0ELi64ELi4ELi33ELi32ELi16EidPKdPdEviT6_lT7_lT5_lS4_lS5_lS3_lT8_i.private_seg_size, 0
	.set _ZL26rocblas_hemvn_kernel_lowerILb0ELi64ELi4ELi33ELi32ELi16EidPKdPdEviT6_lT7_lT5_lS4_lS5_lS3_lT8_i.uses_vcc, 1
	.set _ZL26rocblas_hemvn_kernel_lowerILb0ELi64ELi4ELi33ELi32ELi16EidPKdPdEviT6_lT7_lT5_lS4_lS5_lS3_lT8_i.uses_flat_scratch, 0
	.set _ZL26rocblas_hemvn_kernel_lowerILb0ELi64ELi4ELi33ELi32ELi16EidPKdPdEviT6_lT7_lT5_lS4_lS5_lS3_lT8_i.has_dyn_sized_stack, 0
	.set _ZL26rocblas_hemvn_kernel_lowerILb0ELi64ELi4ELi33ELi32ELi16EidPKdPdEviT6_lT7_lT5_lS4_lS5_lS3_lT8_i.has_recursion, 0
	.set _ZL26rocblas_hemvn_kernel_lowerILb0ELi64ELi4ELi33ELi32ELi16EidPKdPdEviT6_lT7_lT5_lS4_lS5_lS3_lT8_i.has_indirect_call, 0
	.section	.AMDGPU.csdata,"",@progbits
; Kernel info:
; codeLenInByte = 6384
; TotalNumSgprs: 50
; NumVgprs: 113
; ScratchSize: 0
; MemoryBound: 0
; FloatMode: 240
; IeeeMode: 1
; LDSByteSize: 9600 bytes/workgroup (compile time only)
; SGPRBlocks: 12
; VGPRBlocks: 28
; NumSGPRsForWavesPerEU: 97
; NumVGPRsForWavesPerEU: 113
; Occupancy: 2
; WaveLimiterHint : 1
; COMPUTE_PGM_RSRC2:SCRATCH_EN: 0
; COMPUTE_PGM_RSRC2:USER_SGPR: 6
; COMPUTE_PGM_RSRC2:TRAP_HANDLER: 0
; COMPUTE_PGM_RSRC2:TGID_X_EN: 1
; COMPUTE_PGM_RSRC2:TGID_Y_EN: 0
; COMPUTE_PGM_RSRC2:TGID_Z_EN: 1
; COMPUTE_PGM_RSRC2:TIDIG_COMP_CNT: 1
	.section	.text._ZL36rocblas_hemvn_kernel_lower_block_sumILi64EidPddEviT1_lS1_lT2_lT0_lPT3_i,"axG",@progbits,_ZL36rocblas_hemvn_kernel_lower_block_sumILi64EidPddEviT1_lS1_lT2_lT0_lPT3_i,comdat
	.globl	_ZL36rocblas_hemvn_kernel_lower_block_sumILi64EidPddEviT1_lS1_lT2_lT0_lPT3_i ; -- Begin function _ZL36rocblas_hemvn_kernel_lower_block_sumILi64EidPddEviT1_lS1_lT2_lT0_lPT3_i
	.p2align	8
	.type	_ZL36rocblas_hemvn_kernel_lower_block_sumILi64EidPddEviT1_lS1_lT2_lT0_lPT3_i,@function
_ZL36rocblas_hemvn_kernel_lower_block_sumILi64EidPddEviT1_lS1_lT2_lT0_lPT3_i: ; @_ZL36rocblas_hemvn_kernel_lower_block_sumILi64EidPddEviT1_lS1_lT2_lT0_lPT3_i
; %bb.0:
	s_load_dwordx2 s[2:3], s[4:5], 0x8
	s_load_dwordx2 s[8:9], s[4:5], 0x18
	s_waitcnt lgkmcnt(0)
	v_cmp_eq_f64_e64 s[0:1], s[2:3], 0
	v_cmp_eq_f64_e64 s[10:11], s[8:9], 1.0
	s_and_b64 s[0:1], s[0:1], s[10:11]
	s_and_b64 vcc, exec, s[0:1]
	s_cbranch_vccnz .LBB113_19
; %bb.1:
	s_load_dwordx2 s[0:1], s[4:5], 0x40
	s_load_dwordx4 s[16:19], s[4:5], 0x28
	s_load_dword s20, s[4:5], 0x38
	s_load_dword s12, s[4:5], 0x0
	v_cmp_neq_f64_e64 s[14:15], s[2:3], 0
	s_waitcnt lgkmcnt(0)
	s_mul_i32 s1, s1, s7
	s_mul_hi_u32 s10, s0, s7
	s_add_i32 s1, s10, s1
	s_mul_i32 s0, s0, s7
	s_lshl_b64 s[0:1], s[0:1], 3
	s_add_u32 s10, s16, s0
	s_addc_u32 s11, s17, s1
	s_lshl_b64 s[0:1], s[18:19], 3
	s_add_u32 s18, s10, s0
	v_lshl_or_b32 v6, s6, 6, v0
	s_addc_u32 s19, s11, s1
	s_mov_b64 s[10:11], 0
	s_and_b64 vcc, exec, s[14:15]
	v_cmp_gt_i32_e64 s[0:1], s12, v6
	s_cbranch_vccnz .LBB113_6
; %bb.2:
	s_mov_b64 s[14:15], 0
                                        ; implicit-def: $vgpr2_vgpr3
                                        ; implicit-def: $vgpr0_vgpr1
	s_and_saveexec_b64 s[16:17], s[0:1]
	s_cbranch_execz .LBB113_7
; %bb.3:
	v_cmp_eq_f64_e64 s[0:1], s[8:9], 0
	v_mul_lo_u32 v0, s20, v6
	v_mov_b32_e32 v2, 0
	v_mov_b32_e32 v3, 0
	v_ashrrev_i32_e32 v1, 31, v0
	s_and_b64 vcc, exec, s[0:1]
	s_cbranch_vccnz .LBB113_5
; %bb.4:
	v_lshlrev_b64 v[2:3], 3, v[0:1]
	v_mov_b32_e32 v4, s19
	v_add_co_u32_e32 v2, vcc, s18, v2
	v_addc_co_u32_e32 v3, vcc, v4, v3, vcc
	global_load_dwordx2 v[2:3], v[2:3], off
	s_waitcnt vmcnt(0)
	v_mul_f64 v[2:3], s[8:9], v[2:3]
.LBB113_5:
	s_mov_b64 s[10:11], exec
	s_or_b64 exec, exec, s[16:17]
	s_and_b64 vcc, exec, s[14:15]
	s_cbranch_vccnz .LBB113_8
	s_branch .LBB113_17
.LBB113_6:
                                        ; implicit-def: $vgpr2_vgpr3
                                        ; implicit-def: $vgpr0_vgpr1
	s_cbranch_execnz .LBB113_8
	s_branch .LBB113_17
.LBB113_7:
	s_or_b64 exec, exec, s[16:17]
	s_and_b64 vcc, exec, s[14:15]
	s_cbranch_vccz .LBB113_17
.LBB113_8:
	v_cmp_gt_i32_e32 vcc, s12, v6
                                        ; implicit-def: $vgpr2_vgpr3
                                        ; implicit-def: $vgpr0_vgpr1
	s_and_saveexec_b64 s[0:1], vcc
	s_cbranch_execz .LBB113_16
; %bb.9:
	s_load_dword s14, s[4:5], 0x58
	v_mov_b32_e32 v4, 0
	v_mov_b32_e32 v5, 0
	s_waitcnt lgkmcnt(0)
	s_cmp_ge_i32 s6, s14
	s_cbranch_scc1 .LBB113_12
; %bb.10:
	s_ashr_i32 s13, s12, 31
	s_mul_i32 s15, s12, s6
	s_load_dwordx2 s[4:5], s[4:5], 0x48
	v_add_u32_e32 v0, s15, v6
	s_mul_hi_u32 s15, s12, s7
	s_mul_i32 s16, s13, s7
	s_add_i32 s15, s15, s16
	s_mul_i32 s7, s12, s7
	s_mul_i32 s15, s15, s14
	s_mul_hi_u32 s16, s7, s14
	s_add_i32 s17, s16, s15
	s_mul_i32 s16, s7, s14
	v_ashrrev_i32_e32 v1, 31, v0
	s_lshl_b64 s[16:17], s[16:17], 3
	v_lshlrev_b64 v[0:1], 3, v[0:1]
	s_waitcnt lgkmcnt(0)
	s_add_u32 s4, s4, s16
	s_addc_u32 s5, s5, s17
	v_mov_b32_e32 v2, s5
	v_add_co_u32_e32 v0, vcc, s4, v0
	s_lshl_b64 s[4:5], s[12:13], 3
	v_mov_b32_e32 v4, 0
	v_addc_co_u32_e32 v1, vcc, v2, v1, vcc
	v_mov_b32_e32 v5, 0
	v_mov_b32_e32 v2, s5
.LBB113_11:                             ; =>This Inner Loop Header: Depth=1
	global_load_dwordx2 v[7:8], v[0:1], off
	s_add_i32 s6, s6, 1
	v_add_co_u32_e32 v0, vcc, s4, v0
	s_cmp_ge_i32 s6, s14
	v_addc_co_u32_e32 v1, vcc, v1, v2, vcc
	s_waitcnt vmcnt(0)
	v_add_f64 v[4:5], v[4:5], v[7:8]
	s_cbranch_scc0 .LBB113_11
.LBB113_12:
	v_cmp_eq_f64_e64 s[6:7], s[8:9], 0
	v_mul_lo_u32 v0, s20, v6
	s_mov_b64 s[4:5], 0
	v_ashrrev_i32_e32 v1, 31, v0
	s_and_b64 vcc, exec, s[6:7]
	s_cbranch_vccz .LBB113_20
; %bb.13:
	v_mul_f64 v[2:3], s[2:3], v[4:5]
	s_andn2_b64 vcc, exec, s[4:5]
	s_cbranch_vccnz .LBB113_15
.LBB113_14:
	v_lshlrev_b64 v[2:3], 3, v[0:1]
	v_mov_b32_e32 v6, s19
	v_add_co_u32_e32 v2, vcc, s18, v2
	v_addc_co_u32_e32 v3, vcc, v6, v3, vcc
	global_load_dwordx2 v[2:3], v[2:3], off
	s_waitcnt vmcnt(0)
	v_mul_f64 v[2:3], s[8:9], v[2:3]
	v_fma_f64 v[2:3], s[2:3], v[4:5], v[2:3]
.LBB113_15:
	s_or_b64 s[10:11], s[10:11], exec
.LBB113_16:
	s_or_b64 exec, exec, s[0:1]
.LBB113_17:
	s_and_saveexec_b64 s[0:1], s[10:11]
	s_cbranch_execz .LBB113_19
; %bb.18:
	v_lshlrev_b64 v[0:1], 3, v[0:1]
	v_mov_b32_e32 v4, s19
	v_add_co_u32_e32 v0, vcc, s18, v0
	v_addc_co_u32_e32 v1, vcc, v4, v1, vcc
	global_store_dwordx2 v[0:1], v[2:3], off
.LBB113_19:
	s_endpgm
.LBB113_20:
                                        ; implicit-def: $vgpr2_vgpr3
	s_branch .LBB113_14
	.section	.rodata,"a",@progbits
	.p2align	6, 0x0
	.amdhsa_kernel _ZL36rocblas_hemvn_kernel_lower_block_sumILi64EidPddEviT1_lS1_lT2_lT0_lPT3_i
		.amdhsa_group_segment_fixed_size 0
		.amdhsa_private_segment_fixed_size 0
		.amdhsa_kernarg_size 344
		.amdhsa_user_sgpr_count 6
		.amdhsa_user_sgpr_private_segment_buffer 1
		.amdhsa_user_sgpr_dispatch_ptr 0
		.amdhsa_user_sgpr_queue_ptr 0
		.amdhsa_user_sgpr_kernarg_segment_ptr 1
		.amdhsa_user_sgpr_dispatch_id 0
		.amdhsa_user_sgpr_flat_scratch_init 0
		.amdhsa_user_sgpr_private_segment_size 0
		.amdhsa_uses_dynamic_stack 0
		.amdhsa_system_sgpr_private_segment_wavefront_offset 0
		.amdhsa_system_sgpr_workgroup_id_x 1
		.amdhsa_system_sgpr_workgroup_id_y 0
		.amdhsa_system_sgpr_workgroup_id_z 1
		.amdhsa_system_sgpr_workgroup_info 0
		.amdhsa_system_vgpr_workitem_id 0
		.amdhsa_next_free_vgpr 9
		.amdhsa_next_free_sgpr 21
		.amdhsa_reserve_vcc 1
		.amdhsa_reserve_flat_scratch 0
		.amdhsa_float_round_mode_32 0
		.amdhsa_float_round_mode_16_64 0
		.amdhsa_float_denorm_mode_32 3
		.amdhsa_float_denorm_mode_16_64 3
		.amdhsa_dx10_clamp 1
		.amdhsa_ieee_mode 1
		.amdhsa_fp16_overflow 0
		.amdhsa_exception_fp_ieee_invalid_op 0
		.amdhsa_exception_fp_denorm_src 0
		.amdhsa_exception_fp_ieee_div_zero 0
		.amdhsa_exception_fp_ieee_overflow 0
		.amdhsa_exception_fp_ieee_underflow 0
		.amdhsa_exception_fp_ieee_inexact 0
		.amdhsa_exception_int_div_zero 0
	.end_amdhsa_kernel
	.section	.text._ZL36rocblas_hemvn_kernel_lower_block_sumILi64EidPddEviT1_lS1_lT2_lT0_lPT3_i,"axG",@progbits,_ZL36rocblas_hemvn_kernel_lower_block_sumILi64EidPddEviT1_lS1_lT2_lT0_lPT3_i,comdat
.Lfunc_end113:
	.size	_ZL36rocblas_hemvn_kernel_lower_block_sumILi64EidPddEviT1_lS1_lT2_lT0_lPT3_i, .Lfunc_end113-_ZL36rocblas_hemvn_kernel_lower_block_sumILi64EidPddEviT1_lS1_lT2_lT0_lPT3_i
                                        ; -- End function
	.set _ZL36rocblas_hemvn_kernel_lower_block_sumILi64EidPddEviT1_lS1_lT2_lT0_lPT3_i.num_vgpr, 9
	.set _ZL36rocblas_hemvn_kernel_lower_block_sumILi64EidPddEviT1_lS1_lT2_lT0_lPT3_i.num_agpr, 0
	.set _ZL36rocblas_hemvn_kernel_lower_block_sumILi64EidPddEviT1_lS1_lT2_lT0_lPT3_i.numbered_sgpr, 21
	.set _ZL36rocblas_hemvn_kernel_lower_block_sumILi64EidPddEviT1_lS1_lT2_lT0_lPT3_i.num_named_barrier, 0
	.set _ZL36rocblas_hemvn_kernel_lower_block_sumILi64EidPddEviT1_lS1_lT2_lT0_lPT3_i.private_seg_size, 0
	.set _ZL36rocblas_hemvn_kernel_lower_block_sumILi64EidPddEviT1_lS1_lT2_lT0_lPT3_i.uses_vcc, 1
	.set _ZL36rocblas_hemvn_kernel_lower_block_sumILi64EidPddEviT1_lS1_lT2_lT0_lPT3_i.uses_flat_scratch, 0
	.set _ZL36rocblas_hemvn_kernel_lower_block_sumILi64EidPddEviT1_lS1_lT2_lT0_lPT3_i.has_dyn_sized_stack, 0
	.set _ZL36rocblas_hemvn_kernel_lower_block_sumILi64EidPddEviT1_lS1_lT2_lT0_lPT3_i.has_recursion, 0
	.set _ZL36rocblas_hemvn_kernel_lower_block_sumILi64EidPddEviT1_lS1_lT2_lT0_lPT3_i.has_indirect_call, 0
	.section	.AMDGPU.csdata,"",@progbits
; Kernel info:
; codeLenInByte = 624
; TotalNumSgprs: 25
; NumVgprs: 9
; ScratchSize: 0
; MemoryBound: 0
; FloatMode: 240
; IeeeMode: 1
; LDSByteSize: 0 bytes/workgroup (compile time only)
; SGPRBlocks: 3
; VGPRBlocks: 2
; NumSGPRsForWavesPerEU: 25
; NumVGPRsForWavesPerEU: 9
; Occupancy: 10
; WaveLimiterHint : 0
; COMPUTE_PGM_RSRC2:SCRATCH_EN: 0
; COMPUTE_PGM_RSRC2:USER_SGPR: 6
; COMPUTE_PGM_RSRC2:TRAP_HANDLER: 0
; COMPUTE_PGM_RSRC2:TGID_X_EN: 1
; COMPUTE_PGM_RSRC2:TGID_Y_EN: 0
; COMPUTE_PGM_RSRC2:TGID_Z_EN: 1
; COMPUTE_PGM_RSRC2:TIDIG_COMP_CNT: 0
	.section	.text._ZL26rocblas_hemvn_kernel_upperILb0ELi64ELi4ELi33ELi32ELi16ElPK19rocblas_complex_numIfES3_PS1_EviT6_lT7_lT5_lS6_lS7_lS5_lT8_i,"axG",@progbits,_ZL26rocblas_hemvn_kernel_upperILb0ELi64ELi4ELi33ELi32ELi16ElPK19rocblas_complex_numIfES3_PS1_EviT6_lT7_lT5_lS6_lS7_lS5_lT8_i,comdat
	.globl	_ZL26rocblas_hemvn_kernel_upperILb0ELi64ELi4ELi33ELi32ELi16ElPK19rocblas_complex_numIfES3_PS1_EviT6_lT7_lT5_lS6_lS7_lS5_lT8_i ; -- Begin function _ZL26rocblas_hemvn_kernel_upperILb0ELi64ELi4ELi33ELi32ELi16ElPK19rocblas_complex_numIfES3_PS1_EviT6_lT7_lT5_lS6_lS7_lS5_lT8_i
	.p2align	8
	.type	_ZL26rocblas_hemvn_kernel_upperILb0ELi64ELi4ELi33ELi32ELi16ElPK19rocblas_complex_numIfES3_PS1_EviT6_lT7_lT5_lS6_lS7_lS5_lT8_i,@function
_ZL26rocblas_hemvn_kernel_upperILb0ELi64ELi4ELi33ELi32ELi16ElPK19rocblas_complex_numIfES3_PS1_EviT6_lT7_lT5_lS6_lS7_lS5_lT8_i: ; @_ZL26rocblas_hemvn_kernel_upperILb0ELi64ELi4ELi33ELi32ELi16ElPK19rocblas_complex_numIfES3_PS1_EviT6_lT7_lT5_lS6_lS7_lS5_lT8_i
; %bb.0:
	s_load_dwordx2 s[2:3], s[4:5], 0x84
	s_add_u32 s0, s4, 0x78
	s_addc_u32 s1, s5, 0
	s_waitcnt lgkmcnt(0)
	s_lshr_b32 s8, s2, 16
	s_and_b32 s2, s2, 0xffff
	s_and_b32 s3, s3, 0xffff
	s_mul_i32 s2, s8, s2
	s_mul_i32 s2, s2, s3
	s_cmpk_lg_i32 s2, 0x100
	s_cbranch_scc1 .LBB114_156
; %bb.1:
	s_load_dwordx16 s[8:23], s[4:5], 0x8
	s_waitcnt lgkmcnt(0)
	s_mul_i32 s3, s11, s7
	s_mul_hi_u32 s11, s10, s7
	s_mul_i32 s2, s10, s7
	s_add_i32 s3, s11, s3
	s_lshl_b64 s[2:3], s[2:3], 3
	s_add_u32 s2, s8, s2
	s_addc_u32 s3, s9, s3
	s_load_dwordx2 s[8:9], s[2:3], 0x0
	s_load_dwordx2 s[34:35], s[4:5], 0x68
	s_load_dwordx8 s[24:31], s[4:5], 0x48
	s_waitcnt lgkmcnt(0)
	s_or_b32 s2, s8, s9
	s_bitset0_b32 s2, 31
	s_cmp_lg_u32 s2, 0
	s_cselect_b64 s[2:3], -1, 0
	s_mov_b64 s[8:9], -1
	s_and_b64 vcc, exec, s[2:3]
	s_cbranch_vccnz .LBB114_3
; %bb.2:
	s_mul_i32 s8, s31, s7
	s_mul_hi_u32 s9, s30, s7
	s_add_i32 s9, s9, s8
	s_mul_i32 s8, s30, s7
	s_lshl_b64 s[8:9], s[8:9], 3
	s_add_u32 s8, s28, s8
	s_addc_u32 s9, s29, s9
	s_load_dwordx2 s[10:11], s[8:9], 0x0
	s_waitcnt lgkmcnt(0)
	v_cmp_neq_f32_e64 s[8:9], s10, 1.0
	v_cmp_neq_f32_e64 s[10:11], s11, 0
	s_or_b64 s[8:9], s[8:9], s[10:11]
.LBB114_3:
	s_andn2_b64 vcc, exec, s[8:9]
	s_cbranch_vccnz .LBB114_156
; %bb.4:
	s_andn2_b64 vcc, exec, s[2:3]
	s_cbranch_vccnz .LBB114_156
; %bb.5:
	s_load_dword s33, s[0:1], 0x0
	s_load_dword s37, s[4:5], 0x0
	s_mul_i32 s0, s27, s7
	s_mul_hi_u32 s1, s26, s7
	s_add_i32 s1, s1, s0
	s_mul_i32 s0, s26, s7
	s_lshl_b64 s[0:1], s[0:1], 3
	s_add_u32 s2, s20, s0
	s_addc_u32 s3, s21, s1
	s_lshl_b64 s[0:1], s[22:23], 3
	s_add_u32 s2, s2, s0
	s_addc_u32 s3, s3, s1
	s_lshl_b32 s22, s6, 6
	s_waitcnt lgkmcnt(0)
	s_ashr_i32 s38, s37, 31
	s_lshr_b32 s0, s38, 26
	v_add_u32_e32 v50, s22, v0
	s_add_i32 s0, s37, s0
	v_ashrrev_i32_e32 v51, 31, v50
	s_and_b32 s5, s0, 0xffffffc0
	v_mul_lo_u32 v4, s24, v51
	v_mul_lo_u32 v5, s25, v50
	v_mad_u64_u32 v[2:3], s[0:1], s24, v50, 0
	s_add_i32 s4, s33, -1
	s_sub_i32 s36, s37, s5
	v_add3_u32 v3, v3, v4, v5
	v_lshlrev_b64 v[2:3], 3, v[2:3]
	s_cmp_eq_u32 s6, s4
	v_mov_b32_e32 v4, s3
	v_add_co_u32_e32 v16, vcc, s2, v2
	s_cselect_b32 s20, s36, 0
	v_addc_co_u32_e32 v17, vcc, v4, v3, vcc
	v_cmp_eq_u32_e64 s[0:1], 0, v1
	s_and_saveexec_b64 s[2:3], s[0:1]
	s_cbranch_execz .LBB114_10
; %bb.6:
	s_cmp_lg_u32 s20, 0
	s_cselect_b64 s[4:5], -1, 0
	v_cmp_le_i32_e32 vcc, s20, v0
	v_mov_b32_e32 v2, 0x2380
	s_and_b64 s[4:5], s[4:5], vcc
	v_lshl_add_u32 v2, v0, 3, v2
	s_and_saveexec_b64 s[8:9], s[4:5]
	s_xor_b64 s[4:5], exec, s[8:9]
; %bb.7:
	v_mov_b32_e32 v3, 0
	v_mov_b32_e32 v4, v3
	ds_write_b64 v2, v[3:4]
                                        ; implicit-def: $vgpr2
; %bb.8:
	s_andn2_saveexec_b64 s[4:5], s[4:5]
	s_cbranch_execz .LBB114_10
; %bb.9:
	global_load_dwordx2 v[3:4], v[16:17], off
	s_waitcnt vmcnt(0)
	ds_write_b64 v2, v[3:4]
.LBB114_10:
	s_or_b64 exec, exec, s[2:3]
	v_lshl_add_u32 v24, v1, 6, v0
	s_mul_i32 s2, s19, s7
	s_mul_hi_u32 s3, s18, s7
	v_and_b32_e32 v2, 31, v0
	v_lshrrev_b32_e32 v9, 5, v24
	s_add_i32 s3, s3, s2
	s_mul_i32 s2, s18, s7
	v_mov_b32_e32 v3, 0
	s_lshl_b64 s[2:3], s[2:3], 3
	v_mad_u64_u32 v[3:4], s[4:5], s16, v9, v[2:3]
	s_add_u32 s8, s12, s2
	s_addc_u32 s9, s13, s3
	s_lshl_b64 s[2:3], s[14:15], 3
	s_add_u32 s4, s8, s2
	s_addc_u32 s5, s9, s3
	v_mad_u64_u32 v[4:5], s[2:3], s17, v9, v[4:5]
	s_ashr_i32 s23, s22, 31
	s_lshl_b64 s[2:3], s[22:23], 3
	s_add_u32 s2, s4, s2
	v_lshlrev_b64 v[14:15], 3, v[3:4]
	s_addc_u32 s3, s5, s3
	v_mov_b32_e32 v3, s3
	v_add_co_u32_e32 v4, vcc, s2, v14
	s_mul_hi_u32 s2, s16, s22
	s_mul_i32 s3, s16, s23
	s_add_i32 s2, s2, s3
	s_mul_i32 s3, s17, s22
	s_add_i32 s3, s2, s3
	s_mul_i32 s2, s16, s22
	s_lshl_b64 s[2:3], s[2:3], 3
	v_addc_co_u32_e32 v3, vcc, v3, v15, vcc
	s_cmp_eq_u32 s20, 0
	v_mov_b32_e32 v6, s3
	v_add_co_u32_e32 v5, vcc, s2, v4
	s_cselect_b64 s[18:19], -1, 0
	s_cmp_lg_u32 s20, 0
	v_addc_co_u32_e32 v6, vcc, v3, v6, vcc
	s_cselect_b64 s[26:27], -1, 0
	s_and_b64 vcc, exec, s[26:27]
	v_cmp_gt_i32_e64 s[2:3], s20, v2
	v_lshlrev_b32_e32 v11, 3, v2
	v_lshlrev_b32_e32 v10, 3, v2
	s_cbranch_vccz .LBB114_28
; %bb.11:
	v_sub_co_u32_e32 v3, vcc, v5, v11
	s_ashr_i32 s21, s20, 31
	v_subbrev_co_u32_e32 v4, vcc, 0, v6, vcc
	s_lshl_b64 s[4:5], s[20:21], 3
	v_mov_b32_e32 v7, s5
	v_add_co_u32_e32 v3, vcc, s4, v3
	v_addc_co_u32_e32 v4, vcc, v4, v7, vcc
	v_add_co_u32_e32 v3, vcc, -8, v3
	v_addc_co_u32_e32 v4, vcc, -1, v4, vcc
	v_mul_u32_u24_e32 v7, 0x108, v9
	v_cndmask_b32_e64 v4, v4, v6, s[2:3]
	v_cndmask_b32_e64 v3, v3, v5, s[2:3]
	v_cmp_le_i32_e32 vcc, s20, v9
	v_add_u32_e32 v7, v10, v7
	s_and_saveexec_b64 s[8:9], vcc
	s_xor_b64 s[8:9], exec, s[8:9]
; %bb.12:
	v_mov_b32_e32 v12, 0
	v_mov_b32_e32 v13, v12
	ds_write_b64 v7, v[12:13]
; %bb.13:
	s_andn2_saveexec_b64 s[8:9], s[8:9]
	s_cbranch_execz .LBB114_15
; %bb.14:
	global_load_dwordx2 v[12:13], v[3:4], off
	s_waitcnt vmcnt(0)
	ds_write_b64 v7, v[12:13]
.LBB114_15:
	s_or_b64 exec, exec, s[8:9]
	v_add_u32_e32 v8, 8, v9
	v_cmp_le_i32_e32 vcc, s20, v8
	s_and_saveexec_b64 s[8:9], vcc
	s_xor_b64 s[8:9], exec, s[8:9]
; %bb.16:
	v_mov_b32_e32 v12, 0
	v_mov_b32_e32 v13, v12
	ds_write_b64 v7, v[12:13] offset:2112
; %bb.17:
	s_andn2_saveexec_b64 s[8:9], s[8:9]
	s_cbranch_execz .LBB114_19
; %bb.18:
	s_lshl_b64 s[10:11], s[16:17], 6
	v_mov_b32_e32 v8, s11
	v_add_co_u32_e32 v12, vcc, s10, v3
	v_addc_co_u32_e32 v13, vcc, v4, v8, vcc
	global_load_dwordx2 v[12:13], v[12:13], off
	s_waitcnt vmcnt(0)
	ds_write_b64 v7, v[12:13] offset:2112
.LBB114_19:
	s_or_b64 exec, exec, s[8:9]
	v_add_u32_e32 v8, 16, v9
	v_cmp_le_i32_e32 vcc, s20, v8
	s_and_saveexec_b64 s[8:9], vcc
	s_xor_b64 s[8:9], exec, s[8:9]
; %bb.20:
	v_mov_b32_e32 v12, 0
	v_mov_b32_e32 v13, v12
	ds_write_b64 v7, v[12:13] offset:4224
; %bb.21:
	s_andn2_saveexec_b64 s[8:9], s[8:9]
	s_cbranch_execz .LBB114_23
; %bb.22:
	s_lshl_b64 s[10:11], s[16:17], 7
	v_mov_b32_e32 v8, s11
	v_add_co_u32_e32 v12, vcc, s10, v3
	v_addc_co_u32_e32 v13, vcc, v4, v8, vcc
	global_load_dwordx2 v[12:13], v[12:13], off
	s_waitcnt vmcnt(0)
	ds_write_b64 v7, v[12:13] offset:4224
.LBB114_23:
	s_or_b64 exec, exec, s[8:9]
	v_add_u32_e32 v8, 24, v9
	v_cmp_le_i32_e32 vcc, s20, v8
	s_and_saveexec_b64 s[8:9], vcc
	s_xor_b64 s[8:9], exec, s[8:9]
; %bb.24:
	v_mov_b32_e32 v12, 0
	v_mov_b32_e32 v13, v12
	ds_write_b64 v7, v[12:13] offset:6336
                                        ; implicit-def: $vgpr7
; %bb.25:
	s_andn2_saveexec_b64 s[8:9], s[8:9]
	s_cbranch_execz .LBB114_27
; %bb.26:
	v_mov_b32_e32 v8, 0xc0
	v_mad_u64_u32 v[12:13], s[10:11], s16, v8, v[3:4]
	s_mul_i32 s10, s17, 0xc0
	v_add_u32_e32 v13, s10, v13
	global_load_dwordx2 v[12:13], v[12:13], off
	s_waitcnt vmcnt(0)
	ds_write_b64 v7, v[12:13] offset:6336
.LBB114_27:
	s_or_b64 exec, exec, s[8:9]
	v_add_co_u32_e32 v3, vcc, v3, v11
	v_addc_co_u32_e32 v4, vcc, 0, v4, vcc
	v_mov_b32_e32 v7, s5
	v_subrev_co_u32_e32 v3, vcc, s4, v3
	v_subb_co_u32_e32 v4, vcc, v4, v7, vcc
	v_add_co_u32_e32 v3, vcc, 8, v3
	v_addc_co_u32_e32 v4, vcc, 0, v4, vcc
	v_cndmask_b32_e64 v4, v4, v6, s[2:3]
	v_cndmask_b32_e64 v3, v3, v5, s[2:3]
	s_branch .LBB114_30
.LBB114_28:
                                        ; implicit-def: $vgpr3_vgpr4
	s_cbranch_execz .LBB114_30
; %bb.29:
	s_lshl_b64 s[2:3], s[16:17], 6
	v_mov_b32_e32 v13, s3
	v_add_co_u32_e32 v3, vcc, s2, v5
	v_addc_co_u32_e32 v4, vcc, v6, v13, vcc
	v_add_co_u32_e32 v7, vcc, s2, v3
	v_addc_co_u32_e32 v8, vcc, v4, v13, vcc
	;; [unrolled: 2-line block ×3, first 2 shown]
	global_load_dwordx2 v[18:19], v[5:6], off
	global_load_dwordx2 v[20:21], v[3:4], off
	;; [unrolled: 1-line block ×4, first 2 shown]
	v_mul_u32_u24_e32 v3, 0x108, v9
	v_lshl_add_u32 v3, v2, 3, v3
	s_waitcnt vmcnt(3)
	ds_write_b64 v3, v[18:19]
	s_waitcnt vmcnt(2)
	ds_write_b64 v3, v[20:21] offset:2112
	s_waitcnt vmcnt(1)
	ds_write_b64 v3, v[22:23] offset:4224
	;; [unrolled: 2-line block ×3, first 2 shown]
	v_mov_b32_e32 v3, v5
	v_mov_b32_e32 v4, v6
.LBB114_30:
	v_lshlrev_b32_e32 v18, 2, v9
	v_lshl_or_b32 v5, v2, 8, v10
	v_cmp_gt_u32_e64 s[4:5], v18, v2
	v_lshl_add_u32 v5, v18, 3, v5
	s_waitcnt lgkmcnt(0)
	s_barrier
	s_and_saveexec_b64 s[2:3], s[4:5]
	s_cbranch_execz .LBB114_32
; %bb.31:
	s_movk_i32 s8, 0x420
	v_mad_u32_u24 v6, v9, s8, v10
	ds_read_b64 v[6:7], v6
	s_waitcnt lgkmcnt(0)
	ds_write_b64 v5, v[6:7]
.LBB114_32:
	s_or_b64 exec, exec, s[2:3]
	v_or_b32_e32 v13, 1, v18
	v_cmp_ge_u32_e64 s[14:15], v18, v2
	s_and_saveexec_b64 s[2:3], s[14:15]
	s_cbranch_execz .LBB114_34
; %bb.33:
	s_movk_i32 s8, 0x108
	v_mad_u32_u24 v6, v13, s8, v10
	ds_read_b64 v[6:7], v6
	s_waitcnt lgkmcnt(0)
	ds_write_b64 v5, v[6:7] offset:8
.LBB114_34:
	s_or_b64 exec, exec, s[2:3]
	v_or_b32_e32 v6, 2, v18
	v_cmp_gt_u32_e64 s[8:9], v6, v2
	s_and_saveexec_b64 s[2:3], s[8:9]
	s_cbranch_execz .LBB114_36
; %bb.35:
	s_movk_i32 s10, 0x108
	v_mad_u32_u24 v6, v6, s10, v10
	ds_read_b64 v[6:7], v6
	s_waitcnt lgkmcnt(0)
	ds_write_b64 v5, v[6:7] offset:16
.LBB114_36:
	s_or_b64 exec, exec, s[2:3]
	v_or_b32_e32 v7, 3, v18
	v_cmp_gt_u32_e64 s[10:11], v7, v2
	v_cmp_le_u32_e32 vcc, v7, v2
                                        ; implicit-def: $vgpr6
	s_and_saveexec_b64 s[2:3], vcc
	s_xor_b64 s[2:3], exec, s[2:3]
; %bb.37:
	v_mul_u32_u24_e32 v6, 0x108, v7
                                        ; implicit-def: $vgpr7
                                        ; implicit-def: $vgpr5
; %bb.38:
	s_andn2_saveexec_b64 s[2:3], s[2:3]
	s_cbranch_execz .LBB114_40
; %bb.39:
	s_movk_i32 s12, 0x108
	v_mad_u32_u24 v6, v7, s12, v10
	ds_read_b64 v[19:20], v6
	v_mul_u32_u24_e32 v6, 0x108, v7
	s_waitcnt lgkmcnt(0)
	ds_write_b64 v5, v[19:20] offset:24
.LBB114_40:
	s_or_b64 exec, exec, s[2:3]
	s_movk_i32 s2, 0x420
	v_mad_u32_u24 v5, v9, s2, v10
	s_movk_i32 s2, 0x108
	v_mad_u32_u24 v12, v13, s2, v10
	s_waitcnt lgkmcnt(0)
	s_barrier
	v_lshlrev_b32_e32 v19, 3, v18
	ds_read_b64 v[7:8], v5
	ds_read_b128 v[20:23], v19 offset:9088
	ds_read_b128 v[25:28], v19 offset:9104
	ds_read2_b64 v[29:32], v12 offset1:33
	v_mov_b32_e32 v52, 0
	v_cmp_gt_u32_e64 s[2:3], 32, v24
	s_waitcnt lgkmcnt(2)
	v_mul_f32_e32 v5, v21, v8
	v_mul_f32_e32 v8, v20, v8
	v_fmac_f32_e32 v8, v21, v7
	s_waitcnt lgkmcnt(0)
	v_mul_f32_e32 v12, v22, v30
	v_fma_f32 v5, v20, v7, -v5
	v_add_f32_e32 v7, 0, v8
	v_mul_f32_e32 v8, v23, v30
	v_fmac_f32_e32 v12, v23, v29
	v_add_f32_e32 v5, 0, v5
	v_fma_f32 v8, v22, v29, -v8
	v_add_f32_e32 v7, v7, v12
	v_add_u32_e32 v12, v10, v6
	v_add_f32_e32 v8, v5, v8
	ds_read_b64 v[5:6], v12
	v_mul_f32_e32 v20, v26, v32
	v_fma_f32 v20, v25, v31, -v20
	v_mul_f32_e32 v21, v25, v32
	v_fmac_f32_e32 v21, v26, v31
	v_add_f32_e32 v8, v8, v20
	s_waitcnt lgkmcnt(0)
	v_mul_f32_e32 v20, v28, v6
	v_mul_f32_e32 v6, v27, v6
	v_add_f32_e32 v7, v7, v21
	v_fmac_f32_e32 v6, v28, v5
	v_add_f32_e32 v6, v7, v6
	v_mul_u32_u24_e32 v7, 33, v2
	v_fma_f32 v20, v27, v5, -v20
	v_lshlrev_b32_e32 v25, 3, v7
	v_add_f32_e32 v5, v8, v20
	v_lshl_add_u32 v26, v9, 3, v25
	v_mov_b32_e32 v53, 0
	s_barrier
	ds_write_b64 v26, v[5:6]
	s_waitcnt lgkmcnt(0)
	s_barrier
	s_and_saveexec_b64 s[12:13], s[2:3]
	s_cbranch_execz .LBB114_42
; %bb.41:
	ds_read2_b64 v[5:8], v25 offset1:7
	ds_read2_b64 v[20:23], v25 offset0:1 offset1:2
	ds_read2_b64 v[27:30], v25 offset0:3 offset1:4
	s_waitcnt lgkmcnt(1)
	v_add_f32_e32 v5, v20, v5
	v_add_f32_e32 v6, v21, v6
	;; [unrolled: 1-line block ×4, first 2 shown]
	ds_read2_b64 v[20:23], v25 offset0:5 offset1:6
	s_waitcnt lgkmcnt(1)
	v_add_f32_e32 v5, v5, v27
	v_add_f32_e32 v6, v6, v28
	;; [unrolled: 1-line block ×4, first 2 shown]
	s_waitcnt lgkmcnt(0)
	v_add_f32_e32 v5, v5, v20
	v_add_f32_e32 v6, v6, v21
	;; [unrolled: 1-line block ×6, first 2 shown]
.LBB114_42:
	s_or_b64 exec, exec, s[12:13]
	s_lshl_b64 s[12:13], s[16:17], 8
	v_mov_b32_e32 v5, s13
	v_add_co_u32_e32 v7, vcc, s12, v3
	v_addc_co_u32_e32 v8, vcc, v4, v5, vcc
	v_add_co_u32_e32 v5, vcc, 0x100, v7
	v_addc_co_u32_e32 v6, vcc, 0, v8, vcc
	s_and_b64 vcc, exec, s[26:27]
	s_barrier
	s_cbranch_vccz .LBB114_60
; %bb.43:
	v_sub_co_u32_e32 v4, vcc, v7, v11
	s_ashr_i32 s21, s20, 31
	v_subbrev_co_u32_e32 v20, vcc, 0, v8, vcc
	s_lshl_b64 s[28:29], s[20:21], 3
	v_mov_b32_e32 v21, s29
	v_add_co_u32_e32 v4, vcc, s28, v4
	v_addc_co_u32_e32 v20, vcc, v20, v21, vcc
	v_or_b32_e32 v3, 32, v2
	v_add_co_u32_e32 v21, vcc, -8, v4
	v_addc_co_u32_e32 v4, vcc, -1, v20, vcc
	v_cmp_gt_i32_e64 s[12:13], s20, v3
	s_sub_i32 s21, s20, 32
	v_mul_u32_u24_e32 v20, 0x108, v9
	v_cndmask_b32_e64 v4, v4, v6, s[12:13]
	v_cndmask_b32_e64 v3, v21, v5, s[12:13]
	v_cmp_le_i32_e32 vcc, s21, v9
	v_add_u32_e32 v20, v10, v20
	s_and_saveexec_b64 s[30:31], vcc
	s_xor_b64 s[30:31], exec, s[30:31]
; %bb.44:
	v_mov_b32_e32 v21, 0
	v_mov_b32_e32 v22, v21
	ds_write_b64 v20, v[21:22]
; %bb.45:
	s_andn2_saveexec_b64 s[30:31], s[30:31]
	s_cbranch_execz .LBB114_47
; %bb.46:
	global_load_dwordx2 v[21:22], v[3:4], off
	s_waitcnt vmcnt(0)
	ds_write_b64 v20, v[21:22]
.LBB114_47:
	s_or_b64 exec, exec, s[30:31]
	v_add_u32_e32 v21, 8, v9
	v_cmp_le_i32_e32 vcc, s21, v21
	s_and_saveexec_b64 s[30:31], vcc
	s_xor_b64 s[30:31], exec, s[30:31]
; %bb.48:
	v_mov_b32_e32 v21, 0
	v_mov_b32_e32 v22, v21
	ds_write_b64 v20, v[21:22] offset:2112
; %bb.49:
	s_andn2_saveexec_b64 s[30:31], s[30:31]
	s_cbranch_execz .LBB114_51
; %bb.50:
	s_lshl_b64 s[40:41], s[16:17], 6
	v_mov_b32_e32 v22, s41
	v_add_co_u32_e32 v21, vcc, s40, v3
	v_addc_co_u32_e32 v22, vcc, v4, v22, vcc
	global_load_dwordx2 v[21:22], v[21:22], off
	s_waitcnt vmcnt(0)
	ds_write_b64 v20, v[21:22] offset:2112
.LBB114_51:
	s_or_b64 exec, exec, s[30:31]
	v_add_u32_e32 v21, 16, v9
	v_cmp_le_i32_e32 vcc, s21, v21
	s_and_saveexec_b64 s[30:31], vcc
	s_xor_b64 s[30:31], exec, s[30:31]
; %bb.52:
	v_mov_b32_e32 v21, 0
	v_mov_b32_e32 v22, v21
	ds_write_b64 v20, v[21:22] offset:4224
; %bb.53:
	s_andn2_saveexec_b64 s[30:31], s[30:31]
	s_cbranch_execz .LBB114_55
; %bb.54:
	s_lshl_b64 s[40:41], s[16:17], 7
	v_mov_b32_e32 v22, s41
	v_add_co_u32_e32 v21, vcc, s40, v3
	v_addc_co_u32_e32 v22, vcc, v4, v22, vcc
	global_load_dwordx2 v[21:22], v[21:22], off
	s_waitcnt vmcnt(0)
	ds_write_b64 v20, v[21:22] offset:4224
.LBB114_55:
	s_or_b64 exec, exec, s[30:31]
	v_add_u32_e32 v21, 24, v9
	v_cmp_le_i32_e32 vcc, s21, v21
	s_and_saveexec_b64 s[30:31], vcc
	s_xor_b64 s[30:31], exec, s[30:31]
; %bb.56:
	v_mov_b32_e32 v21, 0
	v_mov_b32_e32 v22, v21
	ds_write_b64 v20, v[21:22] offset:6336
                                        ; implicit-def: $vgpr20
; %bb.57:
	s_andn2_saveexec_b64 s[30:31], s[30:31]
	s_cbranch_execz .LBB114_59
; %bb.58:
	v_mov_b32_e32 v21, 0xc0
	v_mad_u64_u32 v[21:22], s[40:41], s16, v21, v[3:4]
	s_mul_i32 s21, s17, 0xc0
	v_add_u32_e32 v22, s21, v22
	global_load_dwordx2 v[21:22], v[21:22], off
	s_waitcnt vmcnt(0)
	ds_write_b64 v20, v[21:22] offset:6336
.LBB114_59:
	s_or_b64 exec, exec, s[30:31]
	v_add_co_u32_e32 v3, vcc, v3, v11
	v_addc_co_u32_e32 v4, vcc, 0, v4, vcc
	v_mov_b32_e32 v20, s29
	v_subrev_co_u32_e32 v3, vcc, s28, v3
	v_subb_co_u32_e32 v4, vcc, v4, v20, vcc
	v_add_co_u32_e32 v3, vcc, 0x108, v3
	v_addc_co_u32_e32 v4, vcc, 0, v4, vcc
	v_cndmask_b32_e64 v4, v4, v6, s[12:13]
	v_cndmask_b32_e64 v3, v3, v5, s[12:13]
	v_mul_u32_u24_e32 v20, 0x420, v9
	s_branch .LBB114_62
.LBB114_60:
                                        ; implicit-def: $vgpr3_vgpr4
	v_mul_u32_u24_e32 v20, 0x420, v9
	s_cbranch_execz .LBB114_62
; %bb.61:
	s_lshl_b64 s[12:13], s[16:17], 6
	v_mov_b32_e32 v23, s13
	v_add_co_u32_e32 v3, vcc, s12, v7
	v_addc_co_u32_e32 v4, vcc, v8, v23, vcc
	v_add_co_u32_e32 v21, vcc, s12, v3
	v_addc_co_u32_e32 v22, vcc, v4, v23, vcc
	;; [unrolled: 2-line block ×3, first 2 shown]
	global_load_dwordx2 v[29:30], v[7:8], off offset:256
	global_load_dwordx2 v[31:32], v[3:4], off offset:256
	;; [unrolled: 1-line block ×4, first 2 shown]
	s_movk_i32 s12, 0x108
	v_mad_u32_u24 v3, v9, s12, v10
	s_waitcnt vmcnt(3)
	ds_write_b64 v3, v[29:30]
	s_waitcnt vmcnt(2)
	ds_write_b64 v3, v[31:32] offset:2112
	s_waitcnt vmcnt(1)
	ds_write_b64 v3, v[33:34] offset:4224
	;; [unrolled: 2-line block ×3, first 2 shown]
	v_mov_b32_e32 v3, v5
	v_mov_b32_e32 v4, v6
.LBB114_62:
	v_mul_u32_u24_e32 v6, 0x108, v13
	v_add_u32_e32 v13, v10, v20
	v_lshl_add_u32 v5, v18, 3, v25
	s_waitcnt lgkmcnt(0)
	s_barrier
	s_and_saveexec_b64 s[12:13], s[4:5]
	s_cbranch_execnz .LBB114_87
; %bb.63:
	s_or_b64 exec, exec, s[12:13]
	v_add_u32_e32 v27, v10, v6
	s_and_saveexec_b64 s[4:5], s[14:15]
	s_cbranch_execnz .LBB114_88
.LBB114_64:
	s_or_b64 exec, exec, s[4:5]
	s_and_saveexec_b64 s[4:5], s[8:9]
	s_cbranch_execnz .LBB114_89
.LBB114_65:
	s_or_b64 exec, exec, s[4:5]
	v_add_u32_e32 v28, 0x2380, v19
	s_and_saveexec_b64 s[4:5], s[10:11]
	s_cbranch_execz .LBB114_67
.LBB114_66:
	ds_read_b64 v[6:7], v12
	s_waitcnt lgkmcnt(0)
	ds_write_b64 v5, v[6:7] offset:24
.LBB114_67:
	s_or_b64 exec, exec, s[4:5]
	s_waitcnt lgkmcnt(0)
	s_barrier
	ds_read_b64 v[22:23], v13
	ds_read_b128 v[5:8], v28 offset:256
	ds_read_b128 v[18:21], v28 offset:272
	ds_read_b64 v[33:34], v12
	v_cmp_eq_u32_e64 s[4:5], 1, v9
	s_waitcnt lgkmcnt(2)
	v_mul_f32_e32 v29, v6, v23
	v_fma_f32 v35, v5, v22, -v29
	ds_read2_b64 v[29:32], v27 offset1:33
	v_mul_f32_e32 v5, v5, v23
	v_fmac_f32_e32 v5, v6, v22
	v_add_f32_e32 v5, 0, v5
	v_add_f32_e32 v6, 0, v35
	s_waitcnt lgkmcnt(0)
	v_mul_f32_e32 v22, v8, v30
	v_fma_f32 v22, v7, v29, -v22
	v_mul_f32_e32 v7, v7, v30
	v_fmac_f32_e32 v7, v8, v29
	v_add_f32_e32 v5, v5, v7
	v_mul_f32_e32 v7, v19, v32
	v_mul_f32_e32 v8, v18, v32
	v_add_f32_e32 v6, v6, v22
	v_fma_f32 v7, v18, v31, -v7
	v_fmac_f32_e32 v8, v19, v31
	v_add_f32_e32 v6, v6, v7
	v_add_f32_e32 v7, v5, v8
	v_mul_f32_e32 v5, v21, v34
	v_mul_f32_e32 v8, v20, v34
	v_fma_f32 v5, v20, v33, -v5
	v_fmac_f32_e32 v8, v21, v33
	v_add_f32_e32 v5, v6, v5
	v_add_f32_e32 v6, v7, v8
	s_barrier
	ds_write_b64 v26, v[5:6]
	s_waitcnt lgkmcnt(0)
	s_barrier
	s_and_saveexec_b64 s[8:9], s[4:5]
	s_cbranch_execz .LBB114_69
; %bb.68:
	ds_read2_b64 v[5:8], v25 offset1:7
	ds_read2_b64 v[18:21], v25 offset0:1 offset1:2
	ds_read2_b64 v[29:32], v25 offset0:3 offset1:4
	s_waitcnt lgkmcnt(1)
	v_add_f32_e32 v5, v18, v5
	v_add_f32_e32 v6, v19, v6
	;; [unrolled: 1-line block ×4, first 2 shown]
	ds_read2_b64 v[18:21], v25 offset0:5 offset1:6
	s_waitcnt lgkmcnt(1)
	v_add_f32_e32 v5, v5, v29
	v_add_f32_e32 v6, v6, v30
	;; [unrolled: 1-line block ×4, first 2 shown]
	s_waitcnt lgkmcnt(0)
	v_add_f32_e32 v5, v5, v18
	v_add_f32_e32 v6, v6, v19
	;; [unrolled: 1-line block ×6, first 2 shown]
.LBB114_69:
	s_or_b64 exec, exec, s[8:9]
	v_add_co_u32_e32 v5, vcc, 0xffffff00, v3
	v_addc_co_u32_e32 v6, vcc, -1, v4, vcc
	s_and_b64 vcc, exec, s[26:27]
	s_barrier
	s_cbranch_vccz .LBB114_90
; %bb.70:
	v_sub_co_u32_e32 v7, vcc, v3, v11
	s_ashr_i32 s21, s20, 31
	v_subbrev_co_u32_e32 v8, vcc, 0, v4, vcc
	s_lshl_b64 s[10:11], s[20:21], 3
	v_mov_b32_e32 v18, s11
	v_add_co_u32_e32 v7, vcc, s10, v7
	v_addc_co_u32_e32 v8, vcc, v8, v18, vcc
	v_add_co_u32_e32 v7, vcc, 0xfffffef8, v7
	v_addc_co_u32_e32 v8, vcc, -1, v8, vcc
	v_cmp_gt_i32_e32 vcc, s20, v2
	s_sub_i32 s14, s20, 32
	v_mul_u32_u24_e32 v2, 0x108, v9
	v_cndmask_b32_e32 v8, v8, v6, vcc
	v_cndmask_b32_e32 v7, v7, v5, vcc
	v_cmp_le_i32_e64 s[8:9], s14, v9
	v_add_u32_e32 v18, v10, v2
	s_and_saveexec_b64 s[12:13], s[8:9]
	s_xor_b64 s[8:9], exec, s[12:13]
; %bb.71:
	v_mov_b32_e32 v19, 0
	v_mov_b32_e32 v20, v19
	ds_write_b64 v18, v[19:20]
; %bb.72:
	s_andn2_saveexec_b64 s[8:9], s[8:9]
	s_cbranch_execz .LBB114_74
; %bb.73:
	global_load_dwordx2 v[19:20], v[7:8], off
	s_waitcnt vmcnt(0)
	ds_write_b64 v18, v[19:20]
.LBB114_74:
	s_or_b64 exec, exec, s[8:9]
	v_add_u32_e32 v20, 8, v9
	v_cmp_le_i32_e64 s[8:9], s14, v20
	s_and_saveexec_b64 s[12:13], s[8:9]
	s_xor_b64 s[8:9], exec, s[12:13]
; %bb.75:
	v_mov_b32_e32 v21, 0
	v_mov_b32_e32 v22, v21
	ds_write_b64 v18, v[21:22] offset:2112
; %bb.76:
	s_andn2_saveexec_b64 s[12:13], s[8:9]
	s_cbranch_execz .LBB114_78
; %bb.77:
	s_lshl_b64 s[8:9], s[16:17], 6
	v_mov_b32_e32 v2, s9
	v_add_co_u32_e64 v21, s[8:9], s8, v7
	v_addc_co_u32_e64 v22, s[8:9], v8, v2, s[8:9]
	global_load_dwordx2 v[21:22], v[21:22], off
	s_waitcnt vmcnt(0)
	ds_write_b64 v18, v[21:22] offset:2112
.LBB114_78:
	s_or_b64 exec, exec, s[12:13]
	v_add_u32_e32 v2, 16, v9
	v_cmp_le_i32_e64 s[8:9], s14, v2
	s_and_saveexec_b64 s[12:13], s[8:9]
	s_xor_b64 s[8:9], exec, s[12:13]
; %bb.79:
	v_mov_b32_e32 v21, 0
	v_mov_b32_e32 v22, v21
	ds_write_b64 v18, v[21:22] offset:4224
; %bb.80:
	s_andn2_saveexec_b64 s[12:13], s[8:9]
	s_cbranch_execz .LBB114_82
; %bb.81:
	s_lshl_b64 s[8:9], s[16:17], 7
	v_mov_b32_e32 v19, s9
	v_add_co_u32_e64 v21, s[8:9], s8, v7
	v_addc_co_u32_e64 v22, s[8:9], v8, v19, s[8:9]
	global_load_dwordx2 v[21:22], v[21:22], off
	s_waitcnt vmcnt(0)
	ds_write_b64 v18, v[21:22] offset:4224
.LBB114_82:
	s_or_b64 exec, exec, s[12:13]
	v_add_u32_e32 v22, 24, v9
	v_cmp_le_i32_e64 s[8:9], s14, v22
	s_and_saveexec_b64 s[12:13], s[8:9]
	s_xor_b64 s[8:9], exec, s[12:13]
; %bb.83:
	v_mov_b32_e32 v29, 0
	v_mov_b32_e32 v30, v29
	ds_write_b64 v18, v[29:30] offset:6336
                                        ; implicit-def: $vgpr18
; %bb.84:
	s_andn2_saveexec_b64 s[8:9], s[8:9]
	s_cbranch_execz .LBB114_86
; %bb.85:
	v_mov_b32_e32 v19, 0xc0
	v_mad_u64_u32 v[29:30], s[12:13], s16, v19, v[7:8]
	s_mul_i32 s12, s17, 0xc0
	v_add_u32_e32 v30, s12, v30
	global_load_dwordx2 v[29:30], v[29:30], off
	s_waitcnt vmcnt(0)
	ds_write_b64 v18, v[29:30] offset:6336
.LBB114_86:
	s_or_b64 exec, exec, s[8:9]
	v_add_co_u32_e64 v7, s[8:9], v7, v11
	v_addc_co_u32_e64 v8, s[8:9], 0, v8, s[8:9]
	v_mov_b32_e32 v11, s11
	v_subrev_co_u32_e64 v7, s[8:9], s10, v7
	v_subb_co_u32_e64 v8, s[8:9], v8, v11, s[8:9]
	v_add_co_u32_e64 v7, s[8:9], 8, v7
	v_addc_co_u32_e64 v8, s[8:9], 0, v8, s[8:9]
	v_cndmask_b32_e32 v19, v8, v6, vcc
	v_cndmask_b32_e32 v18, v7, v5, vcc
	s_branch .LBB114_92
.LBB114_87:
	ds_read_b64 v[7:8], v13
	s_waitcnt lgkmcnt(0)
	ds_write_b64 v5, v[7:8]
	s_or_b64 exec, exec, s[12:13]
	v_add_u32_e32 v27, v10, v6
	s_and_saveexec_b64 s[4:5], s[14:15]
	s_cbranch_execz .LBB114_64
.LBB114_88:
	ds_read_b64 v[6:7], v27
	s_waitcnt lgkmcnt(0)
	ds_write_b64 v5, v[6:7] offset:8
	s_or_b64 exec, exec, s[4:5]
	s_and_saveexec_b64 s[4:5], s[8:9]
	s_cbranch_execz .LBB114_65
.LBB114_89:
	ds_read_b64 v[6:7], v27 offset:264
	s_waitcnt lgkmcnt(0)
	ds_write_b64 v5, v[6:7] offset:16
	s_or_b64 exec, exec, s[4:5]
	v_add_u32_e32 v28, 0x2380, v19
	s_and_saveexec_b64 s[4:5], s[10:11]
	s_cbranch_execnz .LBB114_66
	s_branch .LBB114_67
.LBB114_90:
                                        ; implicit-def: $vgpr18_vgpr19
                                        ; implicit-def: $vgpr20
                                        ; implicit-def: $vgpr2
                                        ; implicit-def: $vgpr22
	s_cbranch_execz .LBB114_92
; %bb.91:
	s_lshl_b64 s[8:9], s[16:17], 6
	v_mov_b32_e32 v2, s9
	v_add_co_u32_e32 v7, vcc, s8, v3
	v_addc_co_u32_e32 v8, vcc, v4, v2, vcc
	v_add_co_u32_e32 v18, vcc, s8, v7
	v_addc_co_u32_e32 v19, vcc, v8, v2, vcc
	;; [unrolled: 2-line block ×3, first 2 shown]
	global_load_dwordx2 v[29:30], v[3:4], off offset:-256
	global_load_dwordx2 v[31:32], v[7:8], off offset:-256
	global_load_dwordx2 v[33:34], v[18:19], off offset:-256
	global_load_dwordx2 v[35:36], v[20:21], off offset:-256
	s_movk_i32 s8, 0x108
	v_mov_b32_e32 v19, v6
	v_add_u32_e32 v20, 8, v9
	v_add_u32_e32 v2, 16, v9
	;; [unrolled: 1-line block ×3, first 2 shown]
	v_mad_u32_u24 v3, v9, s8, v10
	v_mov_b32_e32 v18, v5
	s_waitcnt vmcnt(3)
	ds_write_b64 v3, v[29:30]
	s_waitcnt vmcnt(2)
	ds_write_b64 v3, v[31:32] offset:2112
	s_waitcnt vmcnt(1)
	ds_write_b64 v3, v[33:34] offset:4224
	;; [unrolled: 2-line block ×3, first 2 shown]
.LBB114_92:
	v_lshlrev_b32_e32 v3, 3, v9
	v_add_u32_e32 v4, v25, v3
	v_lshlrev_b32_e32 v5, 3, v20
	s_waitcnt lgkmcnt(0)
	s_barrier
	ds_read_b64 v[29:30], v4
	ds_read_b64 v[31:32], v5 offset:9088
	ds_read_b64 v[33:34], v3 offset:9088
	ds_read_b64 v[20:21], v12
	v_add_u32_e32 v4, v25, v5
	ds_read_b64 v[35:36], v4
	v_lshlrev_b32_e32 v2, 3, v2
	s_waitcnt lgkmcnt(2)
	v_mul_f32_e32 v3, v34, v30
	v_add_u32_e32 v4, v25, v2
	v_fma_f32 v3, v33, v29, -v3
	v_lshlrev_b32_e32 v5, 3, v22
	ds_read_b64 v[37:38], v4
	ds_read_b64 v[39:40], v5 offset:9088
	ds_read_b64 v[41:42], v2 offset:9088
	s_waitcnt lgkmcnt(3)
	v_mul_f32_e32 v2, v32, v36
	v_add_f32_e32 v3, 0, v3
	v_fma_f32 v2, v31, v35, -v2
	v_add_f32_e32 v2, v3, v2
	v_add_u32_e32 v3, v25, v5
	ds_read_b64 v[43:44], v3
	ds_read_b64 v[22:23], v13
	s_waitcnt lgkmcnt(2)
	v_mul_f32_e32 v3, v42, v38
	v_fma_f32 v3, v41, v37, -v3
	v_add_f32_e32 v2, v2, v3
	s_waitcnt lgkmcnt(1)
	v_mul_f32_e32 v3, v40, v44
	v_fma_f32 v3, v39, v43, -v3
	v_add_f32_e32 v45, v2, v3
	ds_read_b128 v[10:13], v28 offset:256
	ds_read_b128 v[2:5], v28 offset:272
	ds_read2_b64 v[6:9], v27 offset1:33
	v_mul_f32_e32 v27, v33, v30
	v_fmac_f32_e32 v27, v34, v29
	v_mul_f32_e32 v28, v31, v36
	v_add_f32_e32 v27, 0, v27
	v_fmac_f32_e32 v28, v32, v35
	v_add_f32_e32 v27, v27, v28
	v_mul_f32_e32 v28, v41, v38
	v_fmac_f32_e32 v28, v42, v37
	v_add_f32_e32 v27, v27, v28
	v_mul_f32_e32 v28, v39, v44
	v_fmac_f32_e32 v28, v40, v43
	v_add_f32_e32 v46, v27, v28
	s_waitcnt lgkmcnt(0)
	s_barrier
	ds_write_b64 v26, v[45:46]
	s_waitcnt lgkmcnt(0)
	s_barrier
	s_and_saveexec_b64 s[8:9], s[4:5]
	s_cbranch_execz .LBB114_94
; %bb.93:
	ds_read2_b64 v[27:30], v25 offset1:1
	ds_read2_b64 v[31:34], v25 offset0:2 offset1:3
	ds_read2_b64 v[35:38], v25 offset0:4 offset1:5
	s_waitcnt lgkmcnt(2)
	v_add_f32_e32 v27, v52, v27
	v_add_f32_e32 v28, v53, v28
	;; [unrolled: 1-line block ×4, first 2 shown]
	s_waitcnt lgkmcnt(1)
	v_add_f32_e32 v27, v27, v31
	v_add_f32_e32 v28, v28, v32
	;; [unrolled: 1-line block ×4, first 2 shown]
	ds_read2_b64 v[27:30], v25 offset0:6 offset1:7
	s_waitcnt lgkmcnt(1)
	v_add_f32_e32 v31, v31, v35
	v_add_f32_e32 v32, v32, v36
	;; [unrolled: 1-line block ×4, first 2 shown]
	s_waitcnt lgkmcnt(0)
	v_add_f32_e32 v27, v31, v27
	v_add_f32_e32 v28, v32, v28
	;; [unrolled: 1-line block ×4, first 2 shown]
.LBB114_94:
	s_or_b64 exec, exec, s[8:9]
	v_mul_f32_e32 v27, v11, v23
	v_fma_f32 v27, v10, v22, -v27
	v_mul_f32_e32 v10, v10, v23
	v_fmac_f32_e32 v10, v11, v22
	v_mul_f32_e32 v22, v13, v7
	v_mul_f32_e32 v7, v12, v7
	v_add_f32_e32 v10, 0, v10
	v_fmac_f32_e32 v7, v13, v6
	v_add_f32_e32 v7, v10, v7
	v_mul_f32_e32 v10, v3, v9
	v_add_f32_e32 v11, 0, v27
	v_fma_f32 v22, v12, v6, -v22
	v_fma_f32 v10, v2, v8, -v10
	v_mul_f32_e32 v2, v2, v9
	v_add_f32_e32 v6, v11, v22
	v_fmac_f32_e32 v2, v3, v8
	v_add_f32_e32 v3, v6, v10
	v_add_f32_e32 v6, v7, v2
	v_mul_f32_e32 v2, v5, v21
	v_fma_f32 v2, v4, v20, -v2
	v_mul_f32_e32 v4, v4, v21
	v_fmac_f32_e32 v4, v5, v20
	v_add_f32_e32 v2, v3, v2
	v_add_f32_e32 v3, v6, v4
	s_barrier
	ds_write_b64 v26, v[2:3]
	s_waitcnt lgkmcnt(0)
	s_barrier
	s_and_saveexec_b64 s[4:5], s[2:3]
	s_cbranch_execz .LBB114_96
; %bb.95:
	ds_read2_b64 v[2:5], v25 offset1:1
	ds_read2_b64 v[6:9], v25 offset0:2 offset1:3
	ds_read2_b64 v[10:13], v25 offset0:4 offset1:5
	s_waitcnt lgkmcnt(2)
	v_add_f32_e32 v2, v52, v2
	v_add_f32_e32 v3, v53, v3
	;; [unrolled: 1-line block ×4, first 2 shown]
	s_waitcnt lgkmcnt(1)
	v_add_f32_e32 v2, v2, v6
	v_add_f32_e32 v3, v3, v7
	;; [unrolled: 1-line block ×4, first 2 shown]
	ds_read2_b64 v[2:5], v25 offset0:6 offset1:7
	s_waitcnt lgkmcnt(1)
	v_add_f32_e32 v6, v6, v10
	v_add_f32_e32 v7, v7, v11
	;; [unrolled: 1-line block ×4, first 2 shown]
	s_waitcnt lgkmcnt(0)
	v_add_f32_e32 v2, v6, v2
	v_add_f32_e32 v3, v7, v3
	;; [unrolled: 1-line block ×4, first 2 shown]
.LBB114_96:
	s_or_b64 exec, exec, s[4:5]
	s_mul_hi_u32 s2, s37, s7
	s_mul_i32 s38, s38, s7
	s_add_i32 s2, s2, s38
	s_mul_i32 s4, s37, s7
	s_mul_i32 s2, s2, s33
	s_mul_hi_u32 s3, s4, s33
	s_add_i32 s3, s3, s2
	s_mul_i32 s2, s4, s33
	s_lshl_b64 s[2:3], s[2:3], 3
	s_add_u32 s4, s34, s2
	s_addc_u32 s5, s35, s3
	s_mul_hi_i32 s3, s37, s6
	s_mul_i32 s2, s37, s6
	s_lshl_b64 s[2:3], s[2:3], 3
	s_add_u32 s7, s4, s2
	s_addc_u32 s21, s5, s3
	s_add_i32 s2, s6, 1
	s_cmp_ge_u32 s2, s33
	v_lshlrev_b32_e32 v87, 3, v0
	s_barrier
	s_cbranch_scc1 .LBB114_154
; %bb.97:
	s_mul_i32 s2, s24, s23
	s_mul_hi_u32 s3, s24, s22
	s_add_i32 s2, s3, s2
	s_mul_i32 s3, s25, s22
	s_add_i32 s3, s2, s3
	s_mul_i32 s2, s24, s22
	s_lshl_b64 s[2:3], s[2:3], 3
	v_mov_b32_e32 v2, s3
	v_subrev_co_u32_e32 v89, vcc, s2, v16
	v_subb_co_u32_e32 v90, vcc, v17, v2, vcc
	v_lshrrev_b32_e32 v2, 4, v24
	v_lshlrev_b32_e32 v4, 5, v2
	v_mul_i32_i24_e32 v8, 0xffffffe8, v2
	v_and_b32_e32 v2, 48, v0
	v_and_b32_e32 v3, 15, v0
	v_lshlrev_b32_e32 v7, 5, v1
	s_movk_i32 s4, 0x218
	v_lshlrev_b32_e32 v2, 3, v2
	v_mad_u32_u24 v95, v3, s4, v4
	v_mad_u32_u24 v96, v3, s4, v2
	v_or_b32_e32 v2, 0x78, v87
	v_add_u32_e32 v4, 0x100, v7
	v_mad_u32_u24 v97, v3, s4, v2
	v_mad_u64_u32 v[2:3], s[4:5], s16, v4, 0
	v_add_u32_e32 v6, 0x110, v7
	v_add_u32_e32 v17, 0x180, v7
	v_mad_u64_u32 v[3:4], s[4:5], s17, v4, v[3:4]
	v_mad_u64_u32 v[4:5], s[4:5], s16, v6, 0
	v_sub_co_u32_e32 v9, vcc, v2, v14
	v_mov_b32_e32 v2, v5
	v_subb_co_u32_e32 v10, vcc, v3, v15, vcc
	v_mad_u64_u32 v[2:3], s[4:5], s17, v6, v[2:3]
	v_add_u32_e32 v3, 0x108, v7
	v_mad_u64_u32 v[5:6], s[4:5], s16, v3, 0
	v_sub_co_u32_e32 v11, vcc, v4, v14
	v_subb_co_u32_e32 v12, vcc, v2, v15, vcc
	v_mov_b32_e32 v2, v6
	v_mad_u64_u32 v[2:3], s[4:5], s17, v3, v[2:3]
	v_add_u32_e32 v6, 0x118, v7
	v_mad_u64_u32 v[3:4], s[4:5], s16, v6, 0
	v_sub_co_u32_e32 v13, vcc, v5, v14
	v_subb_co_u32_e32 v16, vcc, v2, v15, vcc
	v_mov_b32_e32 v2, v4
	v_mad_u64_u32 v[4:5], s[4:5], s17, v6, v[2:3]
	v_mad_u64_u32 v[5:6], s[4:5], s16, v17, 0
	v_sub_co_u32_e32 v20, vcc, v3, v14
	v_mov_b32_e32 v2, v6
	v_mad_u64_u32 v[2:3], s[4:5], s17, v17, v[2:3]
	v_add_u32_e32 v6, 0x188, v7
	v_subb_co_u32_e32 v21, vcc, v4, v15, vcc
	v_mad_u64_u32 v[3:4], s[4:5], s16, v6, 0
	v_sub_co_u32_e32 v17, vcc, v5, v14
	v_subb_co_u32_e32 v22, vcc, v2, v15, vcc
	v_mov_b32_e32 v2, v4
	v_mad_u64_u32 v[4:5], s[4:5], s17, v6, v[2:3]
	v_add_u32_e32 v23, 0x190, v7
	v_mad_u64_u32 v[5:6], s[4:5], s16, v23, 0
	s_movk_i32 s2, 0x860
	v_mad_u32_u24 v94, v1, s2, v87
	v_mov_b32_e32 v2, v6
	v_cmp_gt_u32_e64 s[2:3], 64, v24
	v_sub_co_u32_e32 v24, vcc, v3, v14
	v_mad_u64_u32 v[2:3], s[4:5], s17, v23, v[2:3]
	v_add_u32_e32 v6, 0x198, v7
	v_subb_co_u32_e32 v25, vcc, v4, v15, vcc
	v_mad_u64_u32 v[3:4], s[4:5], s16, v6, 0
	v_sub_co_u32_e32 v23, vcc, v5, v14
	v_subb_co_u32_e32 v26, vcc, v2, v15, vcc
	v_mov_b32_e32 v2, v4
	v_mad_u64_u32 v[4:5], s[4:5], s17, v6, v[2:3]
	v_add_u32_e32 v27, 0x200, v7
	v_mad_u64_u32 v[5:6], s[4:5], s16, v27, 0
	v_sub_co_u32_e32 v28, vcc, v3, v14
	v_mov_b32_e32 v2, v6
	v_mad_u64_u32 v[2:3], s[4:5], s17, v27, v[2:3]
	v_add_u32_e32 v6, 0x208, v7
	v_subb_co_u32_e32 v29, vcc, v4, v15, vcc
	v_mad_u64_u32 v[3:4], s[4:5], s16, v6, 0
	v_sub_co_u32_e32 v27, vcc, v5, v14
	v_subb_co_u32_e32 v30, vcc, v2, v15, vcc
	v_mov_b32_e32 v2, v4
	v_mad_u64_u32 v[4:5], s[4:5], s17, v6, v[2:3]
	v_add_u32_e32 v31, 0x210, v7
	v_mad_u64_u32 v[5:6], s[4:5], s16, v31, 0
	v_sub_co_u32_e32 v32, vcc, v3, v14
	v_mov_b32_e32 v2, v6
	;; [unrolled: 12-line block ×4, first 2 shown]
	v_mad_u64_u32 v[2:3], s[4:5], s17, v39, v[2:3]
	v_add_u32_e32 v6, 0x298, v7
	v_subb_co_u32_e32 v41, vcc, v4, v15, vcc
	v_mad_u64_u32 v[3:4], s[4:5], s16, v6, 0
	v_add_u32_e32 v92, 0x2180, v7
	v_sub_co_u32_e32 v7, vcc, v5, v14
	v_subb_co_u32_e32 v39, vcc, v2, v15, vcc
	v_mov_b32_e32 v2, v4
	v_mad_u64_u32 v[4:5], s[4:5], s17, v6, v[2:3]
	v_sub_co_u32_e32 v2, vcc, v3, v14
	v_subb_co_u32_e32 v3, vcc, v4, v15, vcc
	v_add_co_u32_e32 v110, vcc, v18, v9
	v_addc_co_u32_e32 v111, vcc, v19, v10, vcc
	v_add_co_u32_e32 v112, vcc, v18, v11
	v_addc_co_u32_e32 v113, vcc, v19, v12, vcc
	;; [unrolled: 2-line block ×15, first 2 shown]
	v_lshlrev_b32_e32 v88, 2, v1
	v_add_co_u32_e32 v140, vcc, v18, v2
	s_add_i32 s23, s33, -2
	v_add_u32_e32 v91, 0x2180, v87
	v_add_u32_e32 v93, 0x2380, v87
	v_or_b32_e32 v98, 1, v88
	v_or_b32_e32 v99, 2, v88
	;; [unrolled: 1-line block ×3, first 2 shown]
	v_add_u32_e32 v101, 16, v88
	v_add_u32_e32 v102, 17, v88
	;; [unrolled: 1-line block ×9, first 2 shown]
	v_addc_co_u32_e32 v141, vcc, v19, v3, vcc
	v_add_u32_e32 v142, 49, v88
	v_add_u32_e32 v143, 50, v88
	s_add_i32 s22, s22, 64
	s_lshl_b64 s[10:11], s[16:17], 9
	v_add_u32_e32 v144, v95, v8
	v_add_u32_e32 v145, 51, v88
	v_mov_b32_e32 v54, 0
	s_cmp_eq_u32 s23, s6
	s_cselect_b32 s16, s36, 0
	s_and_saveexec_b64 s[4:5], s[0:1]
	s_cbranch_execz .LBB114_102
.LBB114_98:
	s_cmp_lg_u32 s16, 0
	s_cselect_b64 s[8:9], -1, 0
	v_cmp_le_i32_e32 vcc, s16, v0
	s_and_b64 s[8:9], s[8:9], vcc
	s_and_saveexec_b64 s[12:13], s[8:9]
	s_xor_b64 s[8:9], exec, s[12:13]
; %bb.99:
	v_mov_b32_e32 v55, v54
	ds_write_b64 v91, v[54:55]
; %bb.100:
	s_andn2_saveexec_b64 s[8:9], s[8:9]
	s_cbranch_execz .LBB114_102
; %bb.101:
	s_ashr_i32 s8, s22, 31
	s_mul_hi_u32 s9, s24, s22
	s_mul_i32 s8, s24, s8
	s_add_i32 s8, s9, s8
	s_mul_i32 s9, s25, s22
	s_add_i32 s9, s8, s9
	s_mul_i32 s8, s24, s22
	s_lshl_b64 s[8:9], s[8:9], 3
	v_mov_b32_e32 v3, s9
	v_add_co_u32_e32 v2, vcc, s8, v89
	v_addc_co_u32_e32 v3, vcc, v90, v3, vcc
	global_load_dwordx2 v[2:3], v[2:3], off
	s_waitcnt vmcnt(0)
	ds_write_b64 v91, v[2:3]
.LBB114_102:                            ; =>This Inner Loop Header: Depth=1
	s_or_b64 exec, exec, s[4:5]
	s_cmp_eq_u32 s16, 0
	v_add_co_u32_e32 v2, vcc, v110, v87
	s_cselect_b64 s[12:13], -1, 0
	s_cmp_lg_u32 s16, 0
	v_addc_co_u32_e32 v3, vcc, 0, v111, vcc
	s_cselect_b64 s[8:9], -1, 0
	s_and_b64 vcc, exec, s[8:9]
	s_waitcnt lgkmcnt(0)
	s_barrier
	s_cbranch_vccz .LBB114_110
; %bb.103:                              ;   in Loop: Header=BB114_102 Depth=1
	v_mov_b32_e32 v57, 0
	v_mov_b32_e32 v55, 0
	;; [unrolled: 1-line block ×4, first 2 shown]
	v_cmp_gt_i32_e32 vcc, s16, v88
	s_and_saveexec_b64 s[4:5], vcc
	s_cbranch_execz .LBB114_105
; %bb.104:                              ;   in Loop: Header=BB114_102 Depth=1
	global_load_dwordx2 v[55:56], v[2:3], off
.LBB114_105:                            ;   in Loop: Header=BB114_102 Depth=1
	s_or_b64 exec, exec, s[4:5]
	v_cmp_gt_i32_e32 vcc, s16, v98
	s_and_saveexec_b64 s[4:5], vcc
	s_cbranch_execz .LBB114_107
; %bb.106:                              ;   in Loop: Header=BB114_102 Depth=1
	v_add_co_u32_e32 v4, vcc, v114, v87
	v_addc_co_u32_e32 v5, vcc, 0, v115, vcc
	global_load_dwordx2 v[57:58], v[4:5], off
.LBB114_107:                            ;   in Loop: Header=BB114_102 Depth=1
	s_or_b64 exec, exec, s[4:5]
	v_mov_b32_e32 v59, 0
	v_mov_b32_e32 v60, 0
	v_cmp_gt_i32_e32 vcc, s16, v99
	s_and_saveexec_b64 s[4:5], vcc
	s_cbranch_execz .LBB114_109
; %bb.108:                              ;   in Loop: Header=BB114_102 Depth=1
	v_add_co_u32_e32 v4, vcc, v112, v87
	v_addc_co_u32_e32 v5, vcc, 0, v113, vcc
	global_load_dwordx2 v[59:60], v[4:5], off
.LBB114_109:                            ;   in Loop: Header=BB114_102 Depth=1
	s_or_b64 exec, exec, s[4:5]
	v_cmp_gt_i32_e64 s[4:5], s16, v100
	s_branch .LBB114_112
.LBB114_110:                            ;   in Loop: Header=BB114_102 Depth=1
	s_mov_b64 s[4:5], 0
                                        ; implicit-def: $vgpr59_vgpr60
                                        ; implicit-def: $vgpr57_vgpr58
                                        ; implicit-def: $vgpr55_vgpr56
	s_cbranch_execz .LBB114_112
; %bb.111:                              ;   in Loop: Header=BB114_102 Depth=1
	global_load_dwordx2 v[55:56], v[2:3], off
	v_add_co_u32_e32 v2, vcc, v114, v87
	v_addc_co_u32_e32 v3, vcc, 0, v115, vcc
	global_load_dwordx2 v[57:58], v[2:3], off
	v_add_co_u32_e32 v2, vcc, v112, v87
	v_addc_co_u32_e32 v3, vcc, 0, v113, vcc
	global_load_dwordx2 v[59:60], v[2:3], off
	s_or_b64 s[4:5], s[4:5], exec
.LBB114_112:                            ;   in Loop: Header=BB114_102 Depth=1
	v_mov_b32_e32 v61, 0
	v_mov_b32_e32 v62, 0
	s_and_saveexec_b64 s[14:15], s[4:5]
	s_cbranch_execz .LBB114_114
; %bb.113:                              ;   in Loop: Header=BB114_102 Depth=1
	v_add_co_u32_e32 v2, vcc, v116, v87
	v_addc_co_u32_e32 v3, vcc, 0, v117, vcc
	global_load_dwordx2 v[61:62], v[2:3], off
.LBB114_114:                            ;   in Loop: Header=BB114_102 Depth=1
	s_or_b64 exec, exec, s[14:15]
	ds_read_b64 v[10:11], v93
	ds_read_b128 v[6:9], v92
	ds_read_b128 v[2:5], v92 offset:16
	s_andn2_b64 vcc, exec, s[8:9]
	s_waitcnt vmcnt(0) lgkmcnt(2)
	v_mul_f32_e32 v12, v11, v56
	v_mul_f32_e32 v13, v11, v55
	;; [unrolled: 1-line block ×4, first 2 shown]
	v_fma_f32 v12, v10, v55, -v12
	v_fmac_f32_e32 v13, v10, v56
	v_fma_f32 v14, v10, v57, -v14
	v_fmac_f32_e32 v15, v10, v58
	ds_write2_b64 v94, v[12:13], v[14:15] offset1:67
	v_mul_f32_e32 v12, v11, v60
	v_mul_f32_e32 v13, v11, v59
	;; [unrolled: 1-line block ×4, first 2 shown]
	v_fma_f32 v12, v10, v59, -v12
	v_fmac_f32_e32 v13, v10, v60
	v_fma_f32 v14, v10, v61, -v14
	v_fmac_f32_e32 v15, v11, v61
	ds_write2_b64 v94, v[12:13], v[14:15] offset0:134 offset1:201
	s_waitcnt lgkmcnt(0)
	s_barrier
	ds_read2_b64 v[22:25], v95 offset1:1
	ds_read2_b64 v[18:21], v95 offset0:2 offset1:3
	v_cndmask_b32_e64 v10, 0, 1, s[8:9]
	v_cmp_ne_u32_e64 s[4:5], 1, v10
	v_add_co_u32_e64 v10, s[8:9], v118, v87
	v_addc_co_u32_e64 v11, s[8:9], 0, v119, s[8:9]
	s_waitcnt lgkmcnt(0)
	s_barrier
	s_cbranch_vccnz .LBB114_122
; %bb.115:                              ;   in Loop: Header=BB114_102 Depth=1
	v_mov_b32_e32 v65, 0
	v_mov_b32_e32 v63, 0
	;; [unrolled: 1-line block ×4, first 2 shown]
	v_cmp_gt_i32_e32 vcc, s16, v101
	s_and_saveexec_b64 s[8:9], vcc
	s_cbranch_execz .LBB114_117
; %bb.116:                              ;   in Loop: Header=BB114_102 Depth=1
	global_load_dwordx2 v[63:64], v[10:11], off
.LBB114_117:                            ;   in Loop: Header=BB114_102 Depth=1
	s_or_b64 exec, exec, s[8:9]
	v_cmp_gt_i32_e32 vcc, s16, v102
	s_and_saveexec_b64 s[8:9], vcc
	s_cbranch_execz .LBB114_119
; %bb.118:                              ;   in Loop: Header=BB114_102 Depth=1
	v_add_co_u32_e32 v12, vcc, v120, v87
	v_addc_co_u32_e32 v13, vcc, 0, v121, vcc
	global_load_dwordx2 v[65:66], v[12:13], off
.LBB114_119:                            ;   in Loop: Header=BB114_102 Depth=1
	s_or_b64 exec, exec, s[8:9]
	v_mov_b32_e32 v67, 0
	v_mov_b32_e32 v68, 0
	v_cmp_gt_i32_e32 vcc, s16, v103
	s_and_saveexec_b64 s[8:9], vcc
	s_cbranch_execz .LBB114_121
; %bb.120:                              ;   in Loop: Header=BB114_102 Depth=1
	v_add_co_u32_e32 v12, vcc, v122, v87
	v_addc_co_u32_e32 v13, vcc, 0, v123, vcc
	global_load_dwordx2 v[67:68], v[12:13], off
.LBB114_121:                            ;   in Loop: Header=BB114_102 Depth=1
	s_or_b64 exec, exec, s[8:9]
	v_cmp_gt_i32_e64 s[8:9], s16, v104
	s_branch .LBB114_124
.LBB114_122:                            ;   in Loop: Header=BB114_102 Depth=1
	s_mov_b64 s[8:9], 0
                                        ; implicit-def: $vgpr67_vgpr68
                                        ; implicit-def: $vgpr65_vgpr66
                                        ; implicit-def: $vgpr63_vgpr64
	s_cbranch_execz .LBB114_124
; %bb.123:                              ;   in Loop: Header=BB114_102 Depth=1
	global_load_dwordx2 v[63:64], v[10:11], off
	v_add_co_u32_e32 v10, vcc, v120, v87
	v_addc_co_u32_e32 v11, vcc, 0, v121, vcc
	global_load_dwordx2 v[65:66], v[10:11], off
	v_add_co_u32_e32 v10, vcc, v122, v87
	v_addc_co_u32_e32 v11, vcc, 0, v123, vcc
	global_load_dwordx2 v[67:68], v[10:11], off
	s_or_b64 s[8:9], s[8:9], exec
.LBB114_124:                            ;   in Loop: Header=BB114_102 Depth=1
	v_mov_b32_e32 v69, 0
	v_mov_b32_e32 v70, 0
	s_and_saveexec_b64 s[14:15], s[8:9]
	s_cbranch_execz .LBB114_126
; %bb.125:                              ;   in Loop: Header=BB114_102 Depth=1
	v_add_co_u32_e32 v10, vcc, v124, v87
	v_addc_co_u32_e32 v11, vcc, 0, v125, vcc
	global_load_dwordx2 v[69:70], v[10:11], off
.LBB114_126:                            ;   in Loop: Header=BB114_102 Depth=1
	s_or_b64 exec, exec, s[14:15]
	ds_read_b64 v[26:27], v93
	ds_read_b128 v[14:17], v92 offset:128
	ds_read_b128 v[10:13], v92 offset:144
	s_and_b64 vcc, exec, s[4:5]
	s_waitcnt vmcnt(0) lgkmcnt(2)
	v_mul_f32_e32 v28, v27, v64
	v_mul_f32_e32 v29, v27, v63
	;; [unrolled: 1-line block ×4, first 2 shown]
	v_fma_f32 v28, v26, v63, -v28
	v_fmac_f32_e32 v29, v26, v64
	v_fma_f32 v30, v26, v65, -v30
	v_fmac_f32_e32 v31, v26, v66
	ds_write2_b64 v94, v[28:29], v[30:31] offset1:67
	v_mul_f32_e32 v28, v27, v68
	v_mul_f32_e32 v29, v27, v67
	;; [unrolled: 1-line block ×4, first 2 shown]
	v_fma_f32 v28, v26, v67, -v28
	v_fmac_f32_e32 v29, v26, v68
	v_fma_f32 v30, v26, v69, -v30
	v_fmac_f32_e32 v31, v27, v69
	ds_write2_b64 v94, v[28:29], v[30:31] offset0:134 offset1:201
	s_waitcnt lgkmcnt(0)
	s_barrier
	ds_read2_b64 v[38:41], v95 offset1:1
	ds_read2_b64 v[34:37], v95 offset0:2 offset1:3
	v_add_co_u32_e64 v26, s[8:9], v126, v87
	v_addc_co_u32_e64 v27, s[8:9], 0, v127, s[8:9]
	s_waitcnt lgkmcnt(0)
	s_barrier
	s_cbranch_vccnz .LBB114_134
; %bb.127:                              ;   in Loop: Header=BB114_102 Depth=1
	v_mov_b32_e32 v73, 0
	v_mov_b32_e32 v71, 0
	;; [unrolled: 1-line block ×4, first 2 shown]
	v_cmp_gt_i32_e32 vcc, s16, v105
	s_and_saveexec_b64 s[8:9], vcc
	s_cbranch_execz .LBB114_129
; %bb.128:                              ;   in Loop: Header=BB114_102 Depth=1
	global_load_dwordx2 v[71:72], v[26:27], off
.LBB114_129:                            ;   in Loop: Header=BB114_102 Depth=1
	s_or_b64 exec, exec, s[8:9]
	v_cmp_gt_i32_e32 vcc, s16, v106
	s_and_saveexec_b64 s[8:9], vcc
	s_cbranch_execz .LBB114_131
; %bb.130:                              ;   in Loop: Header=BB114_102 Depth=1
	v_add_co_u32_e32 v28, vcc, v128, v87
	v_addc_co_u32_e32 v29, vcc, 0, v129, vcc
	global_load_dwordx2 v[73:74], v[28:29], off
.LBB114_131:                            ;   in Loop: Header=BB114_102 Depth=1
	s_or_b64 exec, exec, s[8:9]
	v_mov_b32_e32 v75, 0
	v_mov_b32_e32 v76, 0
	v_cmp_gt_i32_e32 vcc, s16, v107
	s_and_saveexec_b64 s[8:9], vcc
	s_cbranch_execz .LBB114_133
; %bb.132:                              ;   in Loop: Header=BB114_102 Depth=1
	v_add_co_u32_e32 v28, vcc, v130, v87
	v_addc_co_u32_e32 v29, vcc, 0, v131, vcc
	global_load_dwordx2 v[75:76], v[28:29], off
.LBB114_133:                            ;   in Loop: Header=BB114_102 Depth=1
	s_or_b64 exec, exec, s[8:9]
	v_cmp_gt_i32_e64 s[8:9], s16, v108
	s_branch .LBB114_136
.LBB114_134:                            ;   in Loop: Header=BB114_102 Depth=1
	s_mov_b64 s[8:9], 0
                                        ; implicit-def: $vgpr75_vgpr76
                                        ; implicit-def: $vgpr73_vgpr74
                                        ; implicit-def: $vgpr71_vgpr72
	s_cbranch_execz .LBB114_136
; %bb.135:                              ;   in Loop: Header=BB114_102 Depth=1
	global_load_dwordx2 v[71:72], v[26:27], off
	v_add_co_u32_e32 v26, vcc, v128, v87
	v_addc_co_u32_e32 v27, vcc, 0, v129, vcc
	global_load_dwordx2 v[73:74], v[26:27], off
	v_add_co_u32_e32 v26, vcc, v130, v87
	v_addc_co_u32_e32 v27, vcc, 0, v131, vcc
	global_load_dwordx2 v[75:76], v[26:27], off
	s_or_b64 s[8:9], s[8:9], exec
.LBB114_136:                            ;   in Loop: Header=BB114_102 Depth=1
	v_mov_b32_e32 v77, 0
	v_mov_b32_e32 v78, 0
	s_and_saveexec_b64 s[14:15], s[8:9]
	s_cbranch_execz .LBB114_138
; %bb.137:                              ;   in Loop: Header=BB114_102 Depth=1
	v_add_co_u32_e32 v26, vcc, v132, v87
	v_addc_co_u32_e32 v27, vcc, 0, v133, vcc
	global_load_dwordx2 v[77:78], v[26:27], off
.LBB114_138:                            ;   in Loop: Header=BB114_102 Depth=1
	s_or_b64 exec, exec, s[14:15]
	ds_read_b64 v[42:43], v93
	ds_read_b128 v[30:33], v92 offset:256
	ds_read_b128 v[26:29], v92 offset:272
	s_and_b64 vcc, exec, s[4:5]
	v_add_co_u32_e64 v85, s[4:5], v134, v87
	s_waitcnt vmcnt(0) lgkmcnt(2)
	v_mul_f32_e32 v44, v43, v72
	v_mul_f32_e32 v45, v43, v71
	v_mul_f32_e32 v46, v43, v74
	v_mul_f32_e32 v47, v43, v73
	v_fma_f32 v44, v42, v71, -v44
	v_fmac_f32_e32 v45, v42, v72
	v_fma_f32 v46, v42, v73, -v46
	v_fmac_f32_e32 v47, v42, v74
	ds_write2_b64 v94, v[44:45], v[46:47] offset1:67
	v_mul_f32_e32 v44, v43, v76
	v_mul_f32_e32 v45, v43, v75
	;; [unrolled: 1-line block ×4, first 2 shown]
	v_fma_f32 v44, v42, v75, -v44
	v_fmac_f32_e32 v45, v42, v76
	v_fma_f32 v46, v42, v77, -v46
	v_fmac_f32_e32 v47, v43, v77
	ds_write2_b64 v94, v[44:45], v[46:47] offset0:134 offset1:201
	s_waitcnt lgkmcnt(0)
	s_barrier
	ds_read2_b64 v[46:49], v95 offset1:1
	ds_read2_b64 v[42:45], v95 offset0:2 offset1:3
	v_addc_co_u32_e64 v86, s[4:5], 0, v135, s[4:5]
	s_waitcnt lgkmcnt(0)
	s_barrier
	s_cbranch_vccnz .LBB114_146
; %bb.139:                              ;   in Loop: Header=BB114_102 Depth=1
	v_mov_b32_e32 v81, 0
	v_mov_b32_e32 v79, 0
	v_mov_b32_e32 v82, 0
	v_mov_b32_e32 v80, 0
	v_cmp_gt_i32_e32 vcc, s16, v109
	s_and_saveexec_b64 s[4:5], vcc
	s_cbranch_execz .LBB114_141
; %bb.140:                              ;   in Loop: Header=BB114_102 Depth=1
	global_load_dwordx2 v[79:80], v[85:86], off
.LBB114_141:                            ;   in Loop: Header=BB114_102 Depth=1
	s_or_b64 exec, exec, s[4:5]
	v_cmp_gt_i32_e32 vcc, s16, v142
	s_and_saveexec_b64 s[4:5], vcc
	s_cbranch_execz .LBB114_143
; %bb.142:                              ;   in Loop: Header=BB114_102 Depth=1
	v_add_co_u32_e32 v81, vcc, v136, v87
	v_addc_co_u32_e32 v82, vcc, 0, v137, vcc
	global_load_dwordx2 v[81:82], v[81:82], off
.LBB114_143:                            ;   in Loop: Header=BB114_102 Depth=1
	s_or_b64 exec, exec, s[4:5]
	v_mov_b32_e32 v83, 0
	v_mov_b32_e32 v84, 0
	v_cmp_gt_i32_e32 vcc, s16, v143
	s_and_saveexec_b64 s[4:5], vcc
	s_cbranch_execz .LBB114_145
; %bb.144:                              ;   in Loop: Header=BB114_102 Depth=1
	v_add_co_u32_e32 v83, vcc, v138, v87
	v_addc_co_u32_e32 v84, vcc, 0, v139, vcc
	global_load_dwordx2 v[83:84], v[83:84], off
.LBB114_145:                            ;   in Loop: Header=BB114_102 Depth=1
	s_or_b64 exec, exec, s[4:5]
	v_cmp_gt_i32_e64 s[4:5], s16, v145
	s_branch .LBB114_148
.LBB114_146:                            ;   in Loop: Header=BB114_102 Depth=1
	s_mov_b64 s[4:5], 0
                                        ; implicit-def: $vgpr83_vgpr84
                                        ; implicit-def: $vgpr81_vgpr82
                                        ; implicit-def: $vgpr79_vgpr80
	s_cbranch_execz .LBB114_148
; %bb.147:                              ;   in Loop: Header=BB114_102 Depth=1
	s_waitcnt vmcnt(0)
	v_add_co_u32_e32 v81, vcc, v136, v87
	v_addc_co_u32_e32 v82, vcc, 0, v137, vcc
	v_add_co_u32_e32 v83, vcc, v138, v87
	v_addc_co_u32_e32 v84, vcc, 0, v139, vcc
	global_load_dwordx2 v[79:80], v[85:86], off
	s_or_b64 s[4:5], s[4:5], exec
	global_load_dwordx2 v[81:82], v[81:82], off
	s_nop 0
	global_load_dwordx2 v[83:84], v[83:84], off
.LBB114_148:                            ;   in Loop: Header=BB114_102 Depth=1
	v_mov_b32_e32 v85, 0
	v_mov_b32_e32 v86, 0
	s_and_saveexec_b64 s[8:9], s[4:5]
	s_cbranch_execz .LBB114_150
; %bb.149:                              ;   in Loop: Header=BB114_102 Depth=1
	v_add_co_u32_e32 v85, vcc, v140, v87
	v_addc_co_u32_e32 v86, vcc, 0, v141, vcc
	global_load_dwordx2 v[85:86], v[85:86], off
.LBB114_150:                            ;   in Loop: Header=BB114_102 Depth=1
	s_or_b64 exec, exec, s[8:9]
	v_add_f32_e32 v38, 0, v38
	v_add_f32_e32 v39, 0, v39
	;; [unrolled: 1-line block ×6, first 2 shown]
	ds_read_b64 v[38:39], v93
	v_add_f32_e32 v46, 0, v46
	v_add_f32_e32 v47, 0, v47
	;; [unrolled: 1-line block ×7, first 2 shown]
	s_waitcnt vmcnt(0) lgkmcnt(0)
	v_mul_f32_e32 v40, v39, v80
	v_mul_f32_e32 v41, v39, v79
	;; [unrolled: 1-line block ×4, first 2 shown]
	v_add_f32_e32 v23, 0, v23
	v_add_f32_e32 v22, v22, v24
	v_fma_f32 v40, v38, v79, -v40
	v_fmac_f32_e32 v41, v38, v80
	v_fma_f32 v46, v38, v81, -v46
	v_fmac_f32_e32 v47, v38, v82
	v_add_f32_e32 v42, v42, v44
	v_add_f32_e32 v43, v43, v45
	v_add_f32_e32 v44, v34, v36
	v_add_f32_e32 v45, v35, v37
	v_add_f32_e32 v48, v23, v25
	v_add_f32_e32 v18, v22, v18
	ds_read_b128 v[34:37], v92 offset:384
	ds_read_b128 v[22:25], v92 offset:400
	ds_write2_b64 v94, v[40:41], v[46:47] offset1:67
	v_mul_f32_e32 v40, v39, v84
	v_mul_f32_e32 v41, v39, v83
	;; [unrolled: 1-line block ×4, first 2 shown]
	v_fma_f32 v40, v38, v83, -v40
	v_fmac_f32_e32 v41, v38, v84
	v_fma_f32 v46, v38, v85, -v46
	v_fmac_f32_e32 v47, v39, v85
	ds_write2_b64 v94, v[40:41], v[46:47] offset0:134 offset1:201
	s_waitcnt lgkmcnt(0)
	s_barrier
	ds_read2_b64 v[38:41], v95 offset1:1
	v_add_f32_e32 v19, v48, v19
	v_add_f32_e32 v46, v18, v20
	;; [unrolled: 1-line block ×3, first 2 shown]
	ds_read2_b64 v[18:21], v95 offset0:2 offset1:3
	s_waitcnt lgkmcnt(1)
	v_add_f32_e32 v38, 0, v38
	v_add_f32_e32 v39, 0, v39
	v_cmp_gt_i32_e32 vcc, s16, v0
	v_add_f32_e32 v38, v38, v40
	v_add_f32_e32 v39, v39, v41
	s_or_b64 s[4:5], s[12:13], vcc
	s_waitcnt lgkmcnt(0)
	v_add_f32_e32 v18, v38, v18
	v_add_f32_e32 v19, v39, v19
	s_and_b64 s[8:9], s[2:3], s[4:5]
	v_add_f32_e32 v18, v18, v20
	v_add_f32_e32 v19, v19, v21
	s_barrier
	ds_write2_b64 v144, v[46:47], v[44:45] offset1:16
	ds_write2_b64 v144, v[42:43], v[18:19] offset0:32 offset1:48
	s_waitcnt lgkmcnt(0)
	s_barrier
	s_and_saveexec_b64 s[4:5], s[8:9]
	s_cbranch_execz .LBB114_152
; %bb.151:                              ;   in Loop: Header=BB114_102 Depth=1
	ds_read_b64 v[42:43], v96
	ds_read2_b64 v[18:21], v96 offset0:1 offset1:2
	ds_read2_b64 v[38:41], v96 offset0:3 offset1:4
	s_waitcnt lgkmcnt(1)
	v_add_f32_e32 v18, v18, v42
	v_add_f32_e32 v19, v19, v43
	;; [unrolled: 1-line block ×4, first 2 shown]
	ds_read2_b64 v[18:21], v96 offset0:5 offset1:6
	s_waitcnt lgkmcnt(1)
	v_add_f32_e32 v38, v42, v38
	v_add_f32_e32 v39, v43, v39
	;; [unrolled: 1-line block ×4, first 2 shown]
	s_waitcnt lgkmcnt(0)
	v_add_f32_e32 v18, v38, v18
	ds_read2_b64 v[38:41], v96 offset0:7 offset1:8
	v_add_f32_e32 v19, v42, v19
	v_add_f32_e32 v42, v18, v20
	;; [unrolled: 1-line block ×3, first 2 shown]
	ds_read2_b64 v[18:21], v96 offset0:9 offset1:10
	s_waitcnt lgkmcnt(1)
	v_add_f32_e32 v38, v42, v38
	v_add_f32_e32 v39, v43, v39
	;; [unrolled: 1-line block ×4, first 2 shown]
	s_waitcnt lgkmcnt(0)
	v_add_f32_e32 v18, v38, v18
	ds_read2_b64 v[38:41], v96 offset0:11 offset1:12
	v_add_f32_e32 v19, v42, v19
	v_add_f32_e32 v42, v18, v20
	v_add_f32_e32 v43, v19, v21
	ds_read2_b64 v[18:21], v96 offset0:13 offset1:14
	s_waitcnt lgkmcnt(1)
	v_add_f32_e32 v38, v42, v38
	v_add_f32_e32 v39, v43, v39
	;; [unrolled: 1-line block ×4, first 2 shown]
	ds_read_b64 v[38:39], v97
	s_waitcnt lgkmcnt(1)
	v_add_f32_e32 v18, v40, v18
	v_add_f32_e32 v19, v41, v19
	;; [unrolled: 1-line block ×3, first 2 shown]
	v_add_u32_e32 v20, s22, v0
	v_add_f32_e32 v19, v19, v21
	v_ashrrev_i32_e32 v21, 31, v20
	v_lshlrev_b64 v[20:21], 3, v[20:21]
	s_waitcnt lgkmcnt(0)
	v_add_f32_e32 v18, v18, v38
	v_mov_b32_e32 v38, s21
	v_add_co_u32_e32 v20, vcc, s7, v20
	v_add_f32_e32 v19, v19, v39
	v_addc_co_u32_e32 v21, vcc, v38, v21, vcc
	global_store_dwordx2 v[20:21], v[18:19], off
.LBB114_152:                            ;   in Loop: Header=BB114_102 Depth=1
	s_or_b64 exec, exec, s[4:5]
	v_mul_f32_e32 v18, v7, v56
	v_fma_f32 v18, v6, v55, -v18
	v_mul_f32_e32 v19, v9, v58
	v_mul_f32_e32 v7, v7, v55
	v_add_f32_e32 v18, v52, v18
	v_fma_f32 v19, v8, v57, -v19
	v_mul_f32_e32 v9, v9, v57
	v_add_f32_e32 v18, v18, v19
	v_mul_f32_e32 v19, v3, v60
	v_fmac_f32_e32 v7, v6, v56
	v_fma_f32 v19, v2, v59, -v19
	v_mul_f32_e32 v3, v3, v59
	v_add_f32_e32 v6, v53, v7
	v_fmac_f32_e32 v9, v8, v58
	v_add_f32_e32 v18, v18, v19
	v_mul_f32_e32 v19, v5, v62
	v_mul_f32_e32 v5, v5, v61
	v_add_f32_e32 v6, v6, v9
	v_fmac_f32_e32 v3, v2, v60
	v_fma_f32 v19, v4, v61, -v19
	v_add_f32_e32 v2, v6, v3
	v_fmac_f32_e32 v5, v4, v62
	v_mul_f32_e32 v3, v15, v64
	v_add_f32_e32 v18, v18, v19
	v_add_f32_e32 v2, v2, v5
	v_fma_f32 v3, v14, v63, -v3
	v_mul_f32_e32 v5, v17, v66
	v_add_f32_e32 v3, v18, v3
	v_fma_f32 v5, v16, v65, -v5
	v_mul_f32_e32 v4, v15, v63
	v_add_f32_e32 v3, v3, v5
	v_mul_f32_e32 v5, v11, v68
	v_mul_f32_e32 v6, v17, v65
	v_fma_f32 v5, v10, v67, -v5
	v_fmac_f32_e32 v4, v14, v64
	v_mul_f32_e32 v7, v11, v67
	v_add_f32_e32 v3, v3, v5
	v_mul_f32_e32 v5, v13, v70
	v_add_f32_e32 v2, v2, v4
	v_fmac_f32_e32 v6, v16, v66
	v_fma_f32 v5, v12, v69, -v5
	v_mul_f32_e32 v8, v13, v69
	v_add_f32_e32 v2, v2, v6
	v_fmac_f32_e32 v7, v10, v68
	v_add_f32_e32 v3, v3, v5
	v_add_f32_e32 v2, v2, v7
	v_fmac_f32_e32 v8, v12, v70
	v_mul_f32_e32 v5, v31, v71
	v_add_f32_e32 v2, v2, v8
	v_mul_f32_e32 v6, v33, v73
	v_fmac_f32_e32 v5, v30, v72
	v_mul_f32_e32 v7, v27, v75
	v_add_f32_e32 v2, v2, v5
	v_fmac_f32_e32 v6, v32, v74
	v_mul_f32_e32 v8, v29, v77
	v_add_f32_e32 v2, v2, v6
	v_fmac_f32_e32 v7, v26, v76
	v_add_f32_e32 v2, v2, v7
	v_fmac_f32_e32 v8, v28, v78
	v_mul_f32_e32 v5, v35, v79
	v_add_f32_e32 v2, v2, v8
	v_mul_f32_e32 v6, v37, v81
	v_fmac_f32_e32 v5, v34, v80
	v_mul_f32_e32 v7, v23, v83
	v_fmac_f32_e32 v6, v36, v82
	v_add_f32_e32 v2, v2, v5
	v_mul_f32_e32 v8, v25, v85
	v_fmac_f32_e32 v7, v22, v84
	v_add_f32_e32 v2, v2, v6
	v_fmac_f32_e32 v8, v24, v86
	v_add_f32_e32 v2, v2, v7
	v_add_f32_e32 v53, v2, v8
	v_mov_b32_e32 v2, s11
	v_add_co_u32_e32 v110, vcc, s10, v110
	v_addc_co_u32_e32 v111, vcc, v111, v2, vcc
	v_add_co_u32_e32 v112, vcc, s10, v112
	v_addc_co_u32_e32 v113, vcc, v113, v2, vcc
	;; [unrolled: 2-line block ×7, first 2 shown]
	v_add_co_u32_e32 v124, vcc, s10, v124
	v_mul_f32_e32 v4, v31, v72
	v_addc_co_u32_e32 v125, vcc, v125, v2, vcc
	v_fma_f32 v4, v30, v71, -v4
	v_add_co_u32_e32 v126, vcc, s10, v126
	v_add_f32_e32 v3, v3, v4
	v_mul_f32_e32 v4, v33, v74
	v_addc_co_u32_e32 v127, vcc, v127, v2, vcc
	v_fma_f32 v4, v32, v73, -v4
	v_add_co_u32_e32 v128, vcc, s10, v128
	v_add_f32_e32 v3, v3, v4
	;; [unrolled: 5-line block ×7, first 2 shown]
	v_mul_f32_e32 v4, v25, v86
	v_addc_co_u32_e32 v139, vcc, v139, v2, vcc
	v_fma_f32 v4, v24, v85, -v4
	s_add_i32 s4, s6, 1
	s_add_i32 s22, s22, 64
	s_add_i32 s5, s6, 2
	v_add_co_u32_e32 v140, vcc, s10, v140
	v_add_f32_e32 v52, v3, v4
	s_cmp_ge_u32 s5, s33
	v_addc_co_u32_e32 v141, vcc, v141, v2, vcc
	s_waitcnt vmcnt(0)
	s_barrier
	s_cbranch_scc1 .LBB114_154
; %bb.153:                              ;   in Loop: Header=BB114_102 Depth=1
	s_mov_b32 s6, s4
	s_cmp_eq_u32 s23, s6
	s_cselect_b32 s16, s36, 0
	s_and_saveexec_b64 s[4:5], s[0:1]
	s_cbranch_execnz .LBB114_98
	s_branch .LBB114_102
.LBB114_154:
	s_movk_i32 s2, 0x218
	v_cmp_gt_i32_e32 vcc, s20, v0
	v_mad_u32_u24 v1, v1, s2, v87
	s_or_b64 s[2:3], s[18:19], vcc
	s_and_b64 s[0:1], s[0:1], s[2:3]
	ds_write_b64 v1, v[52:53]
	s_waitcnt lgkmcnt(0)
	s_barrier
	s_and_saveexec_b64 s[2:3], s[0:1]
	s_cbranch_execz .LBB114_156
; %bb.155:
	ds_read2_b64 v[0:3], v87 offset1:67
	ds_read2_b64 v[4:7], v87 offset0:134 offset1:201
	s_waitcnt lgkmcnt(1)
	v_add_f32_e32 v0, v2, v0
	v_add_f32_e32 v1, v3, v1
	v_lshlrev_b64 v[2:3], 3, v[50:51]
	s_waitcnt lgkmcnt(0)
	v_add_f32_e32 v0, v4, v0
	v_add_f32_e32 v1, v5, v1
	v_mov_b32_e32 v4, s21
	v_add_co_u32_e32 v2, vcc, s7, v2
	v_add_f32_e32 v0, v0, v6
	v_add_f32_e32 v1, v1, v7
	v_addc_co_u32_e32 v3, vcc, v4, v3, vcc
	global_store_dwordx2 v[2:3], v[0:1], off
.LBB114_156:
	s_endpgm
	.section	.rodata,"a",@progbits
	.p2align	6, 0x0
	.amdhsa_kernel _ZL26rocblas_hemvn_kernel_upperILb0ELi64ELi4ELi33ELi32ELi16ElPK19rocblas_complex_numIfES3_PS1_EviT6_lT7_lT5_lS6_lS7_lS5_lT8_i
		.amdhsa_group_segment_fixed_size 9600
		.amdhsa_private_segment_fixed_size 0
		.amdhsa_kernarg_size 376
		.amdhsa_user_sgpr_count 6
		.amdhsa_user_sgpr_private_segment_buffer 1
		.amdhsa_user_sgpr_dispatch_ptr 0
		.amdhsa_user_sgpr_queue_ptr 0
		.amdhsa_user_sgpr_kernarg_segment_ptr 1
		.amdhsa_user_sgpr_dispatch_id 0
		.amdhsa_user_sgpr_flat_scratch_init 0
		.amdhsa_user_sgpr_private_segment_size 0
		.amdhsa_uses_dynamic_stack 0
		.amdhsa_system_sgpr_private_segment_wavefront_offset 0
		.amdhsa_system_sgpr_workgroup_id_x 1
		.amdhsa_system_sgpr_workgroup_id_y 0
		.amdhsa_system_sgpr_workgroup_id_z 1
		.amdhsa_system_sgpr_workgroup_info 0
		.amdhsa_system_vgpr_workitem_id 1
		.amdhsa_next_free_vgpr 146
		.amdhsa_next_free_sgpr 93
		.amdhsa_reserve_vcc 1
		.amdhsa_reserve_flat_scratch 0
		.amdhsa_float_round_mode_32 0
		.amdhsa_float_round_mode_16_64 0
		.amdhsa_float_denorm_mode_32 3
		.amdhsa_float_denorm_mode_16_64 3
		.amdhsa_dx10_clamp 1
		.amdhsa_ieee_mode 1
		.amdhsa_fp16_overflow 0
		.amdhsa_exception_fp_ieee_invalid_op 0
		.amdhsa_exception_fp_denorm_src 0
		.amdhsa_exception_fp_ieee_div_zero 0
		.amdhsa_exception_fp_ieee_overflow 0
		.amdhsa_exception_fp_ieee_underflow 0
		.amdhsa_exception_fp_ieee_inexact 0
		.amdhsa_exception_int_div_zero 0
	.end_amdhsa_kernel
	.section	.text._ZL26rocblas_hemvn_kernel_upperILb0ELi64ELi4ELi33ELi32ELi16ElPK19rocblas_complex_numIfES3_PS1_EviT6_lT7_lT5_lS6_lS7_lS5_lT8_i,"axG",@progbits,_ZL26rocblas_hemvn_kernel_upperILb0ELi64ELi4ELi33ELi32ELi16ElPK19rocblas_complex_numIfES3_PS1_EviT6_lT7_lT5_lS6_lS7_lS5_lT8_i,comdat
.Lfunc_end114:
	.size	_ZL26rocblas_hemvn_kernel_upperILb0ELi64ELi4ELi33ELi32ELi16ElPK19rocblas_complex_numIfES3_PS1_EviT6_lT7_lT5_lS6_lS7_lS5_lT8_i, .Lfunc_end114-_ZL26rocblas_hemvn_kernel_upperILb0ELi64ELi4ELi33ELi32ELi16ElPK19rocblas_complex_numIfES3_PS1_EviT6_lT7_lT5_lS6_lS7_lS5_lT8_i
                                        ; -- End function
	.set _ZL26rocblas_hemvn_kernel_upperILb0ELi64ELi4ELi33ELi32ELi16ElPK19rocblas_complex_numIfES3_PS1_EviT6_lT7_lT5_lS6_lS7_lS5_lT8_i.num_vgpr, 146
	.set _ZL26rocblas_hemvn_kernel_upperILb0ELi64ELi4ELi33ELi32ELi16ElPK19rocblas_complex_numIfES3_PS1_EviT6_lT7_lT5_lS6_lS7_lS5_lT8_i.num_agpr, 0
	.set _ZL26rocblas_hemvn_kernel_upperILb0ELi64ELi4ELi33ELi32ELi16ElPK19rocblas_complex_numIfES3_PS1_EviT6_lT7_lT5_lS6_lS7_lS5_lT8_i.numbered_sgpr, 42
	.set _ZL26rocblas_hemvn_kernel_upperILb0ELi64ELi4ELi33ELi32ELi16ElPK19rocblas_complex_numIfES3_PS1_EviT6_lT7_lT5_lS6_lS7_lS5_lT8_i.num_named_barrier, 0
	.set _ZL26rocblas_hemvn_kernel_upperILb0ELi64ELi4ELi33ELi32ELi16ElPK19rocblas_complex_numIfES3_PS1_EviT6_lT7_lT5_lS6_lS7_lS5_lT8_i.private_seg_size, 0
	.set _ZL26rocblas_hemvn_kernel_upperILb0ELi64ELi4ELi33ELi32ELi16ElPK19rocblas_complex_numIfES3_PS1_EviT6_lT7_lT5_lS6_lS7_lS5_lT8_i.uses_vcc, 1
	.set _ZL26rocblas_hemvn_kernel_upperILb0ELi64ELi4ELi33ELi32ELi16ElPK19rocblas_complex_numIfES3_PS1_EviT6_lT7_lT5_lS6_lS7_lS5_lT8_i.uses_flat_scratch, 0
	.set _ZL26rocblas_hemvn_kernel_upperILb0ELi64ELi4ELi33ELi32ELi16ElPK19rocblas_complex_numIfES3_PS1_EviT6_lT7_lT5_lS6_lS7_lS5_lT8_i.has_dyn_sized_stack, 0
	.set _ZL26rocblas_hemvn_kernel_upperILb0ELi64ELi4ELi33ELi32ELi16ElPK19rocblas_complex_numIfES3_PS1_EviT6_lT7_lT5_lS6_lS7_lS5_lT8_i.has_recursion, 0
	.set _ZL26rocblas_hemvn_kernel_upperILb0ELi64ELi4ELi33ELi32ELi16ElPK19rocblas_complex_numIfES3_PS1_EviT6_lT7_lT5_lS6_lS7_lS5_lT8_i.has_indirect_call, 0
	.section	.AMDGPU.csdata,"",@progbits
; Kernel info:
; codeLenInByte = 8340
; TotalNumSgprs: 46
; NumVgprs: 146
; ScratchSize: 0
; MemoryBound: 1
; FloatMode: 240
; IeeeMode: 1
; LDSByteSize: 9600 bytes/workgroup (compile time only)
; SGPRBlocks: 12
; VGPRBlocks: 36
; NumSGPRsForWavesPerEU: 97
; NumVGPRsForWavesPerEU: 146
; Occupancy: 1
; WaveLimiterHint : 0
; COMPUTE_PGM_RSRC2:SCRATCH_EN: 0
; COMPUTE_PGM_RSRC2:USER_SGPR: 6
; COMPUTE_PGM_RSRC2:TRAP_HANDLER: 0
; COMPUTE_PGM_RSRC2:TGID_X_EN: 1
; COMPUTE_PGM_RSRC2:TGID_Y_EN: 0
; COMPUTE_PGM_RSRC2:TGID_Z_EN: 1
; COMPUTE_PGM_RSRC2:TIDIG_COMP_CNT: 1
	.section	.text._ZL26rocblas_hemvn_kernel_upperILb0ELi64ELi4ELi33ELi32ELi16EiPK19rocblas_complex_numIfES3_PS1_EviT6_lT7_lT5_lS6_lS7_lS5_lT8_i,"axG",@progbits,_ZL26rocblas_hemvn_kernel_upperILb0ELi64ELi4ELi33ELi32ELi16EiPK19rocblas_complex_numIfES3_PS1_EviT6_lT7_lT5_lS6_lS7_lS5_lT8_i,comdat
	.globl	_ZL26rocblas_hemvn_kernel_upperILb0ELi64ELi4ELi33ELi32ELi16EiPK19rocblas_complex_numIfES3_PS1_EviT6_lT7_lT5_lS6_lS7_lS5_lT8_i ; -- Begin function _ZL26rocblas_hemvn_kernel_upperILb0ELi64ELi4ELi33ELi32ELi16EiPK19rocblas_complex_numIfES3_PS1_EviT6_lT7_lT5_lS6_lS7_lS5_lT8_i
	.p2align	8
	.type	_ZL26rocblas_hemvn_kernel_upperILb0ELi64ELi4ELi33ELi32ELi16EiPK19rocblas_complex_numIfES3_PS1_EviT6_lT7_lT5_lS6_lS7_lS5_lT8_i,@function
_ZL26rocblas_hemvn_kernel_upperILb0ELi64ELi4ELi33ELi32ELi16EiPK19rocblas_complex_numIfES3_PS1_EviT6_lT7_lT5_lS6_lS7_lS5_lT8_i: ; @_ZL26rocblas_hemvn_kernel_upperILb0ELi64ELi4ELi33ELi32ELi16EiPK19rocblas_complex_numIfES3_PS1_EviT6_lT7_lT5_lS6_lS7_lS5_lT8_i
; %bb.0:
	s_load_dwordx2 s[2:3], s[4:5], 0x84
	s_add_u32 s0, s4, 0x78
	s_addc_u32 s1, s5, 0
	s_waitcnt lgkmcnt(0)
	s_lshr_b32 s8, s2, 16
	s_and_b32 s2, s2, 0xffff
	s_and_b32 s3, s3, 0xffff
	s_mul_i32 s2, s8, s2
	s_mul_i32 s2, s2, s3
	s_cmpk_lg_i32 s2, 0x100
	s_cbranch_scc1 .LBB115_156
; %bb.1:
	s_load_dwordx8 s[16:23], s[4:5], 0x8
	s_waitcnt lgkmcnt(0)
	s_mul_i32 s3, s19, s7
	s_mul_hi_u32 s8, s18, s7
	s_mul_i32 s2, s18, s7
	s_add_i32 s3, s8, s3
	s_lshl_b64 s[2:3], s[2:3], 3
	s_add_u32 s2, s16, s2
	s_addc_u32 s3, s17, s3
	s_load_dwordx2 s[8:9], s[2:3], 0x0
	s_load_dwordx8 s[12:19], s[4:5], 0x50
	s_waitcnt lgkmcnt(0)
	s_or_b32 s2, s8, s9
	s_bitset0_b32 s2, 31
	s_cmp_lg_u32 s2, 0
	s_cselect_b64 s[2:3], -1, 0
	s_mov_b64 s[8:9], -1
	s_and_b64 vcc, exec, s[2:3]
	s_cbranch_vccnz .LBB115_3
; %bb.2:
	s_mul_i32 s8, s17, s7
	s_mul_hi_u32 s9, s16, s7
	s_add_i32 s9, s9, s8
	s_mul_i32 s8, s16, s7
	s_lshl_b64 s[8:9], s[8:9], 3
	s_add_u32 s8, s14, s8
	s_addc_u32 s9, s15, s9
	s_load_dwordx2 s[10:11], s[8:9], 0x0
	s_waitcnt lgkmcnt(0)
	v_cmp_neq_f32_e64 s[8:9], s10, 1.0
	v_cmp_neq_f32_e64 s[10:11], s11, 0
	s_or_b64 s[8:9], s[8:9], s[10:11]
.LBB115_3:
	s_andn2_b64 vcc, exec, s[8:9]
	s_cbranch_vccnz .LBB115_156
; %bb.4:
	s_andn2_b64 vcc, exec, s[2:3]
	s_cbranch_vccnz .LBB115_156
; %bb.5:
	s_load_dword s33, s[0:1], 0x0
	s_load_dword s40, s[4:5], 0x0
	s_load_dwordx4 s[8:11], s[4:5], 0x30
	s_load_dwordx2 s[2:3], s[4:5], 0x40
	s_load_dword s39, s[4:5], 0x48
	s_mul_i32 s0, s13, s7
	s_mul_hi_u32 s1, s12, s7
	s_add_i32 s1, s1, s0
	s_mul_i32 s0, s12, s7
	s_lshl_b64 s[0:1], s[0:1], 3
	s_waitcnt lgkmcnt(0)
	s_add_u32 s10, s10, s0
	s_addc_u32 s11, s11, s1
	s_lshl_b64 s[0:1], s[2:3], 3
	s_add_u32 s0, s10, s0
	s_addc_u32 s1, s11, s1
	s_lshl_b32 s24, s6, 6
	v_add_u32_e32 v50, s24, v0
	v_mul_lo_u32 v2, s39, v50
	s_ashr_i32 s41, s40, 31
	s_lshr_b32 s3, s41, 26
	s_add_i32 s3, s40, s3
	v_ashrrev_i32_e32 v3, 31, v2
	s_andn2_b32 s3, s3, 63
	v_lshlrev_b64 v[2:3], 3, v[2:3]
	s_add_i32 s2, s33, -1
	s_sub_i32 s38, s40, s3
	s_cmp_eq_u32 s6, s2
	v_mov_b32_e32 v4, s1
	v_add_co_u32_e32 v16, vcc, s0, v2
	s_cselect_b32 s16, s38, 0
	v_addc_co_u32_e32 v17, vcc, v4, v3, vcc
	v_cmp_eq_u32_e64 s[0:1], 0, v1
	s_and_saveexec_b64 s[2:3], s[0:1]
	s_cbranch_execz .LBB115_10
; %bb.6:
	s_cmp_lg_u32 s16, 0
	s_cselect_b64 s[10:11], -1, 0
	v_cmp_le_i32_e32 vcc, s16, v0
	v_mov_b32_e32 v2, 0x2380
	s_and_b64 s[10:11], s[10:11], vcc
	v_lshl_add_u32 v2, v0, 3, v2
	s_and_saveexec_b64 s[12:13], s[10:11]
	s_xor_b64 s[10:11], exec, s[12:13]
; %bb.7:
	v_mov_b32_e32 v3, 0
	v_mov_b32_e32 v4, v3
	ds_write_b64 v2, v[3:4]
                                        ; implicit-def: $vgpr2
; %bb.8:
	s_andn2_saveexec_b64 s[10:11], s[10:11]
	s_cbranch_execz .LBB115_10
; %bb.9:
	global_load_dwordx2 v[3:4], v[16:17], off
	s_waitcnt vmcnt(0)
	ds_write_b64 v2, v[3:4]
.LBB115_10:
	s_or_b64 exec, exec, s[2:3]
	s_mul_i32 s2, s9, s7
	s_mul_hi_u32 s3, s8, s7
	s_add_i32 s3, s3, s2
	s_mul_i32 s2, s8, s7
	s_lshl_b64 s[2:3], s[2:3], 3
	s_add_u32 s8, s20, s2
	s_addc_u32 s9, s21, s3
	s_lshl_b64 s[2:3], s[22:23], 3
	s_load_dword s22, s[4:5], 0x28
	v_lshl_add_u32 v24, v1, 6, v0
	v_and_b32_e32 v2, 31, v0
	v_lshrrev_b32_e32 v9, 5, v24
	s_add_u32 s4, s8, s2
	s_addc_u32 s5, s9, s3
	s_waitcnt lgkmcnt(0)
	v_mad_u64_u32 v[3:4], s[2:3], s22, v9, v[2:3]
	s_ashr_i32 s25, s24, 31
	s_lshl_b64 s[2:3], s[24:25], 3
	v_ashrrev_i32_e32 v4, 31, v3
	v_lshlrev_b64 v[14:15], 3, v[3:4]
	s_add_u32 s2, s4, s2
	s_addc_u32 s3, s5, s3
	v_add_co_u32_e32 v4, vcc, s2, v14
	s_mul_i32 s2, s22, s24
	v_mov_b32_e32 v3, s3
	s_ashr_i32 s3, s2, 31
	s_lshl_b64 s[2:3], s[2:3], 3
	v_addc_co_u32_e32 v5, vcc, v3, v15, vcc
	s_cmp_eq_u32 s16, 0
	v_mov_b32_e32 v6, s3
	v_add_co_u32_e32 v3, vcc, s2, v4
	s_cselect_b64 s[20:21], -1, 0
	s_cmp_lg_u32 s16, 0
	v_addc_co_u32_e32 v4, vcc, v5, v6, vcc
	s_cselect_b64 s[30:31], -1, 0
	s_and_b64 vcc, exec, s[30:31]
	v_cmp_gt_i32_e64 s[2:3], s16, v2
	v_lshlrev_b32_e32 v10, 3, v2
	s_cbranch_vccz .LBB115_28
; %bb.11:
	v_sub_co_u32_e32 v5, vcc, v3, v10
	s_ashr_i32 s17, s16, 31
	v_subbrev_co_u32_e32 v6, vcc, 0, v4, vcc
	s_lshl_b64 s[4:5], s[16:17], 3
	v_mov_b32_e32 v7, s5
	v_add_co_u32_e32 v5, vcc, s4, v5
	v_addc_co_u32_e32 v6, vcc, v6, v7, vcc
	v_add_co_u32_e32 v5, vcc, -8, v5
	v_addc_co_u32_e32 v6, vcc, -1, v6, vcc
	v_mul_u32_u24_e32 v7, 0x108, v9
	v_cndmask_b32_e64 v6, v6, v4, s[2:3]
	v_cndmask_b32_e64 v5, v5, v3, s[2:3]
	v_cmp_le_i32_e32 vcc, s16, v9
	v_add_u32_e32 v7, v10, v7
	s_and_saveexec_b64 s[8:9], vcc
	s_xor_b64 s[8:9], exec, s[8:9]
; %bb.12:
	v_mov_b32_e32 v11, 0
	v_mov_b32_e32 v12, v11
	ds_write_b64 v7, v[11:12]
; %bb.13:
	s_andn2_saveexec_b64 s[8:9], s[8:9]
	s_cbranch_execz .LBB115_15
; %bb.14:
	global_load_dwordx2 v[11:12], v[5:6], off
	s_waitcnt vmcnt(0)
	ds_write_b64 v7, v[11:12]
.LBB115_15:
	s_or_b64 exec, exec, s[8:9]
	v_add_u32_e32 v8, 8, v9
	v_cmp_le_i32_e32 vcc, s16, v8
	s_and_saveexec_b64 s[8:9], vcc
	s_xor_b64 s[8:9], exec, s[8:9]
; %bb.16:
	v_mov_b32_e32 v11, 0
	v_mov_b32_e32 v12, v11
	ds_write_b64 v7, v[11:12] offset:2112
; %bb.17:
	s_andn2_saveexec_b64 s[8:9], s[8:9]
	s_cbranch_execz .LBB115_19
; %bb.18:
	s_lshl_b32 s10, s22, 3
	s_ashr_i32 s11, s10, 31
	s_lshl_b64 s[10:11], s[10:11], 3
	v_mov_b32_e32 v8, s11
	v_add_co_u32_e32 v11, vcc, s10, v5
	v_addc_co_u32_e32 v12, vcc, v6, v8, vcc
	global_load_dwordx2 v[11:12], v[11:12], off
	s_waitcnt vmcnt(0)
	ds_write_b64 v7, v[11:12] offset:2112
.LBB115_19:
	s_or_b64 exec, exec, s[8:9]
	v_add_u32_e32 v8, 16, v9
	v_cmp_le_i32_e32 vcc, s16, v8
	s_and_saveexec_b64 s[8:9], vcc
	s_xor_b64 s[8:9], exec, s[8:9]
; %bb.20:
	v_mov_b32_e32 v11, 0
	v_mov_b32_e32 v12, v11
	ds_write_b64 v7, v[11:12] offset:4224
; %bb.21:
	s_andn2_saveexec_b64 s[8:9], s[8:9]
	s_cbranch_execz .LBB115_23
; %bb.22:
	s_lshl_b32 s10, s22, 4
	s_ashr_i32 s11, s10, 31
	s_lshl_b64 s[10:11], s[10:11], 3
	v_mov_b32_e32 v8, s11
	v_add_co_u32_e32 v11, vcc, s10, v5
	v_addc_co_u32_e32 v12, vcc, v6, v8, vcc
	global_load_dwordx2 v[11:12], v[11:12], off
	s_waitcnt vmcnt(0)
	ds_write_b64 v7, v[11:12] offset:4224
.LBB115_23:
	s_or_b64 exec, exec, s[8:9]
	v_add_u32_e32 v8, 24, v9
	v_cmp_le_i32_e32 vcc, s16, v8
	s_and_saveexec_b64 s[8:9], vcc
	s_xor_b64 s[8:9], exec, s[8:9]
; %bb.24:
	v_mov_b32_e32 v11, 0
	v_mov_b32_e32 v12, v11
	ds_write_b64 v7, v[11:12] offset:6336
                                        ; implicit-def: $vgpr7
; %bb.25:
	s_andn2_saveexec_b64 s[8:9], s[8:9]
	s_cbranch_execz .LBB115_27
; %bb.26:
	s_mul_i32 s10, s22, 24
	s_ashr_i32 s11, s10, 31
	s_lshl_b64 s[10:11], s[10:11], 3
	v_mov_b32_e32 v8, s11
	v_add_co_u32_e32 v11, vcc, s10, v5
	v_addc_co_u32_e32 v12, vcc, v6, v8, vcc
	global_load_dwordx2 v[11:12], v[11:12], off
	s_waitcnt vmcnt(0)
	ds_write_b64 v7, v[11:12] offset:6336
.LBB115_27:
	s_or_b64 exec, exec, s[8:9]
	v_add_co_u32_e32 v5, vcc, v5, v10
	v_addc_co_u32_e32 v6, vcc, 0, v6, vcc
	v_mov_b32_e32 v7, s5
	v_subrev_co_u32_e32 v5, vcc, s4, v5
	v_subb_co_u32_e32 v6, vcc, v6, v7, vcc
	v_add_co_u32_e32 v5, vcc, 8, v5
	v_addc_co_u32_e32 v6, vcc, 0, v6, vcc
	v_cndmask_b32_e64 v6, v6, v4, s[2:3]
	v_cndmask_b32_e64 v5, v5, v3, s[2:3]
	s_branch .LBB115_30
.LBB115_28:
                                        ; implicit-def: $vgpr5_vgpr6
	s_cbranch_execz .LBB115_30
; %bb.29:
	s_lshl_b32 s2, s22, 3
	s_ashr_i32 s3, s2, 31
	s_lshl_b64 s[2:3], s[2:3], 3
	v_mov_b32_e32 v6, s3
	v_add_co_u32_e32 v5, vcc, s2, v3
	s_ashr_i32 s23, s22, 31
	v_addc_co_u32_e32 v6, vcc, v4, v6, vcc
	s_lshl_b64 s[2:3], s[22:23], 6
	v_mov_b32_e32 v12, s3
	v_add_co_u32_e32 v7, vcc, s2, v5
	v_addc_co_u32_e32 v8, vcc, v6, v12, vcc
	v_add_co_u32_e32 v11, vcc, s2, v7
	v_addc_co_u32_e32 v12, vcc, v8, v12, vcc
	global_load_dwordx2 v[18:19], v[3:4], off
	global_load_dwordx2 v[20:21], v[5:6], off
	;; [unrolled: 1-line block ×4, first 2 shown]
	v_mul_u32_u24_e32 v5, 0x108, v9
	v_lshl_add_u32 v5, v2, 3, v5
	s_waitcnt vmcnt(3)
	ds_write_b64 v5, v[18:19]
	s_waitcnt vmcnt(2)
	ds_write_b64 v5, v[20:21] offset:2112
	s_waitcnt vmcnt(1)
	ds_write_b64 v5, v[22:23] offset:4224
	;; [unrolled: 2-line block ×3, first 2 shown]
	v_mov_b32_e32 v6, v4
	v_mov_b32_e32 v5, v3
.LBB115_30:
	v_lshlrev_b32_e32 v13, 2, v9
	v_lshl_or_b32 v3, v2, 8, v10
	v_cmp_gt_u32_e64 s[4:5], v13, v2
	v_lshl_add_u32 v3, v13, 3, v3
	s_waitcnt lgkmcnt(0)
	s_barrier
	s_and_saveexec_b64 s[2:3], s[4:5]
	s_cbranch_execz .LBB115_32
; %bb.31:
	s_movk_i32 s8, 0x420
	v_mad_u32_u24 v4, v9, s8, v10
	ds_read_b64 v[7:8], v4
	s_waitcnt lgkmcnt(0)
	ds_write_b64 v3, v[7:8]
.LBB115_32:
	s_or_b64 exec, exec, s[2:3]
	v_or_b32_e32 v12, 1, v13
	v_cmp_ge_u32_e64 s[14:15], v13, v2
	s_and_saveexec_b64 s[2:3], s[14:15]
	s_cbranch_execz .LBB115_34
; %bb.33:
	s_movk_i32 s8, 0x108
	v_mad_u32_u24 v4, v12, s8, v10
	ds_read_b64 v[7:8], v4
	s_waitcnt lgkmcnt(0)
	ds_write_b64 v3, v[7:8] offset:8
.LBB115_34:
	s_or_b64 exec, exec, s[2:3]
	v_or_b32_e32 v4, 2, v13
	v_cmp_gt_u32_e64 s[8:9], v4, v2
	s_and_saveexec_b64 s[2:3], s[8:9]
	s_cbranch_execz .LBB115_36
; %bb.35:
	s_movk_i32 s10, 0x108
	v_mad_u32_u24 v4, v4, s10, v10
	ds_read_b64 v[7:8], v4
	s_waitcnt lgkmcnt(0)
	ds_write_b64 v3, v[7:8] offset:16
.LBB115_36:
	s_or_b64 exec, exec, s[2:3]
	v_or_b32_e32 v7, 3, v13
	v_cmp_gt_u32_e64 s[10:11], v7, v2
	v_cmp_le_u32_e32 vcc, v7, v2
                                        ; implicit-def: $vgpr4
	s_and_saveexec_b64 s[2:3], vcc
	s_xor_b64 s[2:3], exec, s[2:3]
; %bb.37:
	v_mul_u32_u24_e32 v4, 0x108, v7
                                        ; implicit-def: $vgpr7
                                        ; implicit-def: $vgpr3
; %bb.38:
	s_andn2_saveexec_b64 s[2:3], s[2:3]
	s_cbranch_execz .LBB115_40
; %bb.39:
	s_movk_i32 s12, 0x108
	v_mad_u32_u24 v4, v7, s12, v10
	ds_read_b64 v[18:19], v4
	v_mul_u32_u24_e32 v4, 0x108, v7
	s_waitcnt lgkmcnt(0)
	ds_write_b64 v3, v[18:19] offset:24
.LBB115_40:
	s_or_b64 exec, exec, s[2:3]
	s_movk_i32 s2, 0x420
	v_mad_u32_u24 v3, v9, s2, v10
	s_movk_i32 s2, 0x108
	v_mad_u32_u24 v11, v12, s2, v10
	s_waitcnt lgkmcnt(0)
	s_barrier
	v_lshlrev_b32_e32 v18, 3, v13
	ds_read_b64 v[7:8], v3
	ds_read_b128 v[19:22], v18 offset:9088
	ds_read_b128 v[25:28], v18 offset:9104
	ds_read2_b64 v[29:32], v11 offset1:33
	v_mov_b32_e32 v51, 0
	v_cmp_gt_u32_e64 s[2:3], 32, v24
	s_waitcnt lgkmcnt(2)
	v_mul_f32_e32 v3, v20, v8
	v_mul_f32_e32 v8, v19, v8
	v_fmac_f32_e32 v8, v20, v7
	s_waitcnt lgkmcnt(0)
	v_mul_f32_e32 v11, v21, v30
	v_fma_f32 v3, v19, v7, -v3
	v_add_f32_e32 v7, 0, v8
	v_mul_f32_e32 v8, v22, v30
	v_fmac_f32_e32 v11, v22, v29
	v_add_f32_e32 v3, 0, v3
	v_fma_f32 v8, v21, v29, -v8
	v_add_f32_e32 v7, v7, v11
	v_add_u32_e32 v11, v10, v4
	v_add_f32_e32 v8, v3, v8
	ds_read_b64 v[3:4], v11
	v_mul_f32_e32 v19, v26, v32
	v_fma_f32 v19, v25, v31, -v19
	v_mul_f32_e32 v20, v25, v32
	v_fmac_f32_e32 v20, v26, v31
	v_add_f32_e32 v8, v8, v19
	s_waitcnt lgkmcnt(0)
	v_mul_f32_e32 v19, v28, v4
	v_mul_f32_e32 v4, v27, v4
	v_add_f32_e32 v7, v7, v20
	v_fmac_f32_e32 v4, v28, v3
	v_add_f32_e32 v4, v7, v4
	v_mul_u32_u24_e32 v7, 33, v2
	v_fma_f32 v19, v27, v3, -v19
	v_lshlrev_b32_e32 v25, 3, v7
	v_add_f32_e32 v3, v8, v19
	v_lshl_add_u32 v26, v9, 3, v25
	v_mov_b32_e32 v52, 0
	s_barrier
	ds_write_b64 v26, v[3:4]
	s_waitcnt lgkmcnt(0)
	s_barrier
	s_and_saveexec_b64 s[12:13], s[2:3]
	s_cbranch_execz .LBB115_42
; %bb.41:
	ds_read2_b64 v[19:22], v25 offset1:7
	ds_read2_b64 v[27:30], v25 offset0:1 offset1:2
	ds_read2_b64 v[31:34], v25 offset0:3 offset1:4
	s_waitcnt lgkmcnt(1)
	v_add_f32_e32 v3, v27, v19
	v_add_f32_e32 v4, v28, v20
	;; [unrolled: 1-line block ×4, first 2 shown]
	ds_read2_b64 v[27:30], v25 offset0:5 offset1:6
	s_waitcnt lgkmcnt(1)
	v_add_f32_e32 v3, v3, v31
	v_add_f32_e32 v4, v4, v32
	;; [unrolled: 1-line block ×4, first 2 shown]
	s_waitcnt lgkmcnt(0)
	v_add_f32_e32 v3, v3, v27
	v_add_f32_e32 v4, v4, v28
	;; [unrolled: 1-line block ×6, first 2 shown]
.LBB115_42:
	s_or_b64 exec, exec, s[12:13]
	s_lshl_b32 s26, s22, 5
	s_ashr_i32 s27, s26, 31
	s_lshl_b64 s[28:29], s[26:27], 3
	v_mov_b32_e32 v3, s29
	v_add_co_u32_e32 v7, vcc, s28, v5
	v_addc_co_u32_e32 v8, vcc, v6, v3, vcc
	v_add_co_u32_e32 v5, vcc, 0x100, v7
	v_addc_co_u32_e32 v6, vcc, 0, v8, vcc
	s_and_b64 vcc, exec, s[30:31]
	s_barrier
	s_cbranch_vccz .LBB115_60
; %bb.43:
	v_sub_co_u32_e32 v4, vcc, v7, v10
	s_ashr_i32 s17, s16, 31
	v_subbrev_co_u32_e32 v19, vcc, 0, v8, vcc
	s_lshl_b64 s[34:35], s[16:17], 3
	v_mov_b32_e32 v20, s35
	v_add_co_u32_e32 v4, vcc, s34, v4
	v_addc_co_u32_e32 v19, vcc, v19, v20, vcc
	v_or_b32_e32 v3, 32, v2
	v_add_co_u32_e32 v20, vcc, -8, v4
	v_addc_co_u32_e32 v4, vcc, -1, v19, vcc
	v_cmp_gt_i32_e64 s[12:13], s16, v3
	s_sub_i32 s17, s16, 32
	v_mul_u32_u24_e32 v19, 0x108, v9
	v_cndmask_b32_e64 v4, v4, v6, s[12:13]
	v_cndmask_b32_e64 v3, v20, v5, s[12:13]
	v_cmp_le_i32_e32 vcc, s17, v9
	v_add_u32_e32 v19, v10, v19
	s_and_saveexec_b64 s[36:37], vcc
	s_xor_b64 s[36:37], exec, s[36:37]
; %bb.44:
	v_mov_b32_e32 v20, 0
	v_mov_b32_e32 v21, v20
	ds_write_b64 v19, v[20:21]
; %bb.45:
	s_andn2_saveexec_b64 s[36:37], s[36:37]
	s_cbranch_execz .LBB115_47
; %bb.46:
	global_load_dwordx2 v[20:21], v[3:4], off
	s_waitcnt vmcnt(0)
	ds_write_b64 v19, v[20:21]
.LBB115_47:
	s_or_b64 exec, exec, s[36:37]
	v_add_u32_e32 v20, 8, v9
	v_cmp_le_i32_e32 vcc, s17, v20
	s_and_saveexec_b64 s[36:37], vcc
	s_xor_b64 s[36:37], exec, s[36:37]
; %bb.48:
	v_mov_b32_e32 v20, 0
	v_mov_b32_e32 v21, v20
	ds_write_b64 v19, v[20:21] offset:2112
; %bb.49:
	s_andn2_saveexec_b64 s[36:37], s[36:37]
	s_cbranch_execz .LBB115_51
; %bb.50:
	s_lshl_b32 s42, s22, 3
	s_ashr_i32 s43, s42, 31
	s_lshl_b64 s[42:43], s[42:43], 3
	v_mov_b32_e32 v21, s43
	v_add_co_u32_e32 v20, vcc, s42, v3
	v_addc_co_u32_e32 v21, vcc, v4, v21, vcc
	global_load_dwordx2 v[20:21], v[20:21], off
	s_waitcnt vmcnt(0)
	ds_write_b64 v19, v[20:21] offset:2112
.LBB115_51:
	s_or_b64 exec, exec, s[36:37]
	v_add_u32_e32 v20, 16, v9
	v_cmp_le_i32_e32 vcc, s17, v20
	s_and_saveexec_b64 s[36:37], vcc
	s_xor_b64 s[36:37], exec, s[36:37]
; %bb.52:
	v_mov_b32_e32 v20, 0
	v_mov_b32_e32 v21, v20
	ds_write_b64 v19, v[20:21] offset:4224
; %bb.53:
	s_andn2_saveexec_b64 s[36:37], s[36:37]
	s_cbranch_execz .LBB115_55
; %bb.54:
	s_lshl_b32 s42, s22, 4
	s_ashr_i32 s43, s42, 31
	s_lshl_b64 s[42:43], s[42:43], 3
	v_mov_b32_e32 v21, s43
	v_add_co_u32_e32 v20, vcc, s42, v3
	v_addc_co_u32_e32 v21, vcc, v4, v21, vcc
	global_load_dwordx2 v[20:21], v[20:21], off
	s_waitcnt vmcnt(0)
	ds_write_b64 v19, v[20:21] offset:4224
.LBB115_55:
	s_or_b64 exec, exec, s[36:37]
	v_add_u32_e32 v20, 24, v9
	v_cmp_le_i32_e32 vcc, s17, v20
	s_and_saveexec_b64 s[36:37], vcc
	s_xor_b64 s[36:37], exec, s[36:37]
; %bb.56:
	v_mov_b32_e32 v20, 0
	v_mov_b32_e32 v21, v20
	ds_write_b64 v19, v[20:21] offset:6336
                                        ; implicit-def: $vgpr19
; %bb.57:
	s_andn2_saveexec_b64 s[36:37], s[36:37]
	s_cbranch_execz .LBB115_59
; %bb.58:
	s_mul_i32 s42, s22, 24
	s_ashr_i32 s43, s42, 31
	s_lshl_b64 s[42:43], s[42:43], 3
	v_mov_b32_e32 v21, s43
	v_add_co_u32_e32 v20, vcc, s42, v3
	v_addc_co_u32_e32 v21, vcc, v4, v21, vcc
	global_load_dwordx2 v[20:21], v[20:21], off
	s_waitcnt vmcnt(0)
	ds_write_b64 v19, v[20:21] offset:6336
.LBB115_59:
	s_or_b64 exec, exec, s[36:37]
	v_add_co_u32_e32 v3, vcc, v3, v10
	v_addc_co_u32_e32 v4, vcc, 0, v4, vcc
	v_mov_b32_e32 v19, s35
	v_subrev_co_u32_e32 v3, vcc, s34, v3
	v_subb_co_u32_e32 v4, vcc, v4, v19, vcc
	v_add_co_u32_e32 v3, vcc, 0x108, v3
	v_addc_co_u32_e32 v4, vcc, 0, v4, vcc
	v_cndmask_b32_e64 v4, v4, v6, s[12:13]
	v_cndmask_b32_e64 v3, v3, v5, s[12:13]
	v_mul_u32_u24_e32 v19, 0x420, v9
	s_branch .LBB115_62
.LBB115_60:
                                        ; implicit-def: $vgpr3_vgpr4
	v_mul_u32_u24_e32 v19, 0x420, v9
	s_cbranch_execz .LBB115_62
; %bb.61:
	s_lshl_b32 s12, s22, 3
	s_ashr_i32 s13, s12, 31
	s_lshl_b64 s[12:13], s[12:13], 3
	v_mov_b32_e32 v4, s13
	v_add_co_u32_e32 v3, vcc, s12, v7
	s_ashr_i32 s23, s22, 31
	v_addc_co_u32_e32 v4, vcc, v8, v4, vcc
	s_lshl_b64 s[12:13], s[22:23], 6
	v_mov_b32_e32 v23, s13
	v_add_co_u32_e32 v20, vcc, s12, v3
	v_addc_co_u32_e32 v21, vcc, v4, v23, vcc
	v_add_co_u32_e32 v22, vcc, s12, v20
	v_addc_co_u32_e32 v23, vcc, v21, v23, vcc
	global_load_dwordx2 v[27:28], v[7:8], off offset:256
	global_load_dwordx2 v[29:30], v[3:4], off offset:256
	;; [unrolled: 1-line block ×4, first 2 shown]
	s_movk_i32 s12, 0x108
	v_mad_u32_u24 v3, v9, s12, v10
	s_waitcnt vmcnt(3)
	ds_write_b64 v3, v[27:28]
	s_waitcnt vmcnt(2)
	ds_write_b64 v3, v[29:30] offset:2112
	s_waitcnt vmcnt(1)
	ds_write_b64 v3, v[31:32] offset:4224
	;; [unrolled: 2-line block ×3, first 2 shown]
	v_mov_b32_e32 v3, v5
	v_mov_b32_e32 v4, v6
.LBB115_62:
	v_mul_u32_u24_e32 v6, 0x108, v12
	v_add_u32_e32 v12, v10, v19
	v_lshl_add_u32 v5, v13, 3, v25
	s_waitcnt lgkmcnt(0)
	s_barrier
	s_and_saveexec_b64 s[12:13], s[4:5]
	s_cbranch_execnz .LBB115_87
; %bb.63:
	s_or_b64 exec, exec, s[12:13]
	v_add_u32_e32 v27, v10, v6
	s_and_saveexec_b64 s[4:5], s[14:15]
	s_cbranch_execnz .LBB115_88
.LBB115_64:
	s_or_b64 exec, exec, s[4:5]
	s_and_saveexec_b64 s[4:5], s[8:9]
	s_cbranch_execnz .LBB115_89
.LBB115_65:
	s_or_b64 exec, exec, s[4:5]
	v_add_u32_e32 v28, 0x2380, v18
	s_and_saveexec_b64 s[4:5], s[10:11]
	s_cbranch_execz .LBB115_67
.LBB115_66:
	ds_read_b64 v[6:7], v11
	s_waitcnt lgkmcnt(0)
	ds_write_b64 v5, v[6:7] offset:24
.LBB115_67:
	s_or_b64 exec, exec, s[4:5]
	s_waitcnt lgkmcnt(0)
	s_barrier
	ds_read_b64 v[22:23], v12
	ds_read_b128 v[5:8], v28 offset:256
	ds_read_b128 v[18:21], v28 offset:272
	ds_read_b64 v[33:34], v11
	ds_read2_b64 v[29:32], v27 offset1:33
	v_cmp_eq_u32_e64 s[4:5], 1, v9
	s_waitcnt lgkmcnt(3)
	v_mul_f32_e32 v13, v6, v23
	v_fma_f32 v13, v5, v22, -v13
	v_mul_f32_e32 v5, v5, v23
	v_fmac_f32_e32 v5, v6, v22
	v_add_f32_e32 v6, 0, v13
	s_waitcnt lgkmcnt(0)
	v_mul_f32_e32 v13, v8, v30
	v_fma_f32 v13, v7, v29, -v13
	v_mul_f32_e32 v7, v7, v30
	v_add_f32_e32 v5, 0, v5
	v_fmac_f32_e32 v7, v8, v29
	v_add_f32_e32 v5, v5, v7
	v_mul_f32_e32 v7, v19, v32
	v_mul_f32_e32 v8, v18, v32
	v_add_f32_e32 v6, v6, v13
	v_fma_f32 v7, v18, v31, -v7
	v_fmac_f32_e32 v8, v19, v31
	v_add_f32_e32 v6, v6, v7
	v_add_f32_e32 v7, v5, v8
	v_mul_f32_e32 v5, v21, v34
	v_mul_f32_e32 v8, v20, v34
	v_fma_f32 v5, v20, v33, -v5
	v_fmac_f32_e32 v8, v21, v33
	v_add_f32_e32 v5, v6, v5
	v_add_f32_e32 v6, v7, v8
	s_barrier
	ds_write_b64 v26, v[5:6]
	s_waitcnt lgkmcnt(0)
	s_barrier
	s_and_saveexec_b64 s[8:9], s[4:5]
	s_cbranch_execz .LBB115_69
; %bb.68:
	ds_read2_b64 v[5:8], v25 offset1:7
	ds_read2_b64 v[18:21], v25 offset0:1 offset1:2
	ds_read2_b64 v[29:32], v25 offset0:3 offset1:4
	s_waitcnt lgkmcnt(1)
	v_add_f32_e32 v5, v18, v5
	v_add_f32_e32 v6, v19, v6
	;; [unrolled: 1-line block ×4, first 2 shown]
	ds_read2_b64 v[18:21], v25 offset0:5 offset1:6
	s_waitcnt lgkmcnt(1)
	v_add_f32_e32 v5, v5, v29
	v_add_f32_e32 v6, v6, v30
	;; [unrolled: 1-line block ×4, first 2 shown]
	s_waitcnt lgkmcnt(0)
	v_add_f32_e32 v5, v5, v18
	v_add_f32_e32 v6, v6, v19
	;; [unrolled: 1-line block ×6, first 2 shown]
.LBB115_69:
	s_or_b64 exec, exec, s[8:9]
	v_add_co_u32_e32 v5, vcc, 0xffffff00, v3
	v_addc_co_u32_e32 v6, vcc, -1, v4, vcc
	s_and_b64 vcc, exec, s[30:31]
	s_barrier
	s_cbranch_vccz .LBB115_90
; %bb.70:
	v_sub_co_u32_e32 v7, vcc, v3, v10
	s_ashr_i32 s17, s16, 31
	v_subbrev_co_u32_e32 v8, vcc, 0, v4, vcc
	s_lshl_b64 s[10:11], s[16:17], 3
	v_mov_b32_e32 v13, s11
	v_add_co_u32_e32 v7, vcc, s10, v7
	v_addc_co_u32_e32 v8, vcc, v8, v13, vcc
	v_add_co_u32_e32 v7, vcc, 0xfffffef8, v7
	v_addc_co_u32_e32 v8, vcc, -1, v8, vcc
	v_cmp_gt_i32_e32 vcc, s16, v2
	s_sub_i32 s14, s16, 32
	v_mul_u32_u24_e32 v2, 0x108, v9
	v_cndmask_b32_e32 v8, v8, v6, vcc
	v_cndmask_b32_e32 v7, v7, v5, vcc
	v_cmp_le_i32_e64 s[8:9], s14, v9
	v_add_u32_e32 v18, v10, v2
	s_and_saveexec_b64 s[12:13], s[8:9]
	s_xor_b64 s[8:9], exec, s[12:13]
; %bb.71:
	v_mov_b32_e32 v19, 0
	v_mov_b32_e32 v20, v19
	ds_write_b64 v18, v[19:20]
; %bb.72:
	s_andn2_saveexec_b64 s[8:9], s[8:9]
	s_cbranch_execz .LBB115_74
; %bb.73:
	global_load_dwordx2 v[19:20], v[7:8], off
	s_waitcnt vmcnt(0)
	ds_write_b64 v18, v[19:20]
.LBB115_74:
	s_or_b64 exec, exec, s[8:9]
	v_add_u32_e32 v2, 8, v9
	v_cmp_le_i32_e64 s[8:9], s14, v2
	s_and_saveexec_b64 s[12:13], s[8:9]
	s_xor_b64 s[8:9], exec, s[12:13]
; %bb.75:
	v_mov_b32_e32 v19, 0
	v_mov_b32_e32 v20, v19
	ds_write_b64 v18, v[19:20] offset:2112
; %bb.76:
	s_andn2_saveexec_b64 s[12:13], s[8:9]
	s_cbranch_execz .LBB115_78
; %bb.77:
	s_lshl_b32 s8, s22, 3
	s_ashr_i32 s9, s8, 31
	s_lshl_b64 s[8:9], s[8:9], 3
	v_mov_b32_e32 v13, s9
	v_add_co_u32_e64 v19, s[8:9], s8, v7
	v_addc_co_u32_e64 v20, s[8:9], v8, v13, s[8:9]
	global_load_dwordx2 v[19:20], v[19:20], off
	s_waitcnt vmcnt(0)
	ds_write_b64 v18, v[19:20] offset:2112
.LBB115_78:
	s_or_b64 exec, exec, s[12:13]
	v_add_u32_e32 v13, 16, v9
	v_cmp_le_i32_e64 s[8:9], s14, v13
	s_and_saveexec_b64 s[12:13], s[8:9]
	s_xor_b64 s[8:9], exec, s[12:13]
; %bb.79:
	v_mov_b32_e32 v19, 0
	v_mov_b32_e32 v20, v19
	ds_write_b64 v18, v[19:20] offset:4224
; %bb.80:
	s_andn2_saveexec_b64 s[12:13], s[8:9]
	s_cbranch_execz .LBB115_82
; %bb.81:
	s_lshl_b32 s8, s22, 4
	s_ashr_i32 s9, s8, 31
	s_lshl_b64 s[8:9], s[8:9], 3
	v_mov_b32_e32 v20, s9
	v_add_co_u32_e64 v19, s[8:9], s8, v7
	v_addc_co_u32_e64 v20, s[8:9], v8, v20, s[8:9]
	global_load_dwordx2 v[19:20], v[19:20], off
	s_waitcnt vmcnt(0)
	ds_write_b64 v18, v[19:20] offset:4224
.LBB115_82:
	s_or_b64 exec, exec, s[12:13]
	v_add_u32_e32 v22, 24, v9
	v_cmp_le_i32_e64 s[8:9], s14, v22
	s_and_saveexec_b64 s[12:13], s[8:9]
	s_xor_b64 s[8:9], exec, s[12:13]
; %bb.83:
	v_mov_b32_e32 v19, 0
	v_mov_b32_e32 v20, v19
	ds_write_b64 v18, v[19:20] offset:6336
                                        ; implicit-def: $vgpr18
; %bb.84:
	s_andn2_saveexec_b64 s[12:13], s[8:9]
	s_cbranch_execz .LBB115_86
; %bb.85:
	s_mul_i32 s8, s22, 24
	s_ashr_i32 s9, s8, 31
	s_lshl_b64 s[8:9], s[8:9], 3
	v_mov_b32_e32 v20, s9
	v_add_co_u32_e64 v19, s[8:9], s8, v7
	v_addc_co_u32_e64 v20, s[8:9], v8, v20, s[8:9]
	global_load_dwordx2 v[19:20], v[19:20], off
	s_waitcnt vmcnt(0)
	ds_write_b64 v18, v[19:20] offset:6336
.LBB115_86:
	s_or_b64 exec, exec, s[12:13]
	v_add_co_u32_e64 v7, s[8:9], v7, v10
	v_addc_co_u32_e64 v8, s[8:9], 0, v8, s[8:9]
	v_mov_b32_e32 v18, s11
	v_subrev_co_u32_e64 v7, s[8:9], s10, v7
	v_subb_co_u32_e64 v8, s[8:9], v8, v18, s[8:9]
	v_add_co_u32_e64 v7, s[8:9], 8, v7
	v_addc_co_u32_e64 v8, s[8:9], 0, v8, s[8:9]
	v_cndmask_b32_e32 v19, v8, v6, vcc
	v_cndmask_b32_e32 v18, v7, v5, vcc
	s_branch .LBB115_92
.LBB115_87:
	ds_read_b64 v[7:8], v12
	s_waitcnt lgkmcnt(0)
	ds_write_b64 v5, v[7:8]
	s_or_b64 exec, exec, s[12:13]
	v_add_u32_e32 v27, v10, v6
	s_and_saveexec_b64 s[4:5], s[14:15]
	s_cbranch_execz .LBB115_64
.LBB115_88:
	ds_read_b64 v[6:7], v27
	s_waitcnt lgkmcnt(0)
	ds_write_b64 v5, v[6:7] offset:8
	s_or_b64 exec, exec, s[4:5]
	s_and_saveexec_b64 s[4:5], s[8:9]
	s_cbranch_execz .LBB115_65
.LBB115_89:
	ds_read_b64 v[6:7], v27 offset:264
	s_waitcnt lgkmcnt(0)
	ds_write_b64 v5, v[6:7] offset:16
	s_or_b64 exec, exec, s[4:5]
	v_add_u32_e32 v28, 0x2380, v18
	s_and_saveexec_b64 s[4:5], s[10:11]
	s_cbranch_execnz .LBB115_66
	s_branch .LBB115_67
.LBB115_90:
                                        ; implicit-def: $vgpr18_vgpr19
                                        ; implicit-def: $vgpr2
                                        ; implicit-def: $vgpr13
                                        ; implicit-def: $vgpr22
	s_cbranch_execz .LBB115_92
; %bb.91:
	s_lshl_b32 s8, s22, 3
	s_ashr_i32 s9, s8, 31
	s_lshl_b64 s[8:9], s[8:9], 3
	v_mov_b32_e32 v2, s9
	v_add_co_u32_e32 v7, vcc, s8, v3
	s_ashr_i32 s23, s22, 31
	v_addc_co_u32_e32 v8, vcc, v4, v2, vcc
	s_lshl_b64 s[8:9], s[22:23], 6
	v_mov_b32_e32 v2, s9
	v_add_co_u32_e32 v18, vcc, s8, v7
	v_addc_co_u32_e32 v19, vcc, v8, v2, vcc
	v_add_co_u32_e32 v20, vcc, s8, v18
	v_addc_co_u32_e32 v21, vcc, v19, v2, vcc
	global_load_dwordx2 v[29:30], v[3:4], off offset:-256
	global_load_dwordx2 v[31:32], v[7:8], off offset:-256
	;; [unrolled: 1-line block ×4, first 2 shown]
	s_movk_i32 s8, 0x108
	v_mov_b32_e32 v19, v6
	v_add_u32_e32 v2, 8, v9
	v_add_u32_e32 v13, 16, v9
	;; [unrolled: 1-line block ×3, first 2 shown]
	v_mad_u32_u24 v3, v9, s8, v10
	v_mov_b32_e32 v18, v5
	s_waitcnt vmcnt(3)
	ds_write_b64 v3, v[29:30]
	s_waitcnt vmcnt(2)
	ds_write_b64 v3, v[31:32] offset:2112
	s_waitcnt vmcnt(1)
	ds_write_b64 v3, v[33:34] offset:4224
	;; [unrolled: 2-line block ×3, first 2 shown]
.LBB115_92:
	v_lshlrev_b32_e32 v3, 3, v9
	v_add_u32_e32 v4, v25, v3
	v_lshlrev_b32_e32 v2, 3, v2
	s_waitcnt lgkmcnt(0)
	s_barrier
	ds_read_b64 v[6:7], v4
	ds_read_b64 v[29:30], v2 offset:9088
	ds_read_b64 v[8:9], v3 offset:9088
	ds_read_b64 v[20:21], v11
	v_add_u32_e32 v2, v25, v2
	ds_read_b64 v[31:32], v2
	v_lshlrev_b32_e32 v2, 3, v13
	s_waitcnt lgkmcnt(2)
	v_mul_f32_e32 v3, v9, v7
	v_add_u32_e32 v4, v25, v2
	v_fma_f32 v3, v8, v6, -v3
	v_lshlrev_b32_e32 v5, 3, v22
	ds_read_b64 v[33:34], v4
	ds_read_b64 v[35:36], v5 offset:9088
	ds_read_b64 v[37:38], v2 offset:9088
	s_waitcnt lgkmcnt(3)
	v_mul_f32_e32 v2, v30, v32
	v_add_f32_e32 v3, 0, v3
	v_fma_f32 v2, v29, v31, -v2
	v_add_f32_e32 v2, v3, v2
	v_add_u32_e32 v3, v25, v5
	ds_read_b64 v[39:40], v3
	ds_read_b64 v[22:23], v12
	s_waitcnt lgkmcnt(2)
	v_mul_f32_e32 v3, v38, v34
	v_fma_f32 v3, v37, v33, -v3
	v_add_f32_e32 v2, v2, v3
	s_waitcnt lgkmcnt(1)
	v_mul_f32_e32 v3, v36, v40
	v_fma_f32 v3, v35, v39, -v3
	v_add_f32_e32 v41, v2, v3
	ds_read_b128 v[10:13], v28 offset:256
	ds_read_b128 v[2:5], v28 offset:272
	v_mul_f32_e32 v28, v8, v7
	v_fmac_f32_e32 v28, v9, v6
	ds_read2_b64 v[6:9], v27 offset1:33
	v_add_f32_e32 v27, 0, v28
	v_mul_f32_e32 v28, v29, v32
	v_fmac_f32_e32 v28, v30, v31
	v_add_f32_e32 v27, v27, v28
	v_mul_f32_e32 v28, v37, v34
	v_fmac_f32_e32 v28, v38, v33
	;; [unrolled: 3-line block ×3, first 2 shown]
	v_add_f32_e32 v42, v27, v28
	s_waitcnt lgkmcnt(0)
	s_barrier
	ds_write_b64 v26, v[41:42]
	s_waitcnt lgkmcnt(0)
	s_barrier
	s_and_saveexec_b64 s[8:9], s[4:5]
	s_cbranch_execz .LBB115_94
; %bb.93:
	ds_read2_b64 v[27:30], v25 offset1:1
	ds_read2_b64 v[31:34], v25 offset0:2 offset1:3
	ds_read2_b64 v[35:38], v25 offset0:4 offset1:5
	s_waitcnt lgkmcnt(2)
	v_add_f32_e32 v27, v51, v27
	v_add_f32_e32 v28, v52, v28
	;; [unrolled: 1-line block ×4, first 2 shown]
	s_waitcnt lgkmcnt(1)
	v_add_f32_e32 v27, v27, v31
	v_add_f32_e32 v28, v28, v32
	;; [unrolled: 1-line block ×4, first 2 shown]
	ds_read2_b64 v[27:30], v25 offset0:6 offset1:7
	s_waitcnt lgkmcnt(1)
	v_add_f32_e32 v31, v31, v35
	v_add_f32_e32 v32, v32, v36
	v_add_f32_e32 v31, v31, v37
	v_add_f32_e32 v32, v32, v38
	s_waitcnt lgkmcnt(0)
	v_add_f32_e32 v27, v31, v27
	v_add_f32_e32 v28, v32, v28
	;; [unrolled: 1-line block ×4, first 2 shown]
.LBB115_94:
	s_or_b64 exec, exec, s[8:9]
	v_mul_f32_e32 v27, v11, v23
	v_fma_f32 v27, v10, v22, -v27
	v_mul_f32_e32 v10, v10, v23
	v_fmac_f32_e32 v10, v11, v22
	v_mul_f32_e32 v22, v13, v7
	v_mul_f32_e32 v7, v12, v7
	v_add_f32_e32 v10, 0, v10
	v_fmac_f32_e32 v7, v13, v6
	v_add_f32_e32 v7, v10, v7
	v_mul_f32_e32 v10, v3, v9
	v_add_f32_e32 v11, 0, v27
	v_fma_f32 v22, v12, v6, -v22
	v_fma_f32 v10, v2, v8, -v10
	v_mul_f32_e32 v2, v2, v9
	v_add_f32_e32 v6, v11, v22
	v_fmac_f32_e32 v2, v3, v8
	v_add_f32_e32 v3, v6, v10
	v_add_f32_e32 v6, v7, v2
	v_mul_f32_e32 v2, v5, v21
	v_fma_f32 v2, v4, v20, -v2
	v_mul_f32_e32 v4, v4, v21
	v_fmac_f32_e32 v4, v5, v20
	v_add_f32_e32 v2, v3, v2
	v_add_f32_e32 v3, v6, v4
	s_barrier
	ds_write_b64 v26, v[2:3]
	s_waitcnt lgkmcnt(0)
	s_barrier
	s_and_saveexec_b64 s[4:5], s[2:3]
	s_cbranch_execz .LBB115_96
; %bb.95:
	ds_read2_b64 v[2:5], v25 offset1:1
	ds_read2_b64 v[6:9], v25 offset0:2 offset1:3
	ds_read2_b64 v[10:13], v25 offset0:4 offset1:5
	s_waitcnt lgkmcnt(2)
	v_add_f32_e32 v2, v51, v2
	v_add_f32_e32 v3, v52, v3
	;; [unrolled: 1-line block ×4, first 2 shown]
	s_waitcnt lgkmcnt(1)
	v_add_f32_e32 v2, v2, v6
	v_add_f32_e32 v3, v3, v7
	;; [unrolled: 1-line block ×4, first 2 shown]
	ds_read2_b64 v[2:5], v25 offset0:6 offset1:7
	s_waitcnt lgkmcnt(1)
	v_add_f32_e32 v6, v6, v10
	v_add_f32_e32 v7, v7, v11
	;; [unrolled: 1-line block ×4, first 2 shown]
	s_waitcnt lgkmcnt(0)
	v_add_f32_e32 v2, v6, v2
	v_add_f32_e32 v3, v7, v3
	;; [unrolled: 1-line block ×4, first 2 shown]
.LBB115_96:
	s_or_b64 exec, exec, s[4:5]
	s_mul_hi_u32 s2, s40, s7
	s_mul_i32 s41, s41, s7
	s_add_i32 s2, s2, s41
	s_mul_i32 s4, s40, s7
	s_mul_i32 s2, s2, s33
	s_mul_hi_u32 s3, s4, s33
	s_add_i32 s3, s3, s2
	s_mul_i32 s2, s4, s33
	s_lshl_b64 s[2:3], s[2:3], 3
	s_add_u32 s4, s18, s2
	s_addc_u32 s5, s19, s3
	s_mul_hi_i32 s3, s40, s6
	s_mul_i32 s2, s40, s6
	s_lshl_b64 s[2:3], s[2:3], 3
	s_add_u32 s7, s4, s2
	s_addc_u32 s17, s5, s3
	s_add_i32 s8, s6, 1
	s_cmp_ge_u32 s8, s33
	v_lshlrev_b32_e32 v88, 3, v0
	s_barrier
	s_cbranch_scc1 .LBB115_154
; %bb.97:
	v_lshlrev_b32_e32 v89, 2, v1
	v_mad_u64_u32 v[2:3], s[4:5], s22, v89, v[0:1]
	s_mul_i32 s2, s39, s24
	s_ashr_i32 s3, s2, 31
	s_lshl_b64 s[2:3], s[2:3], 3
	v_mov_b32_e32 v4, s3
	v_subrev_co_u32_e32 v90, vcc, s2, v16
	v_ashrrev_i32_e32 v3, 31, v2
	s_lshl_b32 s2, s22, 4
	v_subb_co_u32_e32 v91, vcc, v17, v4, vcc
	s_lshl_b32 s25, s39, 6
	s_ashr_i32 s3, s2, 31
	s_ashr_i32 s23, s22, 31
	s_lshl_b32 s14, s22, 1
	s_mul_i32 s18, s22, 3
	s_mul_i32 s39, s39, s8
	v_lshlrev_b64 v[4:5], 3, v[2:3]
	s_add_i32 s24, s33, -2
	s_ashr_i32 s15, s14, 31
	s_ashr_i32 s19, s18, 31
	s_lshl_b64 s[4:5], s[22:23], 3
	s_lshl_b32 s10, s39, 6
	s_lshl_b64 s[12:13], s[2:3], 5
	s_lshl_b64 s[8:9], s[22:23], 4
	v_mov_b32_e32 v6, s29
	v_add_co_u32_e32 v7, vcc, s28, v4
	s_add_u32 s11, s8, s28
	v_addc_co_u32_e32 v6, vcc, v6, v5, vcc
	s_addc_u32 s23, s9, s29
	v_mov_b32_e32 v8, s23
	v_add_co_u32_e32 v9, vcc, s11, v4
	s_add_u32 s34, s4, s28
	v_addc_co_u32_e32 v8, vcc, v8, v5, vcc
	s_addc_u32 s35, s5, s29
	s_lshl_b64 s[14:15], s[14:15], 3
	v_mov_b32_e32 v10, s35
	v_add_co_u32_e32 v11, vcc, s34, v4
	s_add_u32 s30, s28, s14
	v_addc_co_u32_e32 v10, vcc, v10, v5, vcc
	s_addc_u32 s31, s29, s15
	s_lshl_b64 s[18:19], s[18:19], 3
	v_mov_b32_e32 v12, s31
	v_add_co_u32_e32 v13, vcc, s30, v4
	s_add_u32 s30, s28, s18
	v_addc_co_u32_e32 v12, vcc, v12, v5, vcc
	s_addc_u32 s31, s29, s19
	v_mov_b32_e32 v16, s31
	v_add_co_u32_e32 v17, vcc, s30, v4
	s_lshl_b64 s[30:31], s[2:3], 3
	s_add_u32 s36, s28, s30
	v_addc_co_u32_e32 v16, vcc, v16, v5, vcc
	s_addc_u32 s37, s29, s31
	v_mov_b32_e32 v20, s37
	v_add_co_u32_e32 v21, vcc, s36, v4
	s_add_u32 s34, s34, s30
	v_addc_co_u32_e32 v20, vcc, v20, v5, vcc
	s_addc_u32 s35, s35, s31
	v_mov_b32_e32 v22, s35
	v_add_co_u32_e32 v23, vcc, s34, v4
	;; [unrolled: 5-line block ×5, first 2 shown]
	s_lshl_b64 s[30:31], s[2:3], 4
	s_add_u32 s3, s30, s28
	v_addc_co_u32_e32 v29, vcc, v29, v5, vcc
	s_addc_u32 s28, s31, s29
	v_mov_b32_e32 v31, s28
	v_add_co_u32_e32 v32, vcc, s3, v4
	v_addc_co_u32_e32 v31, vcc, v31, v5, vcc
	s_add_u32 s29, s3, s4
	v_mov_b32_e32 v34, s27
	v_add_co_u32_e32 v2, vcc, s26, v2
	s_addc_u32 s34, s28, s5
	v_addc_co_u32_e32 v3, vcc, v34, v3, vcc
	v_mov_b32_e32 v33, s34
	v_add_co_u32_e32 v34, vcc, s29, v4
	s_add_u32 s26, s3, s14
	v_addc_co_u32_e32 v33, vcc, v33, v5, vcc
	s_addc_u32 s27, s28, s15
	v_mov_b32_e32 v35, s27
	v_add_co_u32_e32 v36, vcc, s26, v4
	s_add_u32 s11, s11, s30
	v_addc_co_u32_e32 v35, vcc, v35, v5, vcc
	s_addc_u32 s23, s23, s31
	v_mov_b32_e32 v37, s23
	v_add_co_u32_e32 v38, vcc, s11, v4
	v_addc_co_u32_e32 v37, vcc, v37, v5, vcc
	s_add_u32 s3, s3, s18
	s_addc_u32 s11, s28, s19
	v_add_co_u32_e32 v40, vcc, s3, v4
	s_mul_i32 s3, s22, 0x180
	v_mov_b32_e32 v39, s11
	s_mul_hi_i32 s11, s2, 24
	v_lshlrev_b64 v[2:3], 3, v[2:3]
	s_add_u32 s8, s3, s8
	s_addc_u32 s3, s11, s9
	v_addc_co_u32_e32 v39, vcc, v39, v5, vcc
	v_mov_b32_e32 v41, s3
	v_mad_i64_i32 v[4:5], s[2:3], s2, 24, v[2:3]
	v_add_co_u32_e32 v2, vcc, s8, v2
	v_addc_co_u32_e32 v3, vcc, v41, v3, vcc
	v_mov_b32_e32 v41, s5
	v_add_co_u32_e32 v42, vcc, s4, v4
	v_addc_co_u32_e32 v41, vcc, v5, v41, vcc
	v_mov_b32_e32 v43, s15
	v_add_co_u32_e32 v44, vcc, s14, v4
	v_addc_co_u32_e32 v43, vcc, v5, v43, vcc
	v_mov_b32_e32 v45, s19
	v_add_co_u32_e32 v46, vcc, s18, v4
	v_addc_co_u32_e32 v45, vcc, v5, v45, vcc
	v_add_co_u32_e32 v92, vcc, v18, v4
	v_addc_co_u32_e32 v93, vcc, v19, v5, vcc
	v_add_co_u32_e32 v94, vcc, v18, v7
	v_addc_co_u32_e32 v95, vcc, v19, v6, vcc
	v_add_co_u32_e32 v96, vcc, v18, v9
	v_addc_co_u32_e32 v97, vcc, v19, v8, vcc
	v_add_co_u32_e32 v98, vcc, v18, v11
	v_addc_co_u32_e32 v99, vcc, v19, v10, vcc
	v_add_co_u32_e32 v100, vcc, v18, v13
	v_addc_co_u32_e32 v101, vcc, v19, v12, vcc
	v_add_co_u32_e32 v102, vcc, v18, v17
	v_addc_co_u32_e32 v103, vcc, v19, v16, vcc
	v_add_co_u32_e32 v104, vcc, v18, v21
	v_addc_co_u32_e32 v105, vcc, v19, v20, vcc
	v_add_co_u32_e32 v106, vcc, v18, v23
	v_addc_co_u32_e32 v107, vcc, v19, v22, vcc
	v_add_co_u32_e32 v108, vcc, v18, v26
	v_addc_co_u32_e32 v109, vcc, v19, v25, vcc
	v_add_co_u32_e32 v110, vcc, v18, v28
	v_addc_co_u32_e32 v111, vcc, v19, v27, vcc
	v_add_co_u32_e32 v112, vcc, v18, v30
	v_addc_co_u32_e32 v113, vcc, v19, v29, vcc
	v_add_co_u32_e32 v114, vcc, v18, v32
	v_addc_co_u32_e32 v115, vcc, v19, v31, vcc
	v_add_co_u32_e32 v116, vcc, v18, v34
	v_addc_co_u32_e32 v117, vcc, v19, v33, vcc
	v_add_co_u32_e32 v118, vcc, v18, v36
	v_addc_co_u32_e32 v119, vcc, v19, v35, vcc
	v_add_co_u32_e32 v120, vcc, v18, v38
	v_addc_co_u32_e32 v121, vcc, v19, v37, vcc
	v_add_co_u32_e32 v122, vcc, v18, v40
	v_addc_co_u32_e32 v123, vcc, v19, v39, vcc
	v_add_co_u32_e32 v124, vcc, v18, v42
	v_addc_co_u32_e32 v125, vcc, v19, v41, vcc
	v_add_co_u32_e32 v126, vcc, v18, v44
	v_addc_co_u32_e32 v127, vcc, v19, v43, vcc
	v_add_co_u32_e32 v128, vcc, v18, v2
	v_lshrrev_b32_e32 v2, 4, v24
	v_addc_co_u32_e32 v129, vcc, v19, v3, vcc
	s_movk_i32 s4, 0x218
	v_and_b32_e32 v3, 15, v0
	v_lshlrev_b32_e32 v4, 5, v2
	v_mad_u32_u24 v132, v3, s4, v4
	v_and_b32_e32 v4, 48, v0
	v_add_co_u32_e32 v130, vcc, v18, v46
	v_lshlrev_b32_e32 v4, 3, v4
	v_addc_co_u32_e32 v131, vcc, v19, v45, vcc
	v_mad_u32_u24 v133, v3, s4, v4
	v_or_b32_e32 v4, 0x78, v88
	v_mad_u32_u24 v134, v3, s4, v4
	v_sub_co_u32_e32 v135, vcc, 0, v14
	v_mov_b32_e32 v3, 0x2180
	s_movk_i32 s4, 0x860
	v_mul_i32_i24_e32 v2, 0xffffffe8, v2
	v_cmp_gt_u32_e64 s[2:3], 64, v24
	v_subb_co_u32_e32 v136, vcc, 0, v15, vcc
	v_lshl_add_u32 v137, v1, 5, v3
	v_add_u32_e32 v138, v132, v2
	v_add_u32_e32 v139, 0x2180, v88
	v_add_u32_e32 v140, 0x2380, v88
	v_mad_u32_u24 v141, v1, s4, v88
	v_or_b32_e32 v142, 1, v89
	v_or_b32_e32 v143, 2, v89
	;; [unrolled: 1-line block ×3, first 2 shown]
	v_add_u32_e32 v145, 16, v89
	v_add_u32_e32 v146, 17, v89
	;; [unrolled: 1-line block ×13, first 2 shown]
	v_mov_b32_e32 v55, 0
	s_cmp_eq_u32 s24, s6
	s_cselect_b32 s22, s38, 0
	s_and_saveexec_b64 s[4:5], s[0:1]
	s_cbranch_execz .LBB115_102
.LBB115_98:
	s_cmp_lg_u32 s22, 0
	s_cselect_b64 s[8:9], -1, 0
	v_cmp_le_i32_e32 vcc, s22, v0
	s_and_b64 s[8:9], s[8:9], vcc
	s_and_saveexec_b64 s[14:15], s[8:9]
	s_xor_b64 s[8:9], exec, s[14:15]
; %bb.99:
	v_mov_b32_e32 v56, v55
	ds_write_b64 v139, v[55:56]
; %bb.100:
	s_andn2_saveexec_b64 s[8:9], s[8:9]
	s_cbranch_execz .LBB115_102
; %bb.101:
	s_ashr_i32 s11, s10, 31
	s_lshl_b64 s[8:9], s[10:11], 3
	v_mov_b32_e32 v3, s9
	v_add_co_u32_e32 v2, vcc, s8, v90
	v_addc_co_u32_e32 v3, vcc, v91, v3, vcc
	global_load_dwordx2 v[2:3], v[2:3], off
	s_waitcnt vmcnt(0)
	ds_write_b64 v139, v[2:3]
.LBB115_102:                            ; =>This Inner Loop Header: Depth=1
	s_or_b64 exec, exec, s[4:5]
	s_cmp_eq_u32 s22, 0
	v_add_co_u32_e32 v2, vcc, v94, v135
	s_cselect_b64 s[14:15], -1, 0
	s_cmp_lg_u32 s22, 0
	v_addc_co_u32_e32 v3, vcc, v95, v136, vcc
	s_cselect_b64 s[8:9], -1, 0
	s_and_b64 vcc, exec, s[8:9]
	s_waitcnt lgkmcnt(0)
	s_barrier
	s_cbranch_vccz .LBB115_110
; %bb.103:                              ;   in Loop: Header=BB115_102 Depth=1
	v_mov_b32_e32 v58, 0
	v_mov_b32_e32 v56, 0
	;; [unrolled: 1-line block ×4, first 2 shown]
	v_cmp_gt_i32_e32 vcc, s22, v89
	s_and_saveexec_b64 s[4:5], vcc
	s_cbranch_execz .LBB115_105
; %bb.104:                              ;   in Loop: Header=BB115_102 Depth=1
	global_load_dwordx2 v[56:57], v[2:3], off
.LBB115_105:                            ;   in Loop: Header=BB115_102 Depth=1
	s_or_b64 exec, exec, s[4:5]
	v_cmp_gt_i32_e32 vcc, s22, v142
	s_and_saveexec_b64 s[4:5], vcc
	s_cbranch_execz .LBB115_107
; %bb.106:                              ;   in Loop: Header=BB115_102 Depth=1
	v_add_co_u32_e32 v4, vcc, v98, v135
	v_addc_co_u32_e32 v5, vcc, v99, v136, vcc
	global_load_dwordx2 v[58:59], v[4:5], off
.LBB115_107:                            ;   in Loop: Header=BB115_102 Depth=1
	s_or_b64 exec, exec, s[4:5]
	v_mov_b32_e32 v60, 0
	v_mov_b32_e32 v61, 0
	v_cmp_gt_i32_e32 vcc, s22, v143
	s_and_saveexec_b64 s[4:5], vcc
	s_cbranch_execz .LBB115_109
; %bb.108:                              ;   in Loop: Header=BB115_102 Depth=1
	v_add_co_u32_e32 v4, vcc, v100, v135
	v_addc_co_u32_e32 v5, vcc, v101, v136, vcc
	global_load_dwordx2 v[60:61], v[4:5], off
.LBB115_109:                            ;   in Loop: Header=BB115_102 Depth=1
	s_or_b64 exec, exec, s[4:5]
	v_cmp_gt_i32_e64 s[4:5], s22, v144
	s_branch .LBB115_112
.LBB115_110:                            ;   in Loop: Header=BB115_102 Depth=1
	s_mov_b64 s[4:5], 0
                                        ; implicit-def: $vgpr60_vgpr61
                                        ; implicit-def: $vgpr58_vgpr59
                                        ; implicit-def: $vgpr56_vgpr57
	s_cbranch_execz .LBB115_112
; %bb.111:                              ;   in Loop: Header=BB115_102 Depth=1
	global_load_dwordx2 v[56:57], v[2:3], off
	v_add_co_u32_e32 v2, vcc, v98, v135
	v_addc_co_u32_e32 v3, vcc, v99, v136, vcc
	global_load_dwordx2 v[58:59], v[2:3], off
	v_add_co_u32_e32 v2, vcc, v96, v135
	v_addc_co_u32_e32 v3, vcc, v97, v136, vcc
	global_load_dwordx2 v[60:61], v[2:3], off
	s_or_b64 s[4:5], s[4:5], exec
.LBB115_112:                            ;   in Loop: Header=BB115_102 Depth=1
	v_mov_b32_e32 v62, 0
	v_mov_b32_e32 v63, 0
	s_and_saveexec_b64 s[18:19], s[4:5]
	s_cbranch_execz .LBB115_114
; %bb.113:                              ;   in Loop: Header=BB115_102 Depth=1
	v_add_co_u32_e32 v2, vcc, v102, v135
	v_addc_co_u32_e32 v3, vcc, v103, v136, vcc
	global_load_dwordx2 v[62:63], v[2:3], off
.LBB115_114:                            ;   in Loop: Header=BB115_102 Depth=1
	s_or_b64 exec, exec, s[18:19]
	ds_read_b64 v[10:11], v140
	ds_read_b128 v[6:9], v137
	ds_read_b128 v[2:5], v137 offset:16
	s_andn2_b64 vcc, exec, s[8:9]
	s_waitcnt vmcnt(0) lgkmcnt(2)
	v_mul_f32_e32 v12, v11, v57
	v_mul_f32_e32 v13, v11, v56
	;; [unrolled: 1-line block ×4, first 2 shown]
	v_fma_f32 v12, v10, v56, -v12
	v_fmac_f32_e32 v13, v10, v57
	v_fma_f32 v14, v10, v58, -v14
	v_fmac_f32_e32 v15, v10, v59
	ds_write2_b64 v141, v[12:13], v[14:15] offset1:67
	v_mul_f32_e32 v12, v11, v61
	v_mul_f32_e32 v13, v11, v60
	;; [unrolled: 1-line block ×4, first 2 shown]
	v_fma_f32 v12, v10, v60, -v12
	v_fmac_f32_e32 v13, v10, v61
	v_fma_f32 v14, v10, v62, -v14
	v_fmac_f32_e32 v15, v11, v62
	ds_write2_b64 v141, v[12:13], v[14:15] offset0:134 offset1:201
	s_waitcnt lgkmcnt(0)
	s_barrier
	ds_read2_b64 v[22:25], v132 offset1:1
	ds_read2_b64 v[18:21], v132 offset0:2 offset1:3
	v_cndmask_b32_e64 v10, 0, 1, s[8:9]
	v_cmp_ne_u32_e64 s[4:5], 1, v10
	v_add_co_u32_e64 v10, s[8:9], v104, v135
	v_addc_co_u32_e64 v11, s[8:9], v105, v136, s[8:9]
	s_waitcnt lgkmcnt(0)
	s_barrier
	s_cbranch_vccnz .LBB115_122
; %bb.115:                              ;   in Loop: Header=BB115_102 Depth=1
	v_mov_b32_e32 v66, 0
	v_mov_b32_e32 v64, 0
	;; [unrolled: 1-line block ×4, first 2 shown]
	v_cmp_gt_i32_e32 vcc, s22, v145
	s_and_saveexec_b64 s[8:9], vcc
	s_cbranch_execz .LBB115_117
; %bb.116:                              ;   in Loop: Header=BB115_102 Depth=1
	global_load_dwordx2 v[64:65], v[10:11], off
.LBB115_117:                            ;   in Loop: Header=BB115_102 Depth=1
	s_or_b64 exec, exec, s[8:9]
	v_cmp_gt_i32_e32 vcc, s22, v146
	s_and_saveexec_b64 s[8:9], vcc
	s_cbranch_execz .LBB115_119
; %bb.118:                              ;   in Loop: Header=BB115_102 Depth=1
	v_add_co_u32_e32 v12, vcc, v106, v135
	v_addc_co_u32_e32 v13, vcc, v107, v136, vcc
	global_load_dwordx2 v[66:67], v[12:13], off
.LBB115_119:                            ;   in Loop: Header=BB115_102 Depth=1
	s_or_b64 exec, exec, s[8:9]
	v_mov_b32_e32 v68, 0
	v_mov_b32_e32 v69, 0
	v_cmp_gt_i32_e32 vcc, s22, v147
	s_and_saveexec_b64 s[8:9], vcc
	s_cbranch_execz .LBB115_121
; %bb.120:                              ;   in Loop: Header=BB115_102 Depth=1
	v_add_co_u32_e32 v12, vcc, v108, v135
	v_addc_co_u32_e32 v13, vcc, v109, v136, vcc
	global_load_dwordx2 v[68:69], v[12:13], off
.LBB115_121:                            ;   in Loop: Header=BB115_102 Depth=1
	s_or_b64 exec, exec, s[8:9]
	v_cmp_gt_i32_e64 s[8:9], s22, v148
	s_branch .LBB115_124
.LBB115_122:                            ;   in Loop: Header=BB115_102 Depth=1
	s_mov_b64 s[8:9], 0
                                        ; implicit-def: $vgpr68_vgpr69
                                        ; implicit-def: $vgpr66_vgpr67
                                        ; implicit-def: $vgpr64_vgpr65
	s_cbranch_execz .LBB115_124
; %bb.123:                              ;   in Loop: Header=BB115_102 Depth=1
	global_load_dwordx2 v[64:65], v[10:11], off
	v_add_co_u32_e32 v10, vcc, v106, v135
	v_addc_co_u32_e32 v11, vcc, v107, v136, vcc
	global_load_dwordx2 v[66:67], v[10:11], off
	v_add_co_u32_e32 v10, vcc, v110, v135
	v_addc_co_u32_e32 v11, vcc, v111, v136, vcc
	global_load_dwordx2 v[68:69], v[10:11], off
	s_or_b64 s[8:9], s[8:9], exec
.LBB115_124:                            ;   in Loop: Header=BB115_102 Depth=1
	v_mov_b32_e32 v70, 0
	v_mov_b32_e32 v71, 0
	s_and_saveexec_b64 s[18:19], s[8:9]
	s_cbranch_execz .LBB115_126
; %bb.125:                              ;   in Loop: Header=BB115_102 Depth=1
	v_add_co_u32_e32 v10, vcc, v112, v135
	v_addc_co_u32_e32 v11, vcc, v113, v136, vcc
	global_load_dwordx2 v[70:71], v[10:11], off
.LBB115_126:                            ;   in Loop: Header=BB115_102 Depth=1
	s_or_b64 exec, exec, s[18:19]
	ds_read_b64 v[26:27], v140
	ds_read_b128 v[14:17], v137 offset:128
	ds_read_b128 v[10:13], v137 offset:144
	s_and_b64 vcc, exec, s[4:5]
	s_waitcnt vmcnt(0) lgkmcnt(2)
	v_mul_f32_e32 v28, v27, v65
	v_mul_f32_e32 v29, v27, v64
	;; [unrolled: 1-line block ×4, first 2 shown]
	v_fma_f32 v28, v26, v64, -v28
	v_fmac_f32_e32 v29, v26, v65
	v_fma_f32 v30, v26, v66, -v30
	v_fmac_f32_e32 v31, v26, v67
	ds_write2_b64 v141, v[28:29], v[30:31] offset1:67
	v_mul_f32_e32 v28, v27, v69
	v_mul_f32_e32 v29, v27, v68
	;; [unrolled: 1-line block ×4, first 2 shown]
	v_fma_f32 v28, v26, v68, -v28
	v_fmac_f32_e32 v29, v26, v69
	v_fma_f32 v30, v26, v70, -v30
	v_fmac_f32_e32 v31, v27, v70
	ds_write2_b64 v141, v[28:29], v[30:31] offset0:134 offset1:201
	s_waitcnt lgkmcnt(0)
	s_barrier
	ds_read2_b64 v[38:41], v132 offset1:1
	ds_read2_b64 v[34:37], v132 offset0:2 offset1:3
	v_add_co_u32_e64 v26, s[8:9], v114, v135
	v_addc_co_u32_e64 v27, s[8:9], v115, v136, s[8:9]
	s_waitcnt lgkmcnt(0)
	s_barrier
	s_cbranch_vccnz .LBB115_134
; %bb.127:                              ;   in Loop: Header=BB115_102 Depth=1
	v_mov_b32_e32 v74, 0
	v_mov_b32_e32 v72, 0
	v_mov_b32_e32 v75, 0
	v_mov_b32_e32 v73, 0
	v_cmp_gt_i32_e32 vcc, s22, v149
	s_and_saveexec_b64 s[8:9], vcc
	s_cbranch_execz .LBB115_129
; %bb.128:                              ;   in Loop: Header=BB115_102 Depth=1
	global_load_dwordx2 v[72:73], v[26:27], off
.LBB115_129:                            ;   in Loop: Header=BB115_102 Depth=1
	s_or_b64 exec, exec, s[8:9]
	v_cmp_gt_i32_e32 vcc, s22, v150
	s_and_saveexec_b64 s[8:9], vcc
	s_cbranch_execz .LBB115_131
; %bb.130:                              ;   in Loop: Header=BB115_102 Depth=1
	v_add_co_u32_e32 v28, vcc, v116, v135
	v_addc_co_u32_e32 v29, vcc, v117, v136, vcc
	global_load_dwordx2 v[74:75], v[28:29], off
.LBB115_131:                            ;   in Loop: Header=BB115_102 Depth=1
	s_or_b64 exec, exec, s[8:9]
	v_mov_b32_e32 v76, 0
	v_mov_b32_e32 v77, 0
	v_cmp_gt_i32_e32 vcc, s22, v151
	s_and_saveexec_b64 s[8:9], vcc
	s_cbranch_execz .LBB115_133
; %bb.132:                              ;   in Loop: Header=BB115_102 Depth=1
	v_add_co_u32_e32 v28, vcc, v118, v135
	v_addc_co_u32_e32 v29, vcc, v119, v136, vcc
	global_load_dwordx2 v[76:77], v[28:29], off
.LBB115_133:                            ;   in Loop: Header=BB115_102 Depth=1
	s_or_b64 exec, exec, s[8:9]
	v_cmp_gt_i32_e64 s[8:9], s22, v152
	s_branch .LBB115_136
.LBB115_134:                            ;   in Loop: Header=BB115_102 Depth=1
	s_mov_b64 s[8:9], 0
                                        ; implicit-def: $vgpr76_vgpr77
                                        ; implicit-def: $vgpr74_vgpr75
                                        ; implicit-def: $vgpr72_vgpr73
	s_cbranch_execz .LBB115_136
; %bb.135:                              ;   in Loop: Header=BB115_102 Depth=1
	global_load_dwordx2 v[72:73], v[26:27], off
	v_add_co_u32_e32 v26, vcc, v116, v135
	v_addc_co_u32_e32 v27, vcc, v117, v136, vcc
	global_load_dwordx2 v[74:75], v[26:27], off
	v_add_co_u32_e32 v26, vcc, v120, v135
	v_addc_co_u32_e32 v27, vcc, v121, v136, vcc
	global_load_dwordx2 v[76:77], v[26:27], off
	s_or_b64 s[8:9], s[8:9], exec
.LBB115_136:                            ;   in Loop: Header=BB115_102 Depth=1
	v_mov_b32_e32 v78, 0
	v_mov_b32_e32 v79, 0
	s_and_saveexec_b64 s[18:19], s[8:9]
	s_cbranch_execz .LBB115_138
; %bb.137:                              ;   in Loop: Header=BB115_102 Depth=1
	v_add_co_u32_e32 v26, vcc, v122, v135
	v_addc_co_u32_e32 v27, vcc, v123, v136, vcc
	global_load_dwordx2 v[78:79], v[26:27], off
.LBB115_138:                            ;   in Loop: Header=BB115_102 Depth=1
	s_or_b64 exec, exec, s[18:19]
	ds_read_b64 v[42:43], v140
	ds_read_b128 v[30:33], v137 offset:256
	ds_read_b128 v[26:29], v137 offset:272
	s_and_b64 vcc, exec, s[4:5]
	v_add_co_u32_e64 v86, s[4:5], v92, v135
	s_waitcnt vmcnt(0) lgkmcnt(2)
	v_mul_f32_e32 v44, v43, v73
	v_mul_f32_e32 v45, v43, v72
	;; [unrolled: 1-line block ×4, first 2 shown]
	v_fma_f32 v44, v42, v72, -v44
	v_fmac_f32_e32 v45, v42, v73
	v_fma_f32 v46, v42, v74, -v46
	v_fmac_f32_e32 v47, v42, v75
	ds_write2_b64 v141, v[44:45], v[46:47] offset1:67
	v_mul_f32_e32 v44, v43, v77
	v_mul_f32_e32 v45, v43, v76
	;; [unrolled: 1-line block ×4, first 2 shown]
	v_fma_f32 v44, v42, v76, -v44
	v_fmac_f32_e32 v45, v42, v77
	v_fma_f32 v46, v42, v78, -v46
	v_fmac_f32_e32 v47, v43, v78
	ds_write2_b64 v141, v[44:45], v[46:47] offset0:134 offset1:201
	s_waitcnt lgkmcnt(0)
	s_barrier
	ds_read2_b64 v[46:49], v132 offset1:1
	ds_read2_b64 v[42:45], v132 offset0:2 offset1:3
	v_addc_co_u32_e64 v87, s[4:5], v93, v136, s[4:5]
	s_waitcnt lgkmcnt(0)
	s_barrier
	s_cbranch_vccnz .LBB115_146
; %bb.139:                              ;   in Loop: Header=BB115_102 Depth=1
	v_mov_b32_e32 v82, 0
	v_mov_b32_e32 v80, 0
	;; [unrolled: 1-line block ×4, first 2 shown]
	v_cmp_gt_i32_e32 vcc, s22, v153
	s_and_saveexec_b64 s[4:5], vcc
	s_cbranch_execz .LBB115_141
; %bb.140:                              ;   in Loop: Header=BB115_102 Depth=1
	global_load_dwordx2 v[80:81], v[86:87], off
.LBB115_141:                            ;   in Loop: Header=BB115_102 Depth=1
	s_or_b64 exec, exec, s[4:5]
	v_cmp_gt_i32_e32 vcc, s22, v154
	s_and_saveexec_b64 s[4:5], vcc
	s_cbranch_execz .LBB115_143
; %bb.142:                              ;   in Loop: Header=BB115_102 Depth=1
	v_add_co_u32_e32 v82, vcc, v124, v135
	v_addc_co_u32_e32 v83, vcc, v125, v136, vcc
	global_load_dwordx2 v[82:83], v[82:83], off
.LBB115_143:                            ;   in Loop: Header=BB115_102 Depth=1
	s_or_b64 exec, exec, s[4:5]
	v_mov_b32_e32 v84, 0
	v_mov_b32_e32 v85, 0
	v_cmp_gt_i32_e32 vcc, s22, v155
	s_and_saveexec_b64 s[4:5], vcc
	s_cbranch_execz .LBB115_145
; %bb.144:                              ;   in Loop: Header=BB115_102 Depth=1
	v_add_co_u32_e32 v84, vcc, v126, v135
	v_addc_co_u32_e32 v85, vcc, v127, v136, vcc
	global_load_dwordx2 v[84:85], v[84:85], off
.LBB115_145:                            ;   in Loop: Header=BB115_102 Depth=1
	s_or_b64 exec, exec, s[4:5]
	v_cmp_gt_i32_e64 s[4:5], s22, v156
	s_branch .LBB115_148
.LBB115_146:                            ;   in Loop: Header=BB115_102 Depth=1
	s_mov_b64 s[4:5], 0
                                        ; implicit-def: $vgpr84_vgpr85
                                        ; implicit-def: $vgpr82_vgpr83
                                        ; implicit-def: $vgpr80_vgpr81
	s_cbranch_execz .LBB115_148
; %bb.147:                              ;   in Loop: Header=BB115_102 Depth=1
	s_waitcnt vmcnt(0)
	v_add_co_u32_e32 v82, vcc, v124, v135
	v_addc_co_u32_e32 v83, vcc, v125, v136, vcc
	v_add_co_u32_e32 v84, vcc, v128, v135
	v_addc_co_u32_e32 v85, vcc, v129, v136, vcc
	global_load_dwordx2 v[80:81], v[86:87], off
	s_or_b64 s[4:5], s[4:5], exec
	global_load_dwordx2 v[82:83], v[82:83], off
	s_nop 0
	global_load_dwordx2 v[84:85], v[84:85], off
.LBB115_148:                            ;   in Loop: Header=BB115_102 Depth=1
	v_mov_b32_e32 v86, 0
	v_mov_b32_e32 v87, 0
	s_and_saveexec_b64 s[8:9], s[4:5]
	s_cbranch_execz .LBB115_150
; %bb.149:                              ;   in Loop: Header=BB115_102 Depth=1
	v_add_co_u32_e32 v86, vcc, v130, v135
	v_addc_co_u32_e32 v87, vcc, v131, v136, vcc
	global_load_dwordx2 v[86:87], v[86:87], off
.LBB115_150:                            ;   in Loop: Header=BB115_102 Depth=1
	s_or_b64 exec, exec, s[8:9]
	v_add_f32_e32 v38, 0, v38
	v_add_f32_e32 v39, 0, v39
	;; [unrolled: 1-line block ×6, first 2 shown]
	ds_read_b64 v[38:39], v140
	v_add_f32_e32 v46, 0, v46
	v_add_f32_e32 v47, 0, v47
	v_add_f32_e32 v46, v46, v48
	v_add_f32_e32 v47, v47, v49
	v_add_f32_e32 v42, v46, v42
	v_add_f32_e32 v43, v47, v43
	v_add_f32_e32 v22, 0, v22
	s_waitcnt vmcnt(0) lgkmcnt(0)
	v_mul_f32_e32 v40, v39, v81
	v_mul_f32_e32 v41, v39, v80
	;; [unrolled: 1-line block ×4, first 2 shown]
	v_add_f32_e32 v23, 0, v23
	v_add_f32_e32 v22, v22, v24
	v_fma_f32 v40, v38, v80, -v40
	v_fmac_f32_e32 v41, v38, v81
	v_fma_f32 v46, v38, v82, -v46
	v_fmac_f32_e32 v47, v38, v83
	v_add_f32_e32 v42, v42, v44
	v_add_f32_e32 v43, v43, v45
	;; [unrolled: 1-line block ×6, first 2 shown]
	ds_read_b128 v[34:37], v137 offset:384
	ds_read_b128 v[22:25], v137 offset:400
	ds_write2_b64 v141, v[40:41], v[46:47] offset1:67
	v_mul_f32_e32 v40, v39, v85
	v_mul_f32_e32 v41, v39, v84
	;; [unrolled: 1-line block ×4, first 2 shown]
	v_fma_f32 v40, v38, v84, -v40
	v_fmac_f32_e32 v41, v38, v85
	v_fma_f32 v46, v38, v86, -v46
	v_fmac_f32_e32 v47, v39, v86
	ds_write2_b64 v141, v[40:41], v[46:47] offset0:134 offset1:201
	s_waitcnt lgkmcnt(0)
	s_barrier
	ds_read2_b64 v[38:41], v132 offset1:1
	v_add_f32_e32 v19, v48, v19
	v_add_f32_e32 v46, v18, v20
	;; [unrolled: 1-line block ×3, first 2 shown]
	ds_read2_b64 v[18:21], v132 offset0:2 offset1:3
	s_waitcnt lgkmcnt(1)
	v_add_f32_e32 v38, 0, v38
	v_add_f32_e32 v39, 0, v39
	v_cmp_gt_i32_e32 vcc, s22, v0
	v_add_f32_e32 v38, v38, v40
	v_add_f32_e32 v39, v39, v41
	s_or_b64 s[4:5], s[14:15], vcc
	s_waitcnt lgkmcnt(0)
	v_add_f32_e32 v18, v38, v18
	v_add_f32_e32 v19, v39, v19
	s_and_b64 s[8:9], s[2:3], s[4:5]
	v_add_f32_e32 v18, v18, v20
	v_add_f32_e32 v19, v19, v21
	s_barrier
	ds_write2_b64 v138, v[46:47], v[44:45] offset1:16
	ds_write2_b64 v138, v[42:43], v[18:19] offset0:32 offset1:48
	s_waitcnt lgkmcnt(0)
	s_barrier
	s_and_saveexec_b64 s[4:5], s[8:9]
	s_cbranch_execz .LBB115_152
; %bb.151:                              ;   in Loop: Header=BB115_102 Depth=1
	ds_read_b64 v[42:43], v133
	ds_read2_b64 v[18:21], v133 offset0:1 offset1:2
	ds_read2_b64 v[38:41], v133 offset0:3 offset1:4
	v_ashrrev_i32_e32 v54, 31, v53
	s_waitcnt lgkmcnt(1)
	v_add_f32_e32 v18, v18, v42
	v_add_f32_e32 v19, v19, v43
	;; [unrolled: 1-line block ×4, first 2 shown]
	ds_read2_b64 v[18:21], v133 offset0:5 offset1:6
	s_waitcnt lgkmcnt(1)
	v_add_f32_e32 v38, v42, v38
	v_add_f32_e32 v39, v43, v39
	;; [unrolled: 1-line block ×4, first 2 shown]
	s_waitcnt lgkmcnt(0)
	v_add_f32_e32 v18, v38, v18
	ds_read2_b64 v[38:41], v133 offset0:7 offset1:8
	v_add_f32_e32 v19, v42, v19
	v_add_f32_e32 v42, v18, v20
	;; [unrolled: 1-line block ×3, first 2 shown]
	ds_read2_b64 v[18:21], v133 offset0:9 offset1:10
	s_waitcnt lgkmcnt(1)
	v_add_f32_e32 v38, v42, v38
	v_add_f32_e32 v39, v43, v39
	v_add_f32_e32 v38, v38, v40
	v_add_f32_e32 v42, v39, v41
	s_waitcnt lgkmcnt(0)
	v_add_f32_e32 v18, v38, v18
	ds_read2_b64 v[38:41], v133 offset0:11 offset1:12
	v_add_f32_e32 v19, v42, v19
	v_add_f32_e32 v42, v18, v20
	;; [unrolled: 1-line block ×3, first 2 shown]
	ds_read2_b64 v[18:21], v133 offset0:13 offset1:14
	s_waitcnt lgkmcnt(1)
	v_add_f32_e32 v38, v42, v38
	v_add_f32_e32 v39, v43, v39
	;; [unrolled: 1-line block ×4, first 2 shown]
	ds_read_b64 v[38:39], v134
	s_waitcnt lgkmcnt(1)
	v_add_f32_e32 v18, v40, v18
	v_add_f32_e32 v19, v41, v19
	;; [unrolled: 1-line block ×4, first 2 shown]
	v_lshlrev_b64 v[20:21], 3, v[53:54]
	s_waitcnt lgkmcnt(0)
	v_add_f32_e32 v18, v18, v38
	v_mov_b32_e32 v38, s17
	v_add_co_u32_e32 v20, vcc, s7, v20
	v_add_f32_e32 v19, v19, v39
	v_addc_co_u32_e32 v21, vcc, v38, v21, vcc
	global_store_dwordx2 v[20:21], v[18:19], off
.LBB115_152:                            ;   in Loop: Header=BB115_102 Depth=1
	s_or_b64 exec, exec, s[4:5]
	v_mul_f32_e32 v18, v7, v57
	v_fma_f32 v18, v6, v56, -v18
	v_mul_f32_e32 v19, v9, v59
	v_mul_f32_e32 v7, v7, v56
	v_add_f32_e32 v18, v51, v18
	v_fma_f32 v19, v8, v58, -v19
	v_mul_f32_e32 v9, v9, v58
	v_add_f32_e32 v18, v18, v19
	v_mul_f32_e32 v19, v3, v61
	v_fmac_f32_e32 v7, v6, v57
	v_fma_f32 v19, v2, v60, -v19
	v_mul_f32_e32 v3, v3, v60
	v_add_f32_e32 v6, v52, v7
	v_fmac_f32_e32 v9, v8, v59
	v_add_f32_e32 v18, v18, v19
	v_mul_f32_e32 v19, v5, v63
	v_mul_f32_e32 v5, v5, v62
	v_add_f32_e32 v6, v6, v9
	v_fmac_f32_e32 v3, v2, v61
	v_fma_f32 v19, v4, v62, -v19
	v_add_f32_e32 v2, v6, v3
	v_fmac_f32_e32 v5, v4, v63
	v_mul_f32_e32 v3, v15, v65
	v_add_f32_e32 v18, v18, v19
	v_add_f32_e32 v2, v2, v5
	v_fma_f32 v3, v14, v64, -v3
	v_mul_f32_e32 v5, v17, v67
	v_add_f32_e32 v3, v18, v3
	v_fma_f32 v5, v16, v66, -v5
	v_mul_f32_e32 v4, v15, v64
	v_add_f32_e32 v3, v3, v5
	v_mul_f32_e32 v5, v11, v69
	v_mul_f32_e32 v6, v17, v66
	v_fma_f32 v5, v10, v68, -v5
	v_fmac_f32_e32 v4, v14, v65
	v_mul_f32_e32 v7, v11, v68
	v_add_f32_e32 v3, v3, v5
	v_mul_f32_e32 v5, v13, v71
	v_add_f32_e32 v2, v2, v4
	v_fmac_f32_e32 v6, v16, v67
	v_fma_f32 v5, v12, v70, -v5
	v_mul_f32_e32 v8, v13, v70
	v_add_f32_e32 v2, v2, v6
	v_fmac_f32_e32 v7, v10, v69
	v_add_f32_e32 v3, v3, v5
	v_add_f32_e32 v2, v2, v7
	v_fmac_f32_e32 v8, v12, v71
	v_mul_f32_e32 v5, v31, v72
	v_add_f32_e32 v2, v2, v8
	v_mul_f32_e32 v6, v33, v74
	v_fmac_f32_e32 v5, v30, v73
	v_mul_f32_e32 v7, v27, v76
	v_add_f32_e32 v2, v2, v5
	v_fmac_f32_e32 v6, v32, v75
	v_mul_f32_e32 v8, v29, v78
	v_add_f32_e32 v2, v2, v6
	v_fmac_f32_e32 v7, v26, v77
	v_add_f32_e32 v2, v2, v7
	v_fmac_f32_e32 v8, v28, v79
	v_mul_f32_e32 v5, v35, v80
	v_add_f32_e32 v2, v2, v8
	v_mul_f32_e32 v6, v37, v82
	v_fmac_f32_e32 v5, v34, v81
	v_mul_f32_e32 v7, v23, v84
	v_fmac_f32_e32 v6, v36, v83
	v_add_f32_e32 v2, v2, v5
	v_mul_f32_e32 v8, v25, v86
	v_fmac_f32_e32 v7, v22, v85
	v_add_f32_e32 v2, v2, v6
	v_fmac_f32_e32 v8, v24, v87
	v_add_f32_e32 v2, v2, v7
	v_add_f32_e32 v52, v2, v8
	v_mov_b32_e32 v2, s13
	v_add_co_u32_e32 v94, vcc, s12, v94
	v_addc_co_u32_e32 v95, vcc, v95, v2, vcc
	v_add_co_u32_e32 v96, vcc, s12, v96
	v_addc_co_u32_e32 v97, vcc, v97, v2, vcc
	;; [unrolled: 2-line block ×11, first 2 shown]
	v_add_co_u32_e32 v116, vcc, s12, v116
	v_mul_f32_e32 v4, v31, v73
	v_addc_co_u32_e32 v117, vcc, v117, v2, vcc
	v_fma_f32 v4, v30, v72, -v4
	v_add_co_u32_e32 v118, vcc, s12, v118
	v_add_f32_e32 v3, v3, v4
	v_mul_f32_e32 v4, v33, v75
	v_addc_co_u32_e32 v119, vcc, v119, v2, vcc
	v_fma_f32 v4, v32, v74, -v4
	v_add_co_u32_e32 v120, vcc, s12, v120
	v_add_f32_e32 v3, v3, v4
	;; [unrolled: 5-line block ×7, first 2 shown]
	v_mul_f32_e32 v4, v25, v87
	v_addc_co_u32_e32 v129, vcc, v129, v2, vcc
	v_fma_f32 v4, v24, v86, -v4
	s_add_i32 s4, s6, 1
	s_add_i32 s10, s10, s25
	s_add_i32 s5, s6, 2
	v_add_co_u32_e32 v130, vcc, s12, v130
	v_add_f32_e32 v51, v3, v4
	v_add_u32_e32 v53, 64, v53
	s_cmp_ge_u32 s5, s33
	v_addc_co_u32_e32 v131, vcc, v131, v2, vcc
	s_waitcnt vmcnt(0)
	s_barrier
	s_cbranch_scc1 .LBB115_154
; %bb.153:                              ;   in Loop: Header=BB115_102 Depth=1
	s_mov_b32 s6, s4
	s_cmp_eq_u32 s24, s6
	s_cselect_b32 s22, s38, 0
	s_and_saveexec_b64 s[4:5], s[0:1]
	s_cbranch_execnz .LBB115_98
	s_branch .LBB115_102
.LBB115_154:
	s_movk_i32 s2, 0x218
	v_cmp_gt_i32_e32 vcc, s16, v0
	v_mad_u32_u24 v1, v1, s2, v88
	s_or_b64 s[2:3], s[20:21], vcc
	s_and_b64 s[0:1], s[0:1], s[2:3]
	ds_write_b64 v1, v[51:52]
	s_waitcnt lgkmcnt(0)
	s_barrier
	s_and_saveexec_b64 s[2:3], s[0:1]
	s_cbranch_execz .LBB115_156
; %bb.155:
	ds_read2_b64 v[0:3], v88 offset1:67
	ds_read2_b64 v[4:7], v88 offset0:134 offset1:201
	v_ashrrev_i32_e32 v51, 31, v50
	s_waitcnt lgkmcnt(1)
	v_add_f32_e32 v0, v2, v0
	v_add_f32_e32 v1, v3, v1
	v_lshlrev_b64 v[2:3], 3, v[50:51]
	s_waitcnt lgkmcnt(0)
	v_add_f32_e32 v0, v4, v0
	v_add_f32_e32 v1, v5, v1
	v_mov_b32_e32 v4, s17
	v_add_co_u32_e32 v2, vcc, s7, v2
	v_add_f32_e32 v0, v0, v6
	v_add_f32_e32 v1, v1, v7
	v_addc_co_u32_e32 v3, vcc, v4, v3, vcc
	global_store_dwordx2 v[2:3], v[0:1], off
.LBB115_156:
	s_endpgm
	.section	.rodata,"a",@progbits
	.p2align	6, 0x0
	.amdhsa_kernel _ZL26rocblas_hemvn_kernel_upperILb0ELi64ELi4ELi33ELi32ELi16EiPK19rocblas_complex_numIfES3_PS1_EviT6_lT7_lT5_lS6_lS7_lS5_lT8_i
		.amdhsa_group_segment_fixed_size 9600
		.amdhsa_private_segment_fixed_size 0
		.amdhsa_kernarg_size 376
		.amdhsa_user_sgpr_count 6
		.amdhsa_user_sgpr_private_segment_buffer 1
		.amdhsa_user_sgpr_dispatch_ptr 0
		.amdhsa_user_sgpr_queue_ptr 0
		.amdhsa_user_sgpr_kernarg_segment_ptr 1
		.amdhsa_user_sgpr_dispatch_id 0
		.amdhsa_user_sgpr_flat_scratch_init 0
		.amdhsa_user_sgpr_private_segment_size 0
		.amdhsa_uses_dynamic_stack 0
		.amdhsa_system_sgpr_private_segment_wavefront_offset 0
		.amdhsa_system_sgpr_workgroup_id_x 1
		.amdhsa_system_sgpr_workgroup_id_y 0
		.amdhsa_system_sgpr_workgroup_id_z 1
		.amdhsa_system_sgpr_workgroup_info 0
		.amdhsa_system_vgpr_workitem_id 1
		.amdhsa_next_free_vgpr 157
		.amdhsa_next_free_sgpr 93
		.amdhsa_reserve_vcc 1
		.amdhsa_reserve_flat_scratch 0
		.amdhsa_float_round_mode_32 0
		.amdhsa_float_round_mode_16_64 0
		.amdhsa_float_denorm_mode_32 3
		.amdhsa_float_denorm_mode_16_64 3
		.amdhsa_dx10_clamp 1
		.amdhsa_ieee_mode 1
		.amdhsa_fp16_overflow 0
		.amdhsa_exception_fp_ieee_invalid_op 0
		.amdhsa_exception_fp_denorm_src 0
		.amdhsa_exception_fp_ieee_div_zero 0
		.amdhsa_exception_fp_ieee_overflow 0
		.amdhsa_exception_fp_ieee_underflow 0
		.amdhsa_exception_fp_ieee_inexact 0
		.amdhsa_exception_int_div_zero 0
	.end_amdhsa_kernel
	.section	.text._ZL26rocblas_hemvn_kernel_upperILb0ELi64ELi4ELi33ELi32ELi16EiPK19rocblas_complex_numIfES3_PS1_EviT6_lT7_lT5_lS6_lS7_lS5_lT8_i,"axG",@progbits,_ZL26rocblas_hemvn_kernel_upperILb0ELi64ELi4ELi33ELi32ELi16EiPK19rocblas_complex_numIfES3_PS1_EviT6_lT7_lT5_lS6_lS7_lS5_lT8_i,comdat
.Lfunc_end115:
	.size	_ZL26rocblas_hemvn_kernel_upperILb0ELi64ELi4ELi33ELi32ELi16EiPK19rocblas_complex_numIfES3_PS1_EviT6_lT7_lT5_lS6_lS7_lS5_lT8_i, .Lfunc_end115-_ZL26rocblas_hemvn_kernel_upperILb0ELi64ELi4ELi33ELi32ELi16EiPK19rocblas_complex_numIfES3_PS1_EviT6_lT7_lT5_lS6_lS7_lS5_lT8_i
                                        ; -- End function
	.set _ZL26rocblas_hemvn_kernel_upperILb0ELi64ELi4ELi33ELi32ELi16EiPK19rocblas_complex_numIfES3_PS1_EviT6_lT7_lT5_lS6_lS7_lS5_lT8_i.num_vgpr, 157
	.set _ZL26rocblas_hemvn_kernel_upperILb0ELi64ELi4ELi33ELi32ELi16EiPK19rocblas_complex_numIfES3_PS1_EviT6_lT7_lT5_lS6_lS7_lS5_lT8_i.num_agpr, 0
	.set _ZL26rocblas_hemvn_kernel_upperILb0ELi64ELi4ELi33ELi32ELi16EiPK19rocblas_complex_numIfES3_PS1_EviT6_lT7_lT5_lS6_lS7_lS5_lT8_i.numbered_sgpr, 44
	.set _ZL26rocblas_hemvn_kernel_upperILb0ELi64ELi4ELi33ELi32ELi16EiPK19rocblas_complex_numIfES3_PS1_EviT6_lT7_lT5_lS6_lS7_lS5_lT8_i.num_named_barrier, 0
	.set _ZL26rocblas_hemvn_kernel_upperILb0ELi64ELi4ELi33ELi32ELi16EiPK19rocblas_complex_numIfES3_PS1_EviT6_lT7_lT5_lS6_lS7_lS5_lT8_i.private_seg_size, 0
	.set _ZL26rocblas_hemvn_kernel_upperILb0ELi64ELi4ELi33ELi32ELi16EiPK19rocblas_complex_numIfES3_PS1_EviT6_lT7_lT5_lS6_lS7_lS5_lT8_i.uses_vcc, 1
	.set _ZL26rocblas_hemvn_kernel_upperILb0ELi64ELi4ELi33ELi32ELi16EiPK19rocblas_complex_numIfES3_PS1_EviT6_lT7_lT5_lS6_lS7_lS5_lT8_i.uses_flat_scratch, 0
	.set _ZL26rocblas_hemvn_kernel_upperILb0ELi64ELi4ELi33ELi32ELi16EiPK19rocblas_complex_numIfES3_PS1_EviT6_lT7_lT5_lS6_lS7_lS5_lT8_i.has_dyn_sized_stack, 0
	.set _ZL26rocblas_hemvn_kernel_upperILb0ELi64ELi4ELi33ELi32ELi16EiPK19rocblas_complex_numIfES3_PS1_EviT6_lT7_lT5_lS6_lS7_lS5_lT8_i.has_recursion, 0
	.set _ZL26rocblas_hemvn_kernel_upperILb0ELi64ELi4ELi33ELi32ELi16EiPK19rocblas_complex_numIfES3_PS1_EviT6_lT7_lT5_lS6_lS7_lS5_lT8_i.has_indirect_call, 0
	.section	.AMDGPU.csdata,"",@progbits
; Kernel info:
; codeLenInByte = 8364
; TotalNumSgprs: 48
; NumVgprs: 157
; ScratchSize: 0
; MemoryBound: 1
; FloatMode: 240
; IeeeMode: 1
; LDSByteSize: 9600 bytes/workgroup (compile time only)
; SGPRBlocks: 12
; VGPRBlocks: 39
; NumSGPRsForWavesPerEU: 97
; NumVGPRsForWavesPerEU: 157
; Occupancy: 1
; WaveLimiterHint : 1
; COMPUTE_PGM_RSRC2:SCRATCH_EN: 0
; COMPUTE_PGM_RSRC2:USER_SGPR: 6
; COMPUTE_PGM_RSRC2:TRAP_HANDLER: 0
; COMPUTE_PGM_RSRC2:TGID_X_EN: 1
; COMPUTE_PGM_RSRC2:TGID_Y_EN: 0
; COMPUTE_PGM_RSRC2:TGID_Z_EN: 1
; COMPUTE_PGM_RSRC2:TIDIG_COMP_CNT: 1
	.section	.text._ZL26rocblas_hemvn_kernel_upperILb0ELi64ELi4ELi33ELi32ELi16El19rocblas_complex_numIfEPKS1_PS1_EviT6_lT7_lT5_lS6_lS7_lS5_lT8_i,"axG",@progbits,_ZL26rocblas_hemvn_kernel_upperILb0ELi64ELi4ELi33ELi32ELi16El19rocblas_complex_numIfEPKS1_PS1_EviT6_lT7_lT5_lS6_lS7_lS5_lT8_i,comdat
	.globl	_ZL26rocblas_hemvn_kernel_upperILb0ELi64ELi4ELi33ELi32ELi16El19rocblas_complex_numIfEPKS1_PS1_EviT6_lT7_lT5_lS6_lS7_lS5_lT8_i ; -- Begin function _ZL26rocblas_hemvn_kernel_upperILb0ELi64ELi4ELi33ELi32ELi16El19rocblas_complex_numIfEPKS1_PS1_EviT6_lT7_lT5_lS6_lS7_lS5_lT8_i
	.p2align	8
	.type	_ZL26rocblas_hemvn_kernel_upperILb0ELi64ELi4ELi33ELi32ELi16El19rocblas_complex_numIfEPKS1_PS1_EviT6_lT7_lT5_lS6_lS7_lS5_lT8_i,@function
_ZL26rocblas_hemvn_kernel_upperILb0ELi64ELi4ELi33ELi32ELi16El19rocblas_complex_numIfEPKS1_PS1_EviT6_lT7_lT5_lS6_lS7_lS5_lT8_i: ; @_ZL26rocblas_hemvn_kernel_upperILb0ELi64ELi4ELi33ELi32ELi16El19rocblas_complex_numIfEPKS1_PS1_EviT6_lT7_lT5_lS6_lS7_lS5_lT8_i
; %bb.0:
	s_load_dwordx2 s[2:3], s[4:5], 0x84
	s_add_u32 s0, s4, 0x78
	s_addc_u32 s1, s5, 0
	s_waitcnt lgkmcnt(0)
	s_lshr_b32 s8, s2, 16
	s_and_b32 s2, s2, 0xffff
	s_and_b32 s3, s3, 0xffff
	s_mul_i32 s2, s8, s2
	s_mul_i32 s2, s2, s3
	s_cmpk_lg_i32 s2, 0x100
	s_cbranch_scc1 .LBB116_156
; %bb.1:
	s_load_dwordx2 s[2:3], s[4:5], 0x4
	s_mov_b64 s[8:9], -1
	s_waitcnt lgkmcnt(0)
	s_or_b32 s2, s2, s3
	s_bitset0_b32 s2, 31
	s_cmp_lg_u32 s2, 0
	s_cselect_b64 s[2:3], -1, 0
	s_and_b64 vcc, exec, s[2:3]
	s_cbranch_vccnz .LBB116_3
; %bb.2:
	s_load_dwordx2 s[8:9], s[4:5], 0x58
	s_waitcnt lgkmcnt(0)
	v_cmp_neq_f32_e64 s[10:11], s8, 1.0
	v_cmp_neq_f32_e64 s[8:9], s9, 0
	s_or_b64 s[8:9], s[10:11], s[8:9]
.LBB116_3:
	s_andn2_b64 vcc, exec, s[8:9]
	s_cbranch_vccnz .LBB116_156
; %bb.4:
	s_andn2_b64 vcc, exec, s[2:3]
	s_cbranch_vccnz .LBB116_156
; %bb.5:
	s_load_dwordx16 s[16:31], s[4:5], 0x18
	s_load_dword s33, s[0:1], 0x0
	s_load_dword s37, s[4:5], 0x0
	s_waitcnt lgkmcnt(0)
	s_mul_i32 s1, s31, s7
	s_mul_hi_u32 s2, s30, s7
	s_mul_i32 s0, s30, s7
	s_add_i32 s1, s2, s1
	s_lshl_b64 s[0:1], s[0:1], 3
	s_add_u32 s2, s24, s0
	s_addc_u32 s3, s25, s1
	s_lshl_b64 s[0:1], s[26:27], 3
	s_add_u32 s2, s2, s0
	s_addc_u32 s3, s3, s1
	s_lshl_b32 s26, s6, 6
	s_ashr_i32 s38, s37, 31
	s_lshr_b32 s0, s38, 26
	v_add_u32_e32 v50, s26, v0
	s_add_i32 s0, s37, s0
	v_ashrrev_i32_e32 v51, 31, v50
	s_and_b32 s9, s0, 0xffffffc0
	v_mul_lo_u32 v4, s28, v51
	v_mul_lo_u32 v5, s29, v50
	v_mad_u64_u32 v[2:3], s[0:1], s28, v50, 0
	s_add_i32 s8, s33, -1
	s_sub_i32 s36, s37, s9
	v_add3_u32 v3, v3, v4, v5
	v_lshlrev_b64 v[2:3], 3, v[2:3]
	s_cmp_eq_u32 s6, s8
	v_mov_b32_e32 v4, s3
	v_add_co_u32_e32 v16, vcc, s2, v2
	s_cselect_b32 s24, s36, 0
	v_addc_co_u32_e32 v17, vcc, v4, v3, vcc
	v_cmp_eq_u32_e64 s[0:1], 0, v1
	s_and_saveexec_b64 s[2:3], s[0:1]
	s_cbranch_execz .LBB116_10
; %bb.6:
	s_cmp_lg_u32 s24, 0
	s_cselect_b64 s[8:9], -1, 0
	v_cmp_le_i32_e32 vcc, s24, v0
	v_mov_b32_e32 v2, 0x2380
	s_and_b64 s[8:9], s[8:9], vcc
	v_lshl_add_u32 v2, v0, 3, v2
	s_and_saveexec_b64 s[10:11], s[8:9]
	s_xor_b64 s[8:9], exec, s[10:11]
; %bb.7:
	v_mov_b32_e32 v3, 0
	v_mov_b32_e32 v4, v3
	ds_write_b64 v2, v[3:4]
                                        ; implicit-def: $vgpr2
; %bb.8:
	s_andn2_saveexec_b64 s[8:9], s[8:9]
	s_cbranch_execz .LBB116_10
; %bb.9:
	global_load_dwordx2 v[3:4], v[16:17], off
	s_waitcnt vmcnt(0)
	ds_write_b64 v2, v[3:4]
.LBB116_10:
	s_or_b64 exec, exec, s[2:3]
	v_lshl_add_u32 v24, v1, 6, v0
	s_mul_i32 s2, s23, s7
	s_mul_hi_u32 s3, s22, s7
	v_and_b32_e32 v2, 31, v0
	v_lshrrev_b32_e32 v9, 5, v24
	s_add_i32 s3, s3, s2
	s_mul_i32 s2, s22, s7
	v_mov_b32_e32 v3, 0
	s_lshl_b64 s[2:3], s[2:3], 3
	v_mad_u64_u32 v[3:4], s[8:9], s20, v9, v[2:3]
	s_add_u32 s10, s16, s2
	s_addc_u32 s11, s17, s3
	s_lshl_b64 s[2:3], s[18:19], 3
	s_add_u32 s8, s10, s2
	s_addc_u32 s9, s11, s3
	v_mad_u64_u32 v[4:5], s[2:3], s21, v9, v[4:5]
	s_ashr_i32 s27, s26, 31
	s_lshl_b64 s[2:3], s[26:27], 3
	s_add_u32 s2, s8, s2
	v_lshlrev_b64 v[14:15], 3, v[3:4]
	s_addc_u32 s3, s9, s3
	v_mov_b32_e32 v3, s3
	v_add_co_u32_e32 v4, vcc, s2, v14
	s_mul_hi_u32 s2, s20, s26
	s_mul_i32 s3, s20, s27
	s_add_i32 s2, s2, s3
	s_mul_i32 s3, s21, s26
	s_add_i32 s3, s2, s3
	s_mul_i32 s2, s20, s26
	s_lshl_b64 s[2:3], s[2:3], 3
	v_addc_co_u32_e32 v3, vcc, v3, v15, vcc
	s_cmp_eq_u32 s24, 0
	v_mov_b32_e32 v6, s3
	v_add_co_u32_e32 v5, vcc, s2, v4
	s_cselect_b64 s[18:19], -1, 0
	s_cmp_lg_u32 s24, 0
	v_addc_co_u32_e32 v6, vcc, v3, v6, vcc
	s_cselect_b64 s[22:23], -1, 0
	s_and_b64 vcc, exec, s[22:23]
	v_cmp_gt_i32_e64 s[2:3], s24, v2
	v_lshlrev_b32_e32 v11, 3, v2
	v_lshlrev_b32_e32 v10, 3, v2
	s_cbranch_vccz .LBB116_28
; %bb.11:
	v_sub_co_u32_e32 v3, vcc, v5, v11
	s_ashr_i32 s25, s24, 31
	v_subbrev_co_u32_e32 v4, vcc, 0, v6, vcc
	s_lshl_b64 s[8:9], s[24:25], 3
	v_mov_b32_e32 v7, s9
	v_add_co_u32_e32 v3, vcc, s8, v3
	v_addc_co_u32_e32 v4, vcc, v4, v7, vcc
	v_add_co_u32_e32 v3, vcc, -8, v3
	v_addc_co_u32_e32 v4, vcc, -1, v4, vcc
	v_mul_u32_u24_e32 v7, 0x108, v9
	v_cndmask_b32_e64 v4, v4, v6, s[2:3]
	v_cndmask_b32_e64 v3, v3, v5, s[2:3]
	v_cmp_le_i32_e32 vcc, s24, v9
	v_add_u32_e32 v7, v10, v7
	s_and_saveexec_b64 s[10:11], vcc
	s_xor_b64 s[10:11], exec, s[10:11]
; %bb.12:
	v_mov_b32_e32 v12, 0
	v_mov_b32_e32 v13, v12
	ds_write_b64 v7, v[12:13]
; %bb.13:
	s_andn2_saveexec_b64 s[10:11], s[10:11]
	s_cbranch_execz .LBB116_15
; %bb.14:
	global_load_dwordx2 v[12:13], v[3:4], off
	s_waitcnt vmcnt(0)
	ds_write_b64 v7, v[12:13]
.LBB116_15:
	s_or_b64 exec, exec, s[10:11]
	v_add_u32_e32 v8, 8, v9
	v_cmp_le_i32_e32 vcc, s24, v8
	s_and_saveexec_b64 s[10:11], vcc
	s_xor_b64 s[10:11], exec, s[10:11]
; %bb.16:
	v_mov_b32_e32 v12, 0
	v_mov_b32_e32 v13, v12
	ds_write_b64 v7, v[12:13] offset:2112
; %bb.17:
	s_andn2_saveexec_b64 s[10:11], s[10:11]
	s_cbranch_execz .LBB116_19
; %bb.18:
	s_lshl_b64 s[12:13], s[20:21], 6
	v_mov_b32_e32 v8, s13
	v_add_co_u32_e32 v12, vcc, s12, v3
	v_addc_co_u32_e32 v13, vcc, v4, v8, vcc
	global_load_dwordx2 v[12:13], v[12:13], off
	s_waitcnt vmcnt(0)
	ds_write_b64 v7, v[12:13] offset:2112
.LBB116_19:
	s_or_b64 exec, exec, s[10:11]
	v_add_u32_e32 v8, 16, v9
	v_cmp_le_i32_e32 vcc, s24, v8
	s_and_saveexec_b64 s[10:11], vcc
	s_xor_b64 s[10:11], exec, s[10:11]
; %bb.20:
	v_mov_b32_e32 v12, 0
	v_mov_b32_e32 v13, v12
	ds_write_b64 v7, v[12:13] offset:4224
; %bb.21:
	s_andn2_saveexec_b64 s[10:11], s[10:11]
	s_cbranch_execz .LBB116_23
; %bb.22:
	s_lshl_b64 s[12:13], s[20:21], 7
	v_mov_b32_e32 v8, s13
	v_add_co_u32_e32 v12, vcc, s12, v3
	v_addc_co_u32_e32 v13, vcc, v4, v8, vcc
	global_load_dwordx2 v[12:13], v[12:13], off
	s_waitcnt vmcnt(0)
	ds_write_b64 v7, v[12:13] offset:4224
.LBB116_23:
	s_or_b64 exec, exec, s[10:11]
	v_add_u32_e32 v8, 24, v9
	v_cmp_le_i32_e32 vcc, s24, v8
	s_and_saveexec_b64 s[10:11], vcc
	s_xor_b64 s[10:11], exec, s[10:11]
; %bb.24:
	v_mov_b32_e32 v12, 0
	v_mov_b32_e32 v13, v12
	ds_write_b64 v7, v[12:13] offset:6336
                                        ; implicit-def: $vgpr7
; %bb.25:
	s_andn2_saveexec_b64 s[10:11], s[10:11]
	s_cbranch_execz .LBB116_27
; %bb.26:
	v_mov_b32_e32 v8, 0xc0
	v_mad_u64_u32 v[12:13], s[12:13], s20, v8, v[3:4]
	s_mul_i32 s12, s21, 0xc0
	v_add_u32_e32 v13, s12, v13
	global_load_dwordx2 v[12:13], v[12:13], off
	s_waitcnt vmcnt(0)
	ds_write_b64 v7, v[12:13] offset:6336
.LBB116_27:
	s_or_b64 exec, exec, s[10:11]
	v_add_co_u32_e32 v3, vcc, v3, v11
	v_addc_co_u32_e32 v4, vcc, 0, v4, vcc
	v_mov_b32_e32 v7, s9
	v_subrev_co_u32_e32 v3, vcc, s8, v3
	v_subb_co_u32_e32 v4, vcc, v4, v7, vcc
	v_add_co_u32_e32 v3, vcc, 8, v3
	v_addc_co_u32_e32 v4, vcc, 0, v4, vcc
	v_cndmask_b32_e64 v4, v4, v6, s[2:3]
	v_cndmask_b32_e64 v3, v3, v5, s[2:3]
	s_branch .LBB116_30
.LBB116_28:
                                        ; implicit-def: $vgpr3_vgpr4
	s_cbranch_execz .LBB116_30
; %bb.29:
	s_lshl_b64 s[2:3], s[20:21], 6
	v_mov_b32_e32 v13, s3
	v_add_co_u32_e32 v3, vcc, s2, v5
	v_addc_co_u32_e32 v4, vcc, v6, v13, vcc
	v_add_co_u32_e32 v7, vcc, s2, v3
	v_addc_co_u32_e32 v8, vcc, v4, v13, vcc
	;; [unrolled: 2-line block ×3, first 2 shown]
	global_load_dwordx2 v[18:19], v[5:6], off
	global_load_dwordx2 v[20:21], v[3:4], off
	;; [unrolled: 1-line block ×4, first 2 shown]
	v_mul_u32_u24_e32 v3, 0x108, v9
	v_lshl_add_u32 v3, v2, 3, v3
	s_waitcnt vmcnt(3)
	ds_write_b64 v3, v[18:19]
	s_waitcnt vmcnt(2)
	ds_write_b64 v3, v[20:21] offset:2112
	s_waitcnt vmcnt(1)
	ds_write_b64 v3, v[22:23] offset:4224
	;; [unrolled: 2-line block ×3, first 2 shown]
	v_mov_b32_e32 v3, v5
	v_mov_b32_e32 v4, v6
.LBB116_30:
	v_lshlrev_b32_e32 v18, 2, v9
	v_lshl_or_b32 v5, v2, 8, v10
	v_cmp_gt_u32_e64 s[16:17], v18, v2
	v_lshl_add_u32 v5, v18, 3, v5
	s_waitcnt lgkmcnt(0)
	s_barrier
	s_and_saveexec_b64 s[2:3], s[16:17]
	s_cbranch_execz .LBB116_32
; %bb.31:
	s_movk_i32 s8, 0x420
	v_mad_u32_u24 v6, v9, s8, v10
	ds_read_b64 v[6:7], v6
	s_waitcnt lgkmcnt(0)
	ds_write_b64 v5, v[6:7]
.LBB116_32:
	s_or_b64 exec, exec, s[2:3]
	v_or_b32_e32 v13, 1, v18
	v_cmp_ge_u32_e64 s[8:9], v18, v2
	s_and_saveexec_b64 s[2:3], s[8:9]
	s_cbranch_execz .LBB116_34
; %bb.33:
	s_movk_i32 s10, 0x108
	v_mad_u32_u24 v6, v13, s10, v10
	ds_read_b64 v[6:7], v6
	s_waitcnt lgkmcnt(0)
	ds_write_b64 v5, v[6:7] offset:8
.LBB116_34:
	s_or_b64 exec, exec, s[2:3]
	v_or_b32_e32 v6, 2, v18
	v_cmp_gt_u32_e64 s[10:11], v6, v2
	s_and_saveexec_b64 s[2:3], s[10:11]
	s_cbranch_execz .LBB116_36
; %bb.35:
	s_movk_i32 s12, 0x108
	v_mad_u32_u24 v6, v6, s12, v10
	ds_read_b64 v[6:7], v6
	s_waitcnt lgkmcnt(0)
	ds_write_b64 v5, v[6:7] offset:16
.LBB116_36:
	s_or_b64 exec, exec, s[2:3]
	v_or_b32_e32 v7, 3, v18
	v_cmp_gt_u32_e64 s[12:13], v7, v2
	v_cmp_le_u32_e32 vcc, v7, v2
                                        ; implicit-def: $vgpr6
	s_and_saveexec_b64 s[2:3], vcc
	s_xor_b64 s[2:3], exec, s[2:3]
; %bb.37:
	v_mul_u32_u24_e32 v6, 0x108, v7
                                        ; implicit-def: $vgpr7
                                        ; implicit-def: $vgpr5
; %bb.38:
	s_andn2_saveexec_b64 s[2:3], s[2:3]
	s_cbranch_execz .LBB116_40
; %bb.39:
	s_movk_i32 s14, 0x108
	v_mad_u32_u24 v6, v7, s14, v10
	ds_read_b64 v[19:20], v6
	v_mul_u32_u24_e32 v6, 0x108, v7
	s_waitcnt lgkmcnt(0)
	ds_write_b64 v5, v[19:20] offset:24
.LBB116_40:
	s_or_b64 exec, exec, s[2:3]
	s_movk_i32 s2, 0x420
	v_mad_u32_u24 v5, v9, s2, v10
	s_movk_i32 s2, 0x108
	v_mad_u32_u24 v12, v13, s2, v10
	s_waitcnt lgkmcnt(0)
	s_barrier
	v_lshlrev_b32_e32 v19, 3, v18
	ds_read_b64 v[7:8], v5
	ds_read_b128 v[20:23], v19 offset:9088
	ds_read_b128 v[25:28], v19 offset:9104
	ds_read2_b64 v[29:32], v12 offset1:33
	v_mov_b32_e32 v52, 0
	v_cmp_gt_u32_e64 s[2:3], 32, v24
	s_waitcnt lgkmcnt(2)
	v_mul_f32_e32 v5, v21, v8
	v_mul_f32_e32 v8, v20, v8
	v_fmac_f32_e32 v8, v21, v7
	s_waitcnt lgkmcnt(0)
	v_mul_f32_e32 v12, v22, v30
	v_fma_f32 v5, v20, v7, -v5
	v_add_f32_e32 v7, 0, v8
	v_mul_f32_e32 v8, v23, v30
	v_fmac_f32_e32 v12, v23, v29
	v_add_f32_e32 v5, 0, v5
	v_fma_f32 v8, v22, v29, -v8
	v_add_f32_e32 v7, v7, v12
	v_add_u32_e32 v12, v10, v6
	v_add_f32_e32 v8, v5, v8
	ds_read_b64 v[5:6], v12
	v_mul_f32_e32 v20, v26, v32
	v_fma_f32 v20, v25, v31, -v20
	v_mul_f32_e32 v21, v25, v32
	v_fmac_f32_e32 v21, v26, v31
	v_add_f32_e32 v8, v8, v20
	s_waitcnt lgkmcnt(0)
	v_mul_f32_e32 v20, v28, v6
	v_mul_f32_e32 v6, v27, v6
	v_add_f32_e32 v7, v7, v21
	v_fmac_f32_e32 v6, v28, v5
	v_add_f32_e32 v6, v7, v6
	v_mul_u32_u24_e32 v7, 33, v2
	v_fma_f32 v20, v27, v5, -v20
	v_lshlrev_b32_e32 v25, 3, v7
	v_add_f32_e32 v5, v8, v20
	v_lshl_add_u32 v26, v9, 3, v25
	v_mov_b32_e32 v53, 0
	s_barrier
	ds_write_b64 v26, v[5:6]
	s_waitcnt lgkmcnt(0)
	s_barrier
	s_and_saveexec_b64 s[14:15], s[2:3]
	s_cbranch_execz .LBB116_42
; %bb.41:
	ds_read2_b64 v[5:8], v25 offset1:7
	ds_read2_b64 v[20:23], v25 offset0:1 offset1:2
	ds_read2_b64 v[27:30], v25 offset0:3 offset1:4
	s_waitcnt lgkmcnt(1)
	v_add_f32_e32 v5, v20, v5
	v_add_f32_e32 v6, v21, v6
	;; [unrolled: 1-line block ×4, first 2 shown]
	ds_read2_b64 v[20:23], v25 offset0:5 offset1:6
	s_waitcnt lgkmcnt(1)
	v_add_f32_e32 v5, v5, v27
	v_add_f32_e32 v6, v6, v28
	;; [unrolled: 1-line block ×4, first 2 shown]
	s_waitcnt lgkmcnt(0)
	v_add_f32_e32 v5, v5, v20
	v_add_f32_e32 v6, v6, v21
	v_add_f32_e32 v5, v5, v22
	v_add_f32_e32 v6, v6, v23
	v_add_f32_e32 v52, v5, v7
	v_add_f32_e32 v53, v6, v8
.LBB116_42:
	s_or_b64 exec, exec, s[14:15]
	s_lshl_b64 s[14:15], s[20:21], 8
	v_mov_b32_e32 v5, s15
	v_add_co_u32_e32 v7, vcc, s14, v3
	v_addc_co_u32_e32 v8, vcc, v4, v5, vcc
	v_add_co_u32_e32 v5, vcc, 0x100, v7
	v_addc_co_u32_e32 v6, vcc, 0, v8, vcc
	s_and_b64 vcc, exec, s[22:23]
	s_barrier
	s_cbranch_vccz .LBB116_60
; %bb.43:
	v_sub_co_u32_e32 v4, vcc, v7, v11
	s_ashr_i32 s25, s24, 31
	v_subbrev_co_u32_e32 v20, vcc, 0, v8, vcc
	s_lshl_b64 s[30:31], s[24:25], 3
	v_mov_b32_e32 v21, s31
	v_add_co_u32_e32 v4, vcc, s30, v4
	v_addc_co_u32_e32 v20, vcc, v20, v21, vcc
	v_or_b32_e32 v3, 32, v2
	v_add_co_u32_e32 v21, vcc, -8, v4
	v_addc_co_u32_e32 v4, vcc, -1, v20, vcc
	v_cmp_gt_i32_e64 s[14:15], s24, v3
	s_sub_i32 s25, s24, 32
	v_mul_u32_u24_e32 v20, 0x108, v9
	v_cndmask_b32_e64 v4, v4, v6, s[14:15]
	v_cndmask_b32_e64 v3, v21, v5, s[14:15]
	v_cmp_le_i32_e32 vcc, s25, v9
	v_add_u32_e32 v20, v10, v20
	s_and_saveexec_b64 s[34:35], vcc
	s_xor_b64 s[34:35], exec, s[34:35]
; %bb.44:
	v_mov_b32_e32 v21, 0
	v_mov_b32_e32 v22, v21
	ds_write_b64 v20, v[21:22]
; %bb.45:
	s_andn2_saveexec_b64 s[34:35], s[34:35]
	s_cbranch_execz .LBB116_47
; %bb.46:
	global_load_dwordx2 v[21:22], v[3:4], off
	s_waitcnt vmcnt(0)
	ds_write_b64 v20, v[21:22]
.LBB116_47:
	s_or_b64 exec, exec, s[34:35]
	v_add_u32_e32 v21, 8, v9
	v_cmp_le_i32_e32 vcc, s25, v21
	s_and_saveexec_b64 s[34:35], vcc
	s_xor_b64 s[34:35], exec, s[34:35]
; %bb.48:
	v_mov_b32_e32 v21, 0
	v_mov_b32_e32 v22, v21
	ds_write_b64 v20, v[21:22] offset:2112
; %bb.49:
	s_andn2_saveexec_b64 s[34:35], s[34:35]
	s_cbranch_execz .LBB116_51
; %bb.50:
	s_lshl_b64 s[40:41], s[20:21], 6
	v_mov_b32_e32 v22, s41
	v_add_co_u32_e32 v21, vcc, s40, v3
	v_addc_co_u32_e32 v22, vcc, v4, v22, vcc
	global_load_dwordx2 v[21:22], v[21:22], off
	s_waitcnt vmcnt(0)
	ds_write_b64 v20, v[21:22] offset:2112
.LBB116_51:
	s_or_b64 exec, exec, s[34:35]
	v_add_u32_e32 v21, 16, v9
	v_cmp_le_i32_e32 vcc, s25, v21
	s_and_saveexec_b64 s[34:35], vcc
	s_xor_b64 s[34:35], exec, s[34:35]
; %bb.52:
	v_mov_b32_e32 v21, 0
	v_mov_b32_e32 v22, v21
	ds_write_b64 v20, v[21:22] offset:4224
; %bb.53:
	s_andn2_saveexec_b64 s[34:35], s[34:35]
	s_cbranch_execz .LBB116_55
; %bb.54:
	s_lshl_b64 s[40:41], s[20:21], 7
	v_mov_b32_e32 v22, s41
	v_add_co_u32_e32 v21, vcc, s40, v3
	v_addc_co_u32_e32 v22, vcc, v4, v22, vcc
	global_load_dwordx2 v[21:22], v[21:22], off
	s_waitcnt vmcnt(0)
	ds_write_b64 v20, v[21:22] offset:4224
.LBB116_55:
	s_or_b64 exec, exec, s[34:35]
	v_add_u32_e32 v21, 24, v9
	v_cmp_le_i32_e32 vcc, s25, v21
	s_and_saveexec_b64 s[34:35], vcc
	s_xor_b64 s[34:35], exec, s[34:35]
; %bb.56:
	v_mov_b32_e32 v21, 0
	v_mov_b32_e32 v22, v21
	ds_write_b64 v20, v[21:22] offset:6336
                                        ; implicit-def: $vgpr20
; %bb.57:
	s_andn2_saveexec_b64 s[34:35], s[34:35]
	s_cbranch_execz .LBB116_59
; %bb.58:
	v_mov_b32_e32 v21, 0xc0
	v_mad_u64_u32 v[21:22], s[40:41], s20, v21, v[3:4]
	s_mul_i32 s25, s21, 0xc0
	v_add_u32_e32 v22, s25, v22
	global_load_dwordx2 v[21:22], v[21:22], off
	s_waitcnt vmcnt(0)
	ds_write_b64 v20, v[21:22] offset:6336
.LBB116_59:
	s_or_b64 exec, exec, s[34:35]
	v_add_co_u32_e32 v3, vcc, v3, v11
	v_addc_co_u32_e32 v4, vcc, 0, v4, vcc
	v_mov_b32_e32 v20, s31
	v_subrev_co_u32_e32 v3, vcc, s30, v3
	v_subb_co_u32_e32 v4, vcc, v4, v20, vcc
	v_add_co_u32_e32 v3, vcc, 0x108, v3
	v_addc_co_u32_e32 v4, vcc, 0, v4, vcc
	v_cndmask_b32_e64 v4, v4, v6, s[14:15]
	v_cndmask_b32_e64 v3, v3, v5, s[14:15]
	v_mul_u32_u24_e32 v20, 0x420, v9
	s_branch .LBB116_62
.LBB116_60:
                                        ; implicit-def: $vgpr3_vgpr4
	v_mul_u32_u24_e32 v20, 0x420, v9
	s_cbranch_execz .LBB116_62
; %bb.61:
	s_lshl_b64 s[14:15], s[20:21], 6
	v_mov_b32_e32 v23, s15
	v_add_co_u32_e32 v3, vcc, s14, v7
	v_addc_co_u32_e32 v4, vcc, v8, v23, vcc
	v_add_co_u32_e32 v21, vcc, s14, v3
	v_addc_co_u32_e32 v22, vcc, v4, v23, vcc
	;; [unrolled: 2-line block ×3, first 2 shown]
	global_load_dwordx2 v[29:30], v[7:8], off offset:256
	global_load_dwordx2 v[31:32], v[3:4], off offset:256
	global_load_dwordx2 v[33:34], v[21:22], off offset:256
	global_load_dwordx2 v[35:36], v[27:28], off offset:256
	s_movk_i32 s14, 0x108
	v_mad_u32_u24 v3, v9, s14, v10
	s_waitcnt vmcnt(3)
	ds_write_b64 v3, v[29:30]
	s_waitcnt vmcnt(2)
	ds_write_b64 v3, v[31:32] offset:2112
	s_waitcnt vmcnt(1)
	ds_write_b64 v3, v[33:34] offset:4224
	;; [unrolled: 2-line block ×3, first 2 shown]
	v_mov_b32_e32 v3, v5
	v_mov_b32_e32 v4, v6
.LBB116_62:
	v_mul_u32_u24_e32 v6, 0x108, v13
	v_add_u32_e32 v13, v10, v20
	v_lshl_add_u32 v5, v18, 3, v25
	s_waitcnt lgkmcnt(0)
	s_barrier
	s_and_saveexec_b64 s[14:15], s[16:17]
	s_cbranch_execnz .LBB116_87
; %bb.63:
	s_or_b64 exec, exec, s[14:15]
	v_add_u32_e32 v27, v10, v6
	s_and_saveexec_b64 s[14:15], s[8:9]
	s_cbranch_execnz .LBB116_88
.LBB116_64:
	s_or_b64 exec, exec, s[14:15]
	s_and_saveexec_b64 s[8:9], s[10:11]
	s_cbranch_execnz .LBB116_89
.LBB116_65:
	s_or_b64 exec, exec, s[8:9]
	v_add_u32_e32 v28, 0x2380, v19
	s_and_saveexec_b64 s[8:9], s[12:13]
	s_cbranch_execz .LBB116_67
.LBB116_66:
	ds_read_b64 v[6:7], v12
	s_waitcnt lgkmcnt(0)
	ds_write_b64 v5, v[6:7] offset:24
.LBB116_67:
	s_or_b64 exec, exec, s[8:9]
	s_waitcnt lgkmcnt(0)
	s_barrier
	ds_read_b64 v[22:23], v13
	ds_read_b128 v[5:8], v28 offset:256
	ds_read_b128 v[18:21], v28 offset:272
	ds_read_b64 v[33:34], v12
	v_cmp_eq_u32_e64 s[8:9], 1, v9
	s_waitcnt lgkmcnt(2)
	v_mul_f32_e32 v29, v6, v23
	v_fma_f32 v35, v5, v22, -v29
	ds_read2_b64 v[29:32], v27 offset1:33
	v_mul_f32_e32 v5, v5, v23
	v_fmac_f32_e32 v5, v6, v22
	v_add_f32_e32 v5, 0, v5
	v_add_f32_e32 v6, 0, v35
	s_waitcnt lgkmcnt(0)
	v_mul_f32_e32 v22, v8, v30
	v_fma_f32 v22, v7, v29, -v22
	v_mul_f32_e32 v7, v7, v30
	v_fmac_f32_e32 v7, v8, v29
	v_add_f32_e32 v5, v5, v7
	v_mul_f32_e32 v7, v19, v32
	v_mul_f32_e32 v8, v18, v32
	v_add_f32_e32 v6, v6, v22
	v_fma_f32 v7, v18, v31, -v7
	v_fmac_f32_e32 v8, v19, v31
	v_add_f32_e32 v6, v6, v7
	v_add_f32_e32 v7, v5, v8
	v_mul_f32_e32 v5, v21, v34
	v_mul_f32_e32 v8, v20, v34
	v_fma_f32 v5, v20, v33, -v5
	v_fmac_f32_e32 v8, v21, v33
	v_add_f32_e32 v5, v6, v5
	v_add_f32_e32 v6, v7, v8
	s_barrier
	ds_write_b64 v26, v[5:6]
	s_waitcnt lgkmcnt(0)
	s_barrier
	s_and_saveexec_b64 s[10:11], s[8:9]
	s_cbranch_execz .LBB116_69
; %bb.68:
	ds_read2_b64 v[5:8], v25 offset1:7
	ds_read2_b64 v[18:21], v25 offset0:1 offset1:2
	ds_read2_b64 v[29:32], v25 offset0:3 offset1:4
	s_waitcnt lgkmcnt(1)
	v_add_f32_e32 v5, v18, v5
	v_add_f32_e32 v6, v19, v6
	;; [unrolled: 1-line block ×4, first 2 shown]
	ds_read2_b64 v[18:21], v25 offset0:5 offset1:6
	s_waitcnt lgkmcnt(1)
	v_add_f32_e32 v5, v5, v29
	v_add_f32_e32 v6, v6, v30
	;; [unrolled: 1-line block ×4, first 2 shown]
	s_waitcnt lgkmcnt(0)
	v_add_f32_e32 v5, v5, v18
	v_add_f32_e32 v6, v6, v19
	v_add_f32_e32 v5, v5, v20
	v_add_f32_e32 v6, v6, v21
	v_add_f32_e32 v52, v5, v7
	v_add_f32_e32 v53, v6, v8
.LBB116_69:
	s_or_b64 exec, exec, s[10:11]
	v_add_co_u32_e32 v5, vcc, 0xffffff00, v3
	v_addc_co_u32_e32 v6, vcc, -1, v4, vcc
	s_and_b64 vcc, exec, s[22:23]
	s_barrier
	s_cbranch_vccz .LBB116_90
; %bb.70:
	v_sub_co_u32_e32 v7, vcc, v3, v11
	s_ashr_i32 s25, s24, 31
	v_subbrev_co_u32_e32 v8, vcc, 0, v4, vcc
	s_lshl_b64 s[12:13], s[24:25], 3
	v_mov_b32_e32 v18, s13
	v_add_co_u32_e32 v7, vcc, s12, v7
	v_addc_co_u32_e32 v8, vcc, v8, v18, vcc
	v_add_co_u32_e32 v7, vcc, 0xfffffef8, v7
	v_addc_co_u32_e32 v8, vcc, -1, v8, vcc
	v_cmp_gt_i32_e32 vcc, s24, v2
	s_sub_i32 s16, s24, 32
	v_mul_u32_u24_e32 v2, 0x108, v9
	v_cndmask_b32_e32 v8, v8, v6, vcc
	v_cndmask_b32_e32 v7, v7, v5, vcc
	v_cmp_le_i32_e64 s[10:11], s16, v9
	v_add_u32_e32 v18, v10, v2
	s_and_saveexec_b64 s[14:15], s[10:11]
	s_xor_b64 s[10:11], exec, s[14:15]
; %bb.71:
	v_mov_b32_e32 v19, 0
	v_mov_b32_e32 v20, v19
	ds_write_b64 v18, v[19:20]
; %bb.72:
	s_andn2_saveexec_b64 s[10:11], s[10:11]
	s_cbranch_execz .LBB116_74
; %bb.73:
	global_load_dwordx2 v[19:20], v[7:8], off
	s_waitcnt vmcnt(0)
	ds_write_b64 v18, v[19:20]
.LBB116_74:
	s_or_b64 exec, exec, s[10:11]
	v_add_u32_e32 v20, 8, v9
	v_cmp_le_i32_e64 s[10:11], s16, v20
	s_and_saveexec_b64 s[14:15], s[10:11]
	s_xor_b64 s[10:11], exec, s[14:15]
; %bb.75:
	v_mov_b32_e32 v21, 0
	v_mov_b32_e32 v22, v21
	ds_write_b64 v18, v[21:22] offset:2112
; %bb.76:
	s_andn2_saveexec_b64 s[14:15], s[10:11]
	s_cbranch_execz .LBB116_78
; %bb.77:
	s_lshl_b64 s[10:11], s[20:21], 6
	v_mov_b32_e32 v2, s11
	v_add_co_u32_e64 v21, s[10:11], s10, v7
	v_addc_co_u32_e64 v22, s[10:11], v8, v2, s[10:11]
	global_load_dwordx2 v[21:22], v[21:22], off
	s_waitcnt vmcnt(0)
	ds_write_b64 v18, v[21:22] offset:2112
.LBB116_78:
	s_or_b64 exec, exec, s[14:15]
	v_add_u32_e32 v2, 16, v9
	v_cmp_le_i32_e64 s[10:11], s16, v2
	s_and_saveexec_b64 s[14:15], s[10:11]
	s_xor_b64 s[10:11], exec, s[14:15]
; %bb.79:
	v_mov_b32_e32 v21, 0
	v_mov_b32_e32 v22, v21
	ds_write_b64 v18, v[21:22] offset:4224
; %bb.80:
	s_andn2_saveexec_b64 s[14:15], s[10:11]
	s_cbranch_execz .LBB116_82
; %bb.81:
	s_lshl_b64 s[10:11], s[20:21], 7
	v_mov_b32_e32 v19, s11
	v_add_co_u32_e64 v21, s[10:11], s10, v7
	v_addc_co_u32_e64 v22, s[10:11], v8, v19, s[10:11]
	global_load_dwordx2 v[21:22], v[21:22], off
	s_waitcnt vmcnt(0)
	ds_write_b64 v18, v[21:22] offset:4224
.LBB116_82:
	s_or_b64 exec, exec, s[14:15]
	v_add_u32_e32 v22, 24, v9
	v_cmp_le_i32_e64 s[10:11], s16, v22
	s_and_saveexec_b64 s[14:15], s[10:11]
	s_xor_b64 s[10:11], exec, s[14:15]
; %bb.83:
	v_mov_b32_e32 v29, 0
	v_mov_b32_e32 v30, v29
	ds_write_b64 v18, v[29:30] offset:6336
                                        ; implicit-def: $vgpr18
; %bb.84:
	s_andn2_saveexec_b64 s[10:11], s[10:11]
	s_cbranch_execz .LBB116_86
; %bb.85:
	v_mov_b32_e32 v19, 0xc0
	v_mad_u64_u32 v[29:30], s[14:15], s20, v19, v[7:8]
	s_mul_i32 s14, s21, 0xc0
	v_add_u32_e32 v30, s14, v30
	global_load_dwordx2 v[29:30], v[29:30], off
	s_waitcnt vmcnt(0)
	ds_write_b64 v18, v[29:30] offset:6336
.LBB116_86:
	s_or_b64 exec, exec, s[10:11]
	v_add_co_u32_e64 v7, s[10:11], v7, v11
	v_addc_co_u32_e64 v8, s[10:11], 0, v8, s[10:11]
	v_mov_b32_e32 v11, s13
	v_subrev_co_u32_e64 v7, s[10:11], s12, v7
	v_subb_co_u32_e64 v8, s[10:11], v8, v11, s[10:11]
	v_add_co_u32_e64 v7, s[10:11], 8, v7
	v_addc_co_u32_e64 v8, s[10:11], 0, v8, s[10:11]
	v_cndmask_b32_e32 v19, v8, v6, vcc
	v_cndmask_b32_e32 v18, v7, v5, vcc
	s_branch .LBB116_92
.LBB116_87:
	ds_read_b64 v[7:8], v13
	s_waitcnt lgkmcnt(0)
	ds_write_b64 v5, v[7:8]
	s_or_b64 exec, exec, s[14:15]
	v_add_u32_e32 v27, v10, v6
	s_and_saveexec_b64 s[14:15], s[8:9]
	s_cbranch_execz .LBB116_64
.LBB116_88:
	ds_read_b64 v[6:7], v27
	s_waitcnt lgkmcnt(0)
	ds_write_b64 v5, v[6:7] offset:8
	s_or_b64 exec, exec, s[14:15]
	s_and_saveexec_b64 s[8:9], s[10:11]
	s_cbranch_execz .LBB116_65
.LBB116_89:
	ds_read_b64 v[6:7], v27 offset:264
	s_waitcnt lgkmcnt(0)
	ds_write_b64 v5, v[6:7] offset:16
	s_or_b64 exec, exec, s[8:9]
	v_add_u32_e32 v28, 0x2380, v19
	s_and_saveexec_b64 s[8:9], s[12:13]
	s_cbranch_execnz .LBB116_66
	s_branch .LBB116_67
.LBB116_90:
                                        ; implicit-def: $vgpr18_vgpr19
                                        ; implicit-def: $vgpr20
                                        ; implicit-def: $vgpr2
                                        ; implicit-def: $vgpr22
	s_cbranch_execz .LBB116_92
; %bb.91:
	s_lshl_b64 s[10:11], s[20:21], 6
	v_mov_b32_e32 v2, s11
	v_add_co_u32_e32 v7, vcc, s10, v3
	v_addc_co_u32_e32 v8, vcc, v4, v2, vcc
	v_add_co_u32_e32 v18, vcc, s10, v7
	v_addc_co_u32_e32 v19, vcc, v8, v2, vcc
	;; [unrolled: 2-line block ×3, first 2 shown]
	global_load_dwordx2 v[29:30], v[3:4], off offset:-256
	global_load_dwordx2 v[31:32], v[7:8], off offset:-256
	;; [unrolled: 1-line block ×4, first 2 shown]
	s_movk_i32 s10, 0x108
	v_mov_b32_e32 v19, v6
	v_add_u32_e32 v20, 8, v9
	v_add_u32_e32 v2, 16, v9
	;; [unrolled: 1-line block ×3, first 2 shown]
	v_mad_u32_u24 v3, v9, s10, v10
	v_mov_b32_e32 v18, v5
	s_waitcnt vmcnt(3)
	ds_write_b64 v3, v[29:30]
	s_waitcnt vmcnt(2)
	ds_write_b64 v3, v[31:32] offset:2112
	s_waitcnt vmcnt(1)
	ds_write_b64 v3, v[33:34] offset:4224
	;; [unrolled: 2-line block ×3, first 2 shown]
.LBB116_92:
	v_lshlrev_b32_e32 v3, 3, v9
	v_add_u32_e32 v4, v25, v3
	v_lshlrev_b32_e32 v5, 3, v20
	s_waitcnt lgkmcnt(0)
	s_barrier
	ds_read_b64 v[29:30], v4
	ds_read_b64 v[31:32], v5 offset:9088
	ds_read_b64 v[33:34], v3 offset:9088
	ds_read_b64 v[20:21], v12
	v_add_u32_e32 v4, v25, v5
	ds_read_b64 v[35:36], v4
	v_lshlrev_b32_e32 v2, 3, v2
	s_waitcnt lgkmcnt(2)
	v_mul_f32_e32 v3, v34, v30
	v_add_u32_e32 v4, v25, v2
	v_fma_f32 v3, v33, v29, -v3
	v_lshlrev_b32_e32 v5, 3, v22
	ds_read_b64 v[37:38], v4
	ds_read_b64 v[39:40], v5 offset:9088
	ds_read_b64 v[41:42], v2 offset:9088
	s_waitcnt lgkmcnt(3)
	v_mul_f32_e32 v2, v32, v36
	v_add_f32_e32 v3, 0, v3
	v_fma_f32 v2, v31, v35, -v2
	v_add_f32_e32 v2, v3, v2
	v_add_u32_e32 v3, v25, v5
	ds_read_b64 v[43:44], v3
	ds_read_b64 v[22:23], v13
	s_waitcnt lgkmcnt(2)
	v_mul_f32_e32 v3, v42, v38
	v_fma_f32 v3, v41, v37, -v3
	v_add_f32_e32 v2, v2, v3
	s_waitcnt lgkmcnt(1)
	v_mul_f32_e32 v3, v40, v44
	v_fma_f32 v3, v39, v43, -v3
	v_add_f32_e32 v45, v2, v3
	ds_read_b128 v[10:13], v28 offset:256
	ds_read_b128 v[2:5], v28 offset:272
	ds_read2_b64 v[6:9], v27 offset1:33
	v_mul_f32_e32 v27, v33, v30
	v_fmac_f32_e32 v27, v34, v29
	v_mul_f32_e32 v28, v31, v36
	v_add_f32_e32 v27, 0, v27
	v_fmac_f32_e32 v28, v32, v35
	v_add_f32_e32 v27, v27, v28
	v_mul_f32_e32 v28, v41, v38
	v_fmac_f32_e32 v28, v42, v37
	v_add_f32_e32 v27, v27, v28
	v_mul_f32_e32 v28, v39, v44
	v_fmac_f32_e32 v28, v40, v43
	v_add_f32_e32 v46, v27, v28
	s_waitcnt lgkmcnt(0)
	s_barrier
	ds_write_b64 v26, v[45:46]
	s_waitcnt lgkmcnt(0)
	s_barrier
	s_and_saveexec_b64 s[10:11], s[8:9]
	s_cbranch_execz .LBB116_94
; %bb.93:
	ds_read2_b64 v[27:30], v25 offset1:1
	ds_read2_b64 v[31:34], v25 offset0:2 offset1:3
	ds_read2_b64 v[35:38], v25 offset0:4 offset1:5
	s_waitcnt lgkmcnt(2)
	v_add_f32_e32 v27, v52, v27
	v_add_f32_e32 v28, v53, v28
	v_add_f32_e32 v27, v27, v29
	v_add_f32_e32 v28, v28, v30
	s_waitcnt lgkmcnt(1)
	v_add_f32_e32 v27, v27, v31
	v_add_f32_e32 v28, v28, v32
	v_add_f32_e32 v31, v27, v33
	v_add_f32_e32 v32, v28, v34
	ds_read2_b64 v[27:30], v25 offset0:6 offset1:7
	s_waitcnt lgkmcnt(1)
	v_add_f32_e32 v31, v31, v35
	v_add_f32_e32 v32, v32, v36
	;; [unrolled: 1-line block ×4, first 2 shown]
	s_waitcnt lgkmcnt(0)
	v_add_f32_e32 v27, v31, v27
	v_add_f32_e32 v28, v32, v28
	;; [unrolled: 1-line block ×4, first 2 shown]
.LBB116_94:
	s_or_b64 exec, exec, s[10:11]
	v_mul_f32_e32 v27, v11, v23
	v_fma_f32 v27, v10, v22, -v27
	v_mul_f32_e32 v10, v10, v23
	v_fmac_f32_e32 v10, v11, v22
	v_mul_f32_e32 v22, v13, v7
	v_mul_f32_e32 v7, v12, v7
	v_add_f32_e32 v10, 0, v10
	v_fmac_f32_e32 v7, v13, v6
	v_add_f32_e32 v7, v10, v7
	v_mul_f32_e32 v10, v3, v9
	v_add_f32_e32 v11, 0, v27
	v_fma_f32 v22, v12, v6, -v22
	v_fma_f32 v10, v2, v8, -v10
	v_mul_f32_e32 v2, v2, v9
	v_add_f32_e32 v6, v11, v22
	v_fmac_f32_e32 v2, v3, v8
	v_add_f32_e32 v3, v6, v10
	v_add_f32_e32 v6, v7, v2
	v_mul_f32_e32 v2, v5, v21
	v_fma_f32 v2, v4, v20, -v2
	v_mul_f32_e32 v4, v4, v21
	v_fmac_f32_e32 v4, v5, v20
	v_add_f32_e32 v2, v3, v2
	v_add_f32_e32 v3, v6, v4
	s_barrier
	ds_write_b64 v26, v[2:3]
	s_waitcnt lgkmcnt(0)
	s_barrier
	s_and_saveexec_b64 s[8:9], s[2:3]
	s_cbranch_execz .LBB116_96
; %bb.95:
	ds_read2_b64 v[2:5], v25 offset1:1
	ds_read2_b64 v[6:9], v25 offset0:2 offset1:3
	ds_read2_b64 v[10:13], v25 offset0:4 offset1:5
	s_waitcnt lgkmcnt(2)
	v_add_f32_e32 v2, v52, v2
	v_add_f32_e32 v3, v53, v3
	;; [unrolled: 1-line block ×4, first 2 shown]
	s_waitcnt lgkmcnt(1)
	v_add_f32_e32 v2, v2, v6
	v_add_f32_e32 v3, v3, v7
	;; [unrolled: 1-line block ×4, first 2 shown]
	ds_read2_b64 v[2:5], v25 offset0:6 offset1:7
	s_waitcnt lgkmcnt(1)
	v_add_f32_e32 v6, v6, v10
	v_add_f32_e32 v7, v7, v11
	;; [unrolled: 1-line block ×4, first 2 shown]
	s_waitcnt lgkmcnt(0)
	v_add_f32_e32 v2, v6, v2
	v_add_f32_e32 v3, v7, v3
	;; [unrolled: 1-line block ×4, first 2 shown]
.LBB116_96:
	s_or_b64 exec, exec, s[8:9]
	s_load_dwordx2 s[2:3], s[4:5], 0x68
	s_mul_hi_u32 s4, s37, s7
	s_mul_i32 s38, s38, s7
	s_add_i32 s4, s4, s38
	s_mul_i32 s7, s37, s7
	s_mul_i32 s4, s4, s33
	s_mul_hi_u32 s5, s7, s33
	s_add_i32 s5, s5, s4
	s_mul_i32 s4, s7, s33
	s_lshl_b64 s[4:5], s[4:5], 3
	s_waitcnt lgkmcnt(0)
	s_add_u32 s4, s2, s4
	s_addc_u32 s5, s3, s5
	s_mul_hi_i32 s3, s37, s6
	s_mul_i32 s2, s37, s6
	s_lshl_b64 s[2:3], s[2:3], 3
	s_add_u32 s7, s4, s2
	s_addc_u32 s16, s5, s3
	s_add_i32 s2, s6, 1
	s_cmp_ge_u32 s2, s33
	v_lshlrev_b32_e32 v87, 3, v0
	s_barrier
	s_cbranch_scc1 .LBB116_154
; %bb.97:
	s_mul_i32 s2, s28, s27
	s_mul_hi_u32 s3, s28, s26
	s_add_i32 s2, s3, s2
	s_mul_i32 s3, s29, s26
	s_add_i32 s3, s2, s3
	s_mul_i32 s2, s28, s26
	s_lshl_b64 s[2:3], s[2:3], 3
	v_mov_b32_e32 v2, s3
	v_subrev_co_u32_e32 v89, vcc, s2, v16
	v_subb_co_u32_e32 v90, vcc, v17, v2, vcc
	v_lshrrev_b32_e32 v2, 4, v24
	v_lshlrev_b32_e32 v4, 5, v2
	v_mul_i32_i24_e32 v8, 0xffffffe8, v2
	v_and_b32_e32 v2, 48, v0
	v_and_b32_e32 v3, 15, v0
	v_lshlrev_b32_e32 v7, 5, v1
	s_movk_i32 s4, 0x218
	v_lshlrev_b32_e32 v2, 3, v2
	v_mad_u32_u24 v95, v3, s4, v4
	v_mad_u32_u24 v96, v3, s4, v2
	v_or_b32_e32 v2, 0x78, v87
	v_add_u32_e32 v4, 0x100, v7
	v_mad_u32_u24 v97, v3, s4, v2
	v_mad_u64_u32 v[2:3], s[4:5], s20, v4, 0
	v_add_u32_e32 v6, 0x110, v7
	v_add_u32_e32 v17, 0x180, v7
	v_mad_u64_u32 v[3:4], s[4:5], s21, v4, v[3:4]
	v_mad_u64_u32 v[4:5], s[4:5], s20, v6, 0
	v_sub_co_u32_e32 v9, vcc, v2, v14
	v_mov_b32_e32 v2, v5
	v_subb_co_u32_e32 v10, vcc, v3, v15, vcc
	v_mad_u64_u32 v[2:3], s[4:5], s21, v6, v[2:3]
	v_add_u32_e32 v3, 0x108, v7
	v_mad_u64_u32 v[5:6], s[4:5], s20, v3, 0
	v_sub_co_u32_e32 v11, vcc, v4, v14
	v_subb_co_u32_e32 v12, vcc, v2, v15, vcc
	v_mov_b32_e32 v2, v6
	v_mad_u64_u32 v[2:3], s[4:5], s21, v3, v[2:3]
	v_add_u32_e32 v6, 0x118, v7
	v_mad_u64_u32 v[3:4], s[4:5], s20, v6, 0
	v_sub_co_u32_e32 v13, vcc, v5, v14
	v_subb_co_u32_e32 v16, vcc, v2, v15, vcc
	v_mov_b32_e32 v2, v4
	v_mad_u64_u32 v[4:5], s[4:5], s21, v6, v[2:3]
	v_mad_u64_u32 v[5:6], s[4:5], s20, v17, 0
	v_sub_co_u32_e32 v20, vcc, v3, v14
	v_mov_b32_e32 v2, v6
	v_mad_u64_u32 v[2:3], s[4:5], s21, v17, v[2:3]
	v_add_u32_e32 v6, 0x188, v7
	v_subb_co_u32_e32 v21, vcc, v4, v15, vcc
	v_mad_u64_u32 v[3:4], s[4:5], s20, v6, 0
	v_sub_co_u32_e32 v17, vcc, v5, v14
	v_subb_co_u32_e32 v22, vcc, v2, v15, vcc
	v_mov_b32_e32 v2, v4
	v_mad_u64_u32 v[4:5], s[4:5], s21, v6, v[2:3]
	v_add_u32_e32 v23, 0x190, v7
	v_mad_u64_u32 v[5:6], s[4:5], s20, v23, 0
	s_movk_i32 s2, 0x860
	v_mad_u32_u24 v94, v1, s2, v87
	v_mov_b32_e32 v2, v6
	v_cmp_gt_u32_e64 s[2:3], 64, v24
	v_sub_co_u32_e32 v24, vcc, v3, v14
	v_mad_u64_u32 v[2:3], s[4:5], s21, v23, v[2:3]
	v_add_u32_e32 v6, 0x198, v7
	v_subb_co_u32_e32 v25, vcc, v4, v15, vcc
	v_mad_u64_u32 v[3:4], s[4:5], s20, v6, 0
	v_sub_co_u32_e32 v23, vcc, v5, v14
	v_subb_co_u32_e32 v26, vcc, v2, v15, vcc
	v_mov_b32_e32 v2, v4
	v_mad_u64_u32 v[4:5], s[4:5], s21, v6, v[2:3]
	v_add_u32_e32 v27, 0x200, v7
	v_mad_u64_u32 v[5:6], s[4:5], s20, v27, 0
	v_sub_co_u32_e32 v28, vcc, v3, v14
	v_mov_b32_e32 v2, v6
	v_mad_u64_u32 v[2:3], s[4:5], s21, v27, v[2:3]
	v_add_u32_e32 v6, 0x208, v7
	v_subb_co_u32_e32 v29, vcc, v4, v15, vcc
	v_mad_u64_u32 v[3:4], s[4:5], s20, v6, 0
	v_sub_co_u32_e32 v27, vcc, v5, v14
	v_subb_co_u32_e32 v30, vcc, v2, v15, vcc
	v_mov_b32_e32 v2, v4
	v_mad_u64_u32 v[4:5], s[4:5], s21, v6, v[2:3]
	v_add_u32_e32 v31, 0x210, v7
	v_mad_u64_u32 v[5:6], s[4:5], s20, v31, 0
	v_sub_co_u32_e32 v32, vcc, v3, v14
	v_mov_b32_e32 v2, v6
	;; [unrolled: 12-line block ×4, first 2 shown]
	v_mad_u64_u32 v[2:3], s[4:5], s21, v39, v[2:3]
	v_add_u32_e32 v6, 0x298, v7
	v_subb_co_u32_e32 v41, vcc, v4, v15, vcc
	v_mad_u64_u32 v[3:4], s[4:5], s20, v6, 0
	v_add_u32_e32 v92, 0x2180, v7
	v_sub_co_u32_e32 v7, vcc, v5, v14
	v_subb_co_u32_e32 v39, vcc, v2, v15, vcc
	v_mov_b32_e32 v2, v4
	v_mad_u64_u32 v[4:5], s[4:5], s21, v6, v[2:3]
	v_sub_co_u32_e32 v2, vcc, v3, v14
	v_subb_co_u32_e32 v3, vcc, v4, v15, vcc
	v_add_co_u32_e32 v110, vcc, v18, v9
	v_addc_co_u32_e32 v111, vcc, v19, v10, vcc
	v_add_co_u32_e32 v112, vcc, v18, v11
	v_addc_co_u32_e32 v113, vcc, v19, v12, vcc
	;; [unrolled: 2-line block ×15, first 2 shown]
	v_lshlrev_b32_e32 v88, 2, v1
	v_add_co_u32_e32 v140, vcc, v18, v2
	s_add_i32 s17, s33, -2
	v_add_u32_e32 v91, 0x2180, v87
	v_add_u32_e32 v93, 0x2380, v87
	v_or_b32_e32 v98, 1, v88
	v_or_b32_e32 v99, 2, v88
	;; [unrolled: 1-line block ×3, first 2 shown]
	v_add_u32_e32 v101, 16, v88
	v_add_u32_e32 v102, 17, v88
	;; [unrolled: 1-line block ×9, first 2 shown]
	v_addc_co_u32_e32 v141, vcc, v19, v3, vcc
	v_add_u32_e32 v142, 49, v88
	v_add_u32_e32 v143, 50, v88
	s_add_i32 s22, s26, 64
	s_lshl_b64 s[10:11], s[20:21], 9
	v_add_u32_e32 v144, v95, v8
	v_add_u32_e32 v145, 51, v88
	v_mov_b32_e32 v54, 0
	s_cmp_eq_u32 s17, s6
	s_cselect_b32 s20, s36, 0
	s_and_saveexec_b64 s[4:5], s[0:1]
	s_cbranch_execz .LBB116_102
.LBB116_98:
	s_cmp_lg_u32 s20, 0
	s_cselect_b64 s[8:9], -1, 0
	v_cmp_le_i32_e32 vcc, s20, v0
	s_and_b64 s[8:9], s[8:9], vcc
	s_and_saveexec_b64 s[12:13], s[8:9]
	s_xor_b64 s[8:9], exec, s[12:13]
; %bb.99:
	v_mov_b32_e32 v55, v54
	ds_write_b64 v91, v[54:55]
; %bb.100:
	s_andn2_saveexec_b64 s[8:9], s[8:9]
	s_cbranch_execz .LBB116_102
; %bb.101:
	s_ashr_i32 s8, s22, 31
	s_mul_hi_u32 s9, s28, s22
	s_mul_i32 s8, s28, s8
	s_add_i32 s8, s9, s8
	s_mul_i32 s9, s29, s22
	s_add_i32 s9, s8, s9
	s_mul_i32 s8, s28, s22
	s_lshl_b64 s[8:9], s[8:9], 3
	v_mov_b32_e32 v3, s9
	v_add_co_u32_e32 v2, vcc, s8, v89
	v_addc_co_u32_e32 v3, vcc, v90, v3, vcc
	global_load_dwordx2 v[2:3], v[2:3], off
	s_waitcnt vmcnt(0)
	ds_write_b64 v91, v[2:3]
.LBB116_102:                            ; =>This Inner Loop Header: Depth=1
	s_or_b64 exec, exec, s[4:5]
	s_cmp_eq_u32 s20, 0
	v_add_co_u32_e32 v2, vcc, v110, v87
	s_cselect_b64 s[12:13], -1, 0
	s_cmp_lg_u32 s20, 0
	v_addc_co_u32_e32 v3, vcc, 0, v111, vcc
	s_cselect_b64 s[8:9], -1, 0
	s_and_b64 vcc, exec, s[8:9]
	s_waitcnt lgkmcnt(0)
	s_barrier
	s_cbranch_vccz .LBB116_110
; %bb.103:                              ;   in Loop: Header=BB116_102 Depth=1
	v_mov_b32_e32 v57, 0
	v_mov_b32_e32 v55, 0
	;; [unrolled: 1-line block ×4, first 2 shown]
	v_cmp_gt_i32_e32 vcc, s20, v88
	s_and_saveexec_b64 s[4:5], vcc
	s_cbranch_execz .LBB116_105
; %bb.104:                              ;   in Loop: Header=BB116_102 Depth=1
	global_load_dwordx2 v[55:56], v[2:3], off
.LBB116_105:                            ;   in Loop: Header=BB116_102 Depth=1
	s_or_b64 exec, exec, s[4:5]
	v_cmp_gt_i32_e32 vcc, s20, v98
	s_and_saveexec_b64 s[4:5], vcc
	s_cbranch_execz .LBB116_107
; %bb.106:                              ;   in Loop: Header=BB116_102 Depth=1
	v_add_co_u32_e32 v4, vcc, v114, v87
	v_addc_co_u32_e32 v5, vcc, 0, v115, vcc
	global_load_dwordx2 v[57:58], v[4:5], off
.LBB116_107:                            ;   in Loop: Header=BB116_102 Depth=1
	s_or_b64 exec, exec, s[4:5]
	v_mov_b32_e32 v59, 0
	v_mov_b32_e32 v60, 0
	v_cmp_gt_i32_e32 vcc, s20, v99
	s_and_saveexec_b64 s[4:5], vcc
	s_cbranch_execz .LBB116_109
; %bb.108:                              ;   in Loop: Header=BB116_102 Depth=1
	v_add_co_u32_e32 v4, vcc, v112, v87
	v_addc_co_u32_e32 v5, vcc, 0, v113, vcc
	global_load_dwordx2 v[59:60], v[4:5], off
.LBB116_109:                            ;   in Loop: Header=BB116_102 Depth=1
	s_or_b64 exec, exec, s[4:5]
	v_cmp_gt_i32_e64 s[4:5], s20, v100
	s_branch .LBB116_112
.LBB116_110:                            ;   in Loop: Header=BB116_102 Depth=1
	s_mov_b64 s[4:5], 0
                                        ; implicit-def: $vgpr59_vgpr60
                                        ; implicit-def: $vgpr57_vgpr58
                                        ; implicit-def: $vgpr55_vgpr56
	s_cbranch_execz .LBB116_112
; %bb.111:                              ;   in Loop: Header=BB116_102 Depth=1
	global_load_dwordx2 v[55:56], v[2:3], off
	v_add_co_u32_e32 v2, vcc, v114, v87
	v_addc_co_u32_e32 v3, vcc, 0, v115, vcc
	global_load_dwordx2 v[57:58], v[2:3], off
	v_add_co_u32_e32 v2, vcc, v112, v87
	v_addc_co_u32_e32 v3, vcc, 0, v113, vcc
	global_load_dwordx2 v[59:60], v[2:3], off
	s_or_b64 s[4:5], s[4:5], exec
.LBB116_112:                            ;   in Loop: Header=BB116_102 Depth=1
	v_mov_b32_e32 v61, 0
	v_mov_b32_e32 v62, 0
	s_and_saveexec_b64 s[14:15], s[4:5]
	s_cbranch_execz .LBB116_114
; %bb.113:                              ;   in Loop: Header=BB116_102 Depth=1
	v_add_co_u32_e32 v2, vcc, v116, v87
	v_addc_co_u32_e32 v3, vcc, 0, v117, vcc
	global_load_dwordx2 v[61:62], v[2:3], off
.LBB116_114:                            ;   in Loop: Header=BB116_102 Depth=1
	s_or_b64 exec, exec, s[14:15]
	ds_read_b64 v[10:11], v93
	ds_read_b128 v[6:9], v92
	ds_read_b128 v[2:5], v92 offset:16
	s_andn2_b64 vcc, exec, s[8:9]
	s_waitcnt vmcnt(0) lgkmcnt(2)
	v_mul_f32_e32 v12, v11, v56
	v_mul_f32_e32 v13, v11, v55
	;; [unrolled: 1-line block ×4, first 2 shown]
	v_fma_f32 v12, v10, v55, -v12
	v_fmac_f32_e32 v13, v10, v56
	v_fma_f32 v14, v10, v57, -v14
	v_fmac_f32_e32 v15, v10, v58
	ds_write2_b64 v94, v[12:13], v[14:15] offset1:67
	v_mul_f32_e32 v12, v11, v60
	v_mul_f32_e32 v13, v11, v59
	;; [unrolled: 1-line block ×4, first 2 shown]
	v_fma_f32 v12, v10, v59, -v12
	v_fmac_f32_e32 v13, v10, v60
	v_fma_f32 v14, v10, v61, -v14
	v_fmac_f32_e32 v15, v11, v61
	ds_write2_b64 v94, v[12:13], v[14:15] offset0:134 offset1:201
	s_waitcnt lgkmcnt(0)
	s_barrier
	ds_read2_b64 v[22:25], v95 offset1:1
	ds_read2_b64 v[18:21], v95 offset0:2 offset1:3
	v_cndmask_b32_e64 v10, 0, 1, s[8:9]
	v_cmp_ne_u32_e64 s[4:5], 1, v10
	v_add_co_u32_e64 v10, s[8:9], v118, v87
	v_addc_co_u32_e64 v11, s[8:9], 0, v119, s[8:9]
	s_waitcnt lgkmcnt(0)
	s_barrier
	s_cbranch_vccnz .LBB116_122
; %bb.115:                              ;   in Loop: Header=BB116_102 Depth=1
	v_mov_b32_e32 v65, 0
	v_mov_b32_e32 v63, 0
	;; [unrolled: 1-line block ×4, first 2 shown]
	v_cmp_gt_i32_e32 vcc, s20, v101
	s_and_saveexec_b64 s[8:9], vcc
	s_cbranch_execz .LBB116_117
; %bb.116:                              ;   in Loop: Header=BB116_102 Depth=1
	global_load_dwordx2 v[63:64], v[10:11], off
.LBB116_117:                            ;   in Loop: Header=BB116_102 Depth=1
	s_or_b64 exec, exec, s[8:9]
	v_cmp_gt_i32_e32 vcc, s20, v102
	s_and_saveexec_b64 s[8:9], vcc
	s_cbranch_execz .LBB116_119
; %bb.118:                              ;   in Loop: Header=BB116_102 Depth=1
	v_add_co_u32_e32 v12, vcc, v120, v87
	v_addc_co_u32_e32 v13, vcc, 0, v121, vcc
	global_load_dwordx2 v[65:66], v[12:13], off
.LBB116_119:                            ;   in Loop: Header=BB116_102 Depth=1
	s_or_b64 exec, exec, s[8:9]
	v_mov_b32_e32 v67, 0
	v_mov_b32_e32 v68, 0
	v_cmp_gt_i32_e32 vcc, s20, v103
	s_and_saveexec_b64 s[8:9], vcc
	s_cbranch_execz .LBB116_121
; %bb.120:                              ;   in Loop: Header=BB116_102 Depth=1
	v_add_co_u32_e32 v12, vcc, v122, v87
	v_addc_co_u32_e32 v13, vcc, 0, v123, vcc
	global_load_dwordx2 v[67:68], v[12:13], off
.LBB116_121:                            ;   in Loop: Header=BB116_102 Depth=1
	s_or_b64 exec, exec, s[8:9]
	v_cmp_gt_i32_e64 s[8:9], s20, v104
	s_branch .LBB116_124
.LBB116_122:                            ;   in Loop: Header=BB116_102 Depth=1
	s_mov_b64 s[8:9], 0
                                        ; implicit-def: $vgpr67_vgpr68
                                        ; implicit-def: $vgpr65_vgpr66
                                        ; implicit-def: $vgpr63_vgpr64
	s_cbranch_execz .LBB116_124
; %bb.123:                              ;   in Loop: Header=BB116_102 Depth=1
	global_load_dwordx2 v[63:64], v[10:11], off
	v_add_co_u32_e32 v10, vcc, v120, v87
	v_addc_co_u32_e32 v11, vcc, 0, v121, vcc
	global_load_dwordx2 v[65:66], v[10:11], off
	v_add_co_u32_e32 v10, vcc, v122, v87
	v_addc_co_u32_e32 v11, vcc, 0, v123, vcc
	global_load_dwordx2 v[67:68], v[10:11], off
	s_or_b64 s[8:9], s[8:9], exec
.LBB116_124:                            ;   in Loop: Header=BB116_102 Depth=1
	v_mov_b32_e32 v69, 0
	v_mov_b32_e32 v70, 0
	s_and_saveexec_b64 s[14:15], s[8:9]
	s_cbranch_execz .LBB116_126
; %bb.125:                              ;   in Loop: Header=BB116_102 Depth=1
	v_add_co_u32_e32 v10, vcc, v124, v87
	v_addc_co_u32_e32 v11, vcc, 0, v125, vcc
	global_load_dwordx2 v[69:70], v[10:11], off
.LBB116_126:                            ;   in Loop: Header=BB116_102 Depth=1
	s_or_b64 exec, exec, s[14:15]
	ds_read_b64 v[26:27], v93
	ds_read_b128 v[14:17], v92 offset:128
	ds_read_b128 v[10:13], v92 offset:144
	s_and_b64 vcc, exec, s[4:5]
	s_waitcnt vmcnt(0) lgkmcnt(2)
	v_mul_f32_e32 v28, v27, v64
	v_mul_f32_e32 v29, v27, v63
	;; [unrolled: 1-line block ×4, first 2 shown]
	v_fma_f32 v28, v26, v63, -v28
	v_fmac_f32_e32 v29, v26, v64
	v_fma_f32 v30, v26, v65, -v30
	v_fmac_f32_e32 v31, v26, v66
	ds_write2_b64 v94, v[28:29], v[30:31] offset1:67
	v_mul_f32_e32 v28, v27, v68
	v_mul_f32_e32 v29, v27, v67
	v_mul_f32_e32 v30, v27, v70
	v_mul_f32_e32 v31, v26, v70
	v_fma_f32 v28, v26, v67, -v28
	v_fmac_f32_e32 v29, v26, v68
	v_fma_f32 v30, v26, v69, -v30
	v_fmac_f32_e32 v31, v27, v69
	ds_write2_b64 v94, v[28:29], v[30:31] offset0:134 offset1:201
	s_waitcnt lgkmcnt(0)
	s_barrier
	ds_read2_b64 v[38:41], v95 offset1:1
	ds_read2_b64 v[34:37], v95 offset0:2 offset1:3
	v_add_co_u32_e64 v26, s[8:9], v126, v87
	v_addc_co_u32_e64 v27, s[8:9], 0, v127, s[8:9]
	s_waitcnt lgkmcnt(0)
	s_barrier
	s_cbranch_vccnz .LBB116_134
; %bb.127:                              ;   in Loop: Header=BB116_102 Depth=1
	v_mov_b32_e32 v73, 0
	v_mov_b32_e32 v71, 0
	;; [unrolled: 1-line block ×4, first 2 shown]
	v_cmp_gt_i32_e32 vcc, s20, v105
	s_and_saveexec_b64 s[8:9], vcc
	s_cbranch_execz .LBB116_129
; %bb.128:                              ;   in Loop: Header=BB116_102 Depth=1
	global_load_dwordx2 v[71:72], v[26:27], off
.LBB116_129:                            ;   in Loop: Header=BB116_102 Depth=1
	s_or_b64 exec, exec, s[8:9]
	v_cmp_gt_i32_e32 vcc, s20, v106
	s_and_saveexec_b64 s[8:9], vcc
	s_cbranch_execz .LBB116_131
; %bb.130:                              ;   in Loop: Header=BB116_102 Depth=1
	v_add_co_u32_e32 v28, vcc, v128, v87
	v_addc_co_u32_e32 v29, vcc, 0, v129, vcc
	global_load_dwordx2 v[73:74], v[28:29], off
.LBB116_131:                            ;   in Loop: Header=BB116_102 Depth=1
	s_or_b64 exec, exec, s[8:9]
	v_mov_b32_e32 v75, 0
	v_mov_b32_e32 v76, 0
	v_cmp_gt_i32_e32 vcc, s20, v107
	s_and_saveexec_b64 s[8:9], vcc
	s_cbranch_execz .LBB116_133
; %bb.132:                              ;   in Loop: Header=BB116_102 Depth=1
	v_add_co_u32_e32 v28, vcc, v130, v87
	v_addc_co_u32_e32 v29, vcc, 0, v131, vcc
	global_load_dwordx2 v[75:76], v[28:29], off
.LBB116_133:                            ;   in Loop: Header=BB116_102 Depth=1
	s_or_b64 exec, exec, s[8:9]
	v_cmp_gt_i32_e64 s[8:9], s20, v108
	s_branch .LBB116_136
.LBB116_134:                            ;   in Loop: Header=BB116_102 Depth=1
	s_mov_b64 s[8:9], 0
                                        ; implicit-def: $vgpr75_vgpr76
                                        ; implicit-def: $vgpr73_vgpr74
                                        ; implicit-def: $vgpr71_vgpr72
	s_cbranch_execz .LBB116_136
; %bb.135:                              ;   in Loop: Header=BB116_102 Depth=1
	global_load_dwordx2 v[71:72], v[26:27], off
	v_add_co_u32_e32 v26, vcc, v128, v87
	v_addc_co_u32_e32 v27, vcc, 0, v129, vcc
	global_load_dwordx2 v[73:74], v[26:27], off
	v_add_co_u32_e32 v26, vcc, v130, v87
	v_addc_co_u32_e32 v27, vcc, 0, v131, vcc
	global_load_dwordx2 v[75:76], v[26:27], off
	s_or_b64 s[8:9], s[8:9], exec
.LBB116_136:                            ;   in Loop: Header=BB116_102 Depth=1
	v_mov_b32_e32 v77, 0
	v_mov_b32_e32 v78, 0
	s_and_saveexec_b64 s[14:15], s[8:9]
	s_cbranch_execz .LBB116_138
; %bb.137:                              ;   in Loop: Header=BB116_102 Depth=1
	v_add_co_u32_e32 v26, vcc, v132, v87
	v_addc_co_u32_e32 v27, vcc, 0, v133, vcc
	global_load_dwordx2 v[77:78], v[26:27], off
.LBB116_138:                            ;   in Loop: Header=BB116_102 Depth=1
	s_or_b64 exec, exec, s[14:15]
	ds_read_b64 v[42:43], v93
	ds_read_b128 v[30:33], v92 offset:256
	ds_read_b128 v[26:29], v92 offset:272
	s_and_b64 vcc, exec, s[4:5]
	v_add_co_u32_e64 v85, s[4:5], v134, v87
	s_waitcnt vmcnt(0) lgkmcnt(2)
	v_mul_f32_e32 v44, v43, v72
	v_mul_f32_e32 v45, v43, v71
	;; [unrolled: 1-line block ×4, first 2 shown]
	v_fma_f32 v44, v42, v71, -v44
	v_fmac_f32_e32 v45, v42, v72
	v_fma_f32 v46, v42, v73, -v46
	v_fmac_f32_e32 v47, v42, v74
	ds_write2_b64 v94, v[44:45], v[46:47] offset1:67
	v_mul_f32_e32 v44, v43, v76
	v_mul_f32_e32 v45, v43, v75
	;; [unrolled: 1-line block ×4, first 2 shown]
	v_fma_f32 v44, v42, v75, -v44
	v_fmac_f32_e32 v45, v42, v76
	v_fma_f32 v46, v42, v77, -v46
	v_fmac_f32_e32 v47, v43, v77
	ds_write2_b64 v94, v[44:45], v[46:47] offset0:134 offset1:201
	s_waitcnt lgkmcnt(0)
	s_barrier
	ds_read2_b64 v[46:49], v95 offset1:1
	ds_read2_b64 v[42:45], v95 offset0:2 offset1:3
	v_addc_co_u32_e64 v86, s[4:5], 0, v135, s[4:5]
	s_waitcnt lgkmcnt(0)
	s_barrier
	s_cbranch_vccnz .LBB116_146
; %bb.139:                              ;   in Loop: Header=BB116_102 Depth=1
	v_mov_b32_e32 v81, 0
	v_mov_b32_e32 v79, 0
	;; [unrolled: 1-line block ×4, first 2 shown]
	v_cmp_gt_i32_e32 vcc, s20, v109
	s_and_saveexec_b64 s[4:5], vcc
	s_cbranch_execz .LBB116_141
; %bb.140:                              ;   in Loop: Header=BB116_102 Depth=1
	global_load_dwordx2 v[79:80], v[85:86], off
.LBB116_141:                            ;   in Loop: Header=BB116_102 Depth=1
	s_or_b64 exec, exec, s[4:5]
	v_cmp_gt_i32_e32 vcc, s20, v142
	s_and_saveexec_b64 s[4:5], vcc
	s_cbranch_execz .LBB116_143
; %bb.142:                              ;   in Loop: Header=BB116_102 Depth=1
	v_add_co_u32_e32 v81, vcc, v136, v87
	v_addc_co_u32_e32 v82, vcc, 0, v137, vcc
	global_load_dwordx2 v[81:82], v[81:82], off
.LBB116_143:                            ;   in Loop: Header=BB116_102 Depth=1
	s_or_b64 exec, exec, s[4:5]
	v_mov_b32_e32 v83, 0
	v_mov_b32_e32 v84, 0
	v_cmp_gt_i32_e32 vcc, s20, v143
	s_and_saveexec_b64 s[4:5], vcc
	s_cbranch_execz .LBB116_145
; %bb.144:                              ;   in Loop: Header=BB116_102 Depth=1
	v_add_co_u32_e32 v83, vcc, v138, v87
	v_addc_co_u32_e32 v84, vcc, 0, v139, vcc
	global_load_dwordx2 v[83:84], v[83:84], off
.LBB116_145:                            ;   in Loop: Header=BB116_102 Depth=1
	s_or_b64 exec, exec, s[4:5]
	v_cmp_gt_i32_e64 s[4:5], s20, v145
	s_branch .LBB116_148
.LBB116_146:                            ;   in Loop: Header=BB116_102 Depth=1
	s_mov_b64 s[4:5], 0
                                        ; implicit-def: $vgpr83_vgpr84
                                        ; implicit-def: $vgpr81_vgpr82
                                        ; implicit-def: $vgpr79_vgpr80
	s_cbranch_execz .LBB116_148
; %bb.147:                              ;   in Loop: Header=BB116_102 Depth=1
	s_waitcnt vmcnt(0)
	v_add_co_u32_e32 v81, vcc, v136, v87
	v_addc_co_u32_e32 v82, vcc, 0, v137, vcc
	v_add_co_u32_e32 v83, vcc, v138, v87
	v_addc_co_u32_e32 v84, vcc, 0, v139, vcc
	global_load_dwordx2 v[79:80], v[85:86], off
	s_or_b64 s[4:5], s[4:5], exec
	global_load_dwordx2 v[81:82], v[81:82], off
	s_nop 0
	global_load_dwordx2 v[83:84], v[83:84], off
.LBB116_148:                            ;   in Loop: Header=BB116_102 Depth=1
	v_mov_b32_e32 v85, 0
	v_mov_b32_e32 v86, 0
	s_and_saveexec_b64 s[8:9], s[4:5]
	s_cbranch_execz .LBB116_150
; %bb.149:                              ;   in Loop: Header=BB116_102 Depth=1
	v_add_co_u32_e32 v85, vcc, v140, v87
	v_addc_co_u32_e32 v86, vcc, 0, v141, vcc
	global_load_dwordx2 v[85:86], v[85:86], off
.LBB116_150:                            ;   in Loop: Header=BB116_102 Depth=1
	s_or_b64 exec, exec, s[8:9]
	v_add_f32_e32 v38, 0, v38
	v_add_f32_e32 v39, 0, v39
	;; [unrolled: 1-line block ×6, first 2 shown]
	ds_read_b64 v[38:39], v93
	v_add_f32_e32 v46, 0, v46
	v_add_f32_e32 v47, 0, v47
	;; [unrolled: 1-line block ×7, first 2 shown]
	s_waitcnt vmcnt(0) lgkmcnt(0)
	v_mul_f32_e32 v40, v39, v80
	v_mul_f32_e32 v41, v39, v79
	;; [unrolled: 1-line block ×4, first 2 shown]
	v_add_f32_e32 v23, 0, v23
	v_add_f32_e32 v22, v22, v24
	v_fma_f32 v40, v38, v79, -v40
	v_fmac_f32_e32 v41, v38, v80
	v_fma_f32 v46, v38, v81, -v46
	v_fmac_f32_e32 v47, v38, v82
	v_add_f32_e32 v42, v42, v44
	v_add_f32_e32 v43, v43, v45
	;; [unrolled: 1-line block ×6, first 2 shown]
	ds_read_b128 v[34:37], v92 offset:384
	ds_read_b128 v[22:25], v92 offset:400
	ds_write2_b64 v94, v[40:41], v[46:47] offset1:67
	v_mul_f32_e32 v40, v39, v84
	v_mul_f32_e32 v41, v39, v83
	;; [unrolled: 1-line block ×4, first 2 shown]
	v_fma_f32 v40, v38, v83, -v40
	v_fmac_f32_e32 v41, v38, v84
	v_fma_f32 v46, v38, v85, -v46
	v_fmac_f32_e32 v47, v39, v85
	ds_write2_b64 v94, v[40:41], v[46:47] offset0:134 offset1:201
	s_waitcnt lgkmcnt(0)
	s_barrier
	ds_read2_b64 v[38:41], v95 offset1:1
	v_add_f32_e32 v19, v48, v19
	v_add_f32_e32 v46, v18, v20
	;; [unrolled: 1-line block ×3, first 2 shown]
	ds_read2_b64 v[18:21], v95 offset0:2 offset1:3
	s_waitcnt lgkmcnt(1)
	v_add_f32_e32 v38, 0, v38
	v_add_f32_e32 v39, 0, v39
	v_cmp_gt_i32_e32 vcc, s20, v0
	v_add_f32_e32 v38, v38, v40
	v_add_f32_e32 v39, v39, v41
	s_or_b64 s[4:5], s[12:13], vcc
	s_waitcnt lgkmcnt(0)
	v_add_f32_e32 v18, v38, v18
	v_add_f32_e32 v19, v39, v19
	s_and_b64 s[8:9], s[2:3], s[4:5]
	v_add_f32_e32 v18, v18, v20
	v_add_f32_e32 v19, v19, v21
	s_barrier
	ds_write2_b64 v144, v[46:47], v[44:45] offset1:16
	ds_write2_b64 v144, v[42:43], v[18:19] offset0:32 offset1:48
	s_waitcnt lgkmcnt(0)
	s_barrier
	s_and_saveexec_b64 s[4:5], s[8:9]
	s_cbranch_execz .LBB116_152
; %bb.151:                              ;   in Loop: Header=BB116_102 Depth=1
	ds_read_b64 v[42:43], v96
	ds_read2_b64 v[18:21], v96 offset0:1 offset1:2
	ds_read2_b64 v[38:41], v96 offset0:3 offset1:4
	s_waitcnt lgkmcnt(1)
	v_add_f32_e32 v18, v18, v42
	v_add_f32_e32 v19, v19, v43
	;; [unrolled: 1-line block ×4, first 2 shown]
	ds_read2_b64 v[18:21], v96 offset0:5 offset1:6
	s_waitcnt lgkmcnt(1)
	v_add_f32_e32 v38, v42, v38
	v_add_f32_e32 v39, v43, v39
	;; [unrolled: 1-line block ×4, first 2 shown]
	s_waitcnt lgkmcnt(0)
	v_add_f32_e32 v18, v38, v18
	ds_read2_b64 v[38:41], v96 offset0:7 offset1:8
	v_add_f32_e32 v19, v42, v19
	v_add_f32_e32 v42, v18, v20
	;; [unrolled: 1-line block ×3, first 2 shown]
	ds_read2_b64 v[18:21], v96 offset0:9 offset1:10
	s_waitcnt lgkmcnt(1)
	v_add_f32_e32 v38, v42, v38
	v_add_f32_e32 v39, v43, v39
	;; [unrolled: 1-line block ×4, first 2 shown]
	s_waitcnt lgkmcnt(0)
	v_add_f32_e32 v18, v38, v18
	ds_read2_b64 v[38:41], v96 offset0:11 offset1:12
	v_add_f32_e32 v19, v42, v19
	v_add_f32_e32 v42, v18, v20
	;; [unrolled: 1-line block ×3, first 2 shown]
	ds_read2_b64 v[18:21], v96 offset0:13 offset1:14
	s_waitcnt lgkmcnt(1)
	v_add_f32_e32 v38, v42, v38
	v_add_f32_e32 v39, v43, v39
	v_add_f32_e32 v40, v38, v40
	v_add_f32_e32 v41, v39, v41
	ds_read_b64 v[38:39], v97
	s_waitcnt lgkmcnt(1)
	v_add_f32_e32 v18, v40, v18
	v_add_f32_e32 v19, v41, v19
	;; [unrolled: 1-line block ×3, first 2 shown]
	v_add_u32_e32 v20, s22, v0
	v_add_f32_e32 v19, v19, v21
	v_ashrrev_i32_e32 v21, 31, v20
	v_lshlrev_b64 v[20:21], 3, v[20:21]
	s_waitcnt lgkmcnt(0)
	v_add_f32_e32 v18, v18, v38
	v_mov_b32_e32 v38, s16
	v_add_co_u32_e32 v20, vcc, s7, v20
	v_add_f32_e32 v19, v19, v39
	v_addc_co_u32_e32 v21, vcc, v38, v21, vcc
	global_store_dwordx2 v[20:21], v[18:19], off
.LBB116_152:                            ;   in Loop: Header=BB116_102 Depth=1
	s_or_b64 exec, exec, s[4:5]
	v_mul_f32_e32 v18, v7, v56
	v_fma_f32 v18, v6, v55, -v18
	v_mul_f32_e32 v19, v9, v58
	v_mul_f32_e32 v7, v7, v55
	v_add_f32_e32 v18, v52, v18
	v_fma_f32 v19, v8, v57, -v19
	v_mul_f32_e32 v9, v9, v57
	v_add_f32_e32 v18, v18, v19
	v_mul_f32_e32 v19, v3, v60
	v_fmac_f32_e32 v7, v6, v56
	v_fma_f32 v19, v2, v59, -v19
	v_mul_f32_e32 v3, v3, v59
	v_add_f32_e32 v6, v53, v7
	v_fmac_f32_e32 v9, v8, v58
	v_add_f32_e32 v18, v18, v19
	v_mul_f32_e32 v19, v5, v62
	v_mul_f32_e32 v5, v5, v61
	v_add_f32_e32 v6, v6, v9
	v_fmac_f32_e32 v3, v2, v60
	v_fma_f32 v19, v4, v61, -v19
	v_add_f32_e32 v2, v6, v3
	v_fmac_f32_e32 v5, v4, v62
	v_mul_f32_e32 v3, v15, v64
	v_add_f32_e32 v18, v18, v19
	v_add_f32_e32 v2, v2, v5
	v_fma_f32 v3, v14, v63, -v3
	v_mul_f32_e32 v5, v17, v66
	v_add_f32_e32 v3, v18, v3
	v_fma_f32 v5, v16, v65, -v5
	v_mul_f32_e32 v4, v15, v63
	v_add_f32_e32 v3, v3, v5
	v_mul_f32_e32 v5, v11, v68
	v_mul_f32_e32 v6, v17, v65
	v_fma_f32 v5, v10, v67, -v5
	v_fmac_f32_e32 v4, v14, v64
	v_mul_f32_e32 v7, v11, v67
	v_add_f32_e32 v3, v3, v5
	v_mul_f32_e32 v5, v13, v70
	v_add_f32_e32 v2, v2, v4
	v_fmac_f32_e32 v6, v16, v66
	v_fma_f32 v5, v12, v69, -v5
	v_mul_f32_e32 v8, v13, v69
	v_add_f32_e32 v2, v2, v6
	v_fmac_f32_e32 v7, v10, v68
	v_add_f32_e32 v3, v3, v5
	v_add_f32_e32 v2, v2, v7
	v_fmac_f32_e32 v8, v12, v70
	v_mul_f32_e32 v5, v31, v71
	v_add_f32_e32 v2, v2, v8
	v_mul_f32_e32 v6, v33, v73
	v_fmac_f32_e32 v5, v30, v72
	v_mul_f32_e32 v7, v27, v75
	v_add_f32_e32 v2, v2, v5
	v_fmac_f32_e32 v6, v32, v74
	v_mul_f32_e32 v8, v29, v77
	v_add_f32_e32 v2, v2, v6
	v_fmac_f32_e32 v7, v26, v76
	v_add_f32_e32 v2, v2, v7
	v_fmac_f32_e32 v8, v28, v78
	v_mul_f32_e32 v5, v35, v79
	v_add_f32_e32 v2, v2, v8
	v_mul_f32_e32 v6, v37, v81
	v_fmac_f32_e32 v5, v34, v80
	v_mul_f32_e32 v7, v23, v83
	v_fmac_f32_e32 v6, v36, v82
	v_add_f32_e32 v2, v2, v5
	v_mul_f32_e32 v8, v25, v85
	v_fmac_f32_e32 v7, v22, v84
	v_add_f32_e32 v2, v2, v6
	v_fmac_f32_e32 v8, v24, v86
	v_add_f32_e32 v2, v2, v7
	v_add_f32_e32 v53, v2, v8
	v_mov_b32_e32 v2, s11
	v_add_co_u32_e32 v110, vcc, s10, v110
	v_addc_co_u32_e32 v111, vcc, v111, v2, vcc
	v_add_co_u32_e32 v112, vcc, s10, v112
	v_addc_co_u32_e32 v113, vcc, v113, v2, vcc
	;; [unrolled: 2-line block ×7, first 2 shown]
	v_add_co_u32_e32 v124, vcc, s10, v124
	v_mul_f32_e32 v4, v31, v72
	v_addc_co_u32_e32 v125, vcc, v125, v2, vcc
	v_fma_f32 v4, v30, v71, -v4
	v_add_co_u32_e32 v126, vcc, s10, v126
	v_add_f32_e32 v3, v3, v4
	v_mul_f32_e32 v4, v33, v74
	v_addc_co_u32_e32 v127, vcc, v127, v2, vcc
	v_fma_f32 v4, v32, v73, -v4
	v_add_co_u32_e32 v128, vcc, s10, v128
	v_add_f32_e32 v3, v3, v4
	;; [unrolled: 5-line block ×7, first 2 shown]
	v_mul_f32_e32 v4, v25, v86
	v_addc_co_u32_e32 v139, vcc, v139, v2, vcc
	v_fma_f32 v4, v24, v85, -v4
	s_add_i32 s4, s6, 1
	s_add_i32 s22, s22, 64
	;; [unrolled: 1-line block ×3, first 2 shown]
	v_add_co_u32_e32 v140, vcc, s10, v140
	v_add_f32_e32 v52, v3, v4
	s_cmp_ge_u32 s5, s33
	v_addc_co_u32_e32 v141, vcc, v141, v2, vcc
	s_waitcnt vmcnt(0)
	s_barrier
	s_cbranch_scc1 .LBB116_154
; %bb.153:                              ;   in Loop: Header=BB116_102 Depth=1
	s_mov_b32 s6, s4
	s_cmp_eq_u32 s17, s6
	s_cselect_b32 s20, s36, 0
	s_and_saveexec_b64 s[4:5], s[0:1]
	s_cbranch_execnz .LBB116_98
	s_branch .LBB116_102
.LBB116_154:
	s_movk_i32 s2, 0x218
	v_cmp_gt_i32_e32 vcc, s24, v0
	v_mad_u32_u24 v1, v1, s2, v87
	s_or_b64 s[2:3], s[18:19], vcc
	s_and_b64 s[0:1], s[0:1], s[2:3]
	ds_write_b64 v1, v[52:53]
	s_waitcnt lgkmcnt(0)
	s_barrier
	s_and_saveexec_b64 s[2:3], s[0:1]
	s_cbranch_execz .LBB116_156
; %bb.155:
	ds_read2_b64 v[0:3], v87 offset1:67
	ds_read2_b64 v[4:7], v87 offset0:134 offset1:201
	s_waitcnt lgkmcnt(1)
	v_add_f32_e32 v0, v2, v0
	v_add_f32_e32 v1, v3, v1
	v_lshlrev_b64 v[2:3], 3, v[50:51]
	s_waitcnt lgkmcnt(0)
	v_add_f32_e32 v0, v4, v0
	v_add_f32_e32 v1, v5, v1
	v_mov_b32_e32 v4, s16
	v_add_co_u32_e32 v2, vcc, s7, v2
	v_add_f32_e32 v0, v0, v6
	v_add_f32_e32 v1, v1, v7
	v_addc_co_u32_e32 v3, vcc, v4, v3, vcc
	global_store_dwordx2 v[2:3], v[0:1], off
.LBB116_156:
	s_endpgm
	.section	.rodata,"a",@progbits
	.p2align	6, 0x0
	.amdhsa_kernel _ZL26rocblas_hemvn_kernel_upperILb0ELi64ELi4ELi33ELi32ELi16El19rocblas_complex_numIfEPKS1_PS1_EviT6_lT7_lT5_lS6_lS7_lS5_lT8_i
		.amdhsa_group_segment_fixed_size 9600
		.amdhsa_private_segment_fixed_size 0
		.amdhsa_kernarg_size 376
		.amdhsa_user_sgpr_count 6
		.amdhsa_user_sgpr_private_segment_buffer 1
		.amdhsa_user_sgpr_dispatch_ptr 0
		.amdhsa_user_sgpr_queue_ptr 0
		.amdhsa_user_sgpr_kernarg_segment_ptr 1
		.amdhsa_user_sgpr_dispatch_id 0
		.amdhsa_user_sgpr_flat_scratch_init 0
		.amdhsa_user_sgpr_private_segment_size 0
		.amdhsa_uses_dynamic_stack 0
		.amdhsa_system_sgpr_private_segment_wavefront_offset 0
		.amdhsa_system_sgpr_workgroup_id_x 1
		.amdhsa_system_sgpr_workgroup_id_y 0
		.amdhsa_system_sgpr_workgroup_id_z 1
		.amdhsa_system_sgpr_workgroup_info 0
		.amdhsa_system_vgpr_workitem_id 1
		.amdhsa_next_free_vgpr 146
		.amdhsa_next_free_sgpr 93
		.amdhsa_reserve_vcc 1
		.amdhsa_reserve_flat_scratch 0
		.amdhsa_float_round_mode_32 0
		.amdhsa_float_round_mode_16_64 0
		.amdhsa_float_denorm_mode_32 3
		.amdhsa_float_denorm_mode_16_64 3
		.amdhsa_dx10_clamp 1
		.amdhsa_ieee_mode 1
		.amdhsa_fp16_overflow 0
		.amdhsa_exception_fp_ieee_invalid_op 0
		.amdhsa_exception_fp_denorm_src 0
		.amdhsa_exception_fp_ieee_div_zero 0
		.amdhsa_exception_fp_ieee_overflow 0
		.amdhsa_exception_fp_ieee_underflow 0
		.amdhsa_exception_fp_ieee_inexact 0
		.amdhsa_exception_int_div_zero 0
	.end_amdhsa_kernel
	.section	.text._ZL26rocblas_hemvn_kernel_upperILb0ELi64ELi4ELi33ELi32ELi16El19rocblas_complex_numIfEPKS1_PS1_EviT6_lT7_lT5_lS6_lS7_lS5_lT8_i,"axG",@progbits,_ZL26rocblas_hemvn_kernel_upperILb0ELi64ELi4ELi33ELi32ELi16El19rocblas_complex_numIfEPKS1_PS1_EviT6_lT7_lT5_lS6_lS7_lS5_lT8_i,comdat
.Lfunc_end116:
	.size	_ZL26rocblas_hemvn_kernel_upperILb0ELi64ELi4ELi33ELi32ELi16El19rocblas_complex_numIfEPKS1_PS1_EviT6_lT7_lT5_lS6_lS7_lS5_lT8_i, .Lfunc_end116-_ZL26rocblas_hemvn_kernel_upperILb0ELi64ELi4ELi33ELi32ELi16El19rocblas_complex_numIfEPKS1_PS1_EviT6_lT7_lT5_lS6_lS7_lS5_lT8_i
                                        ; -- End function
	.set _ZL26rocblas_hemvn_kernel_upperILb0ELi64ELi4ELi33ELi32ELi16El19rocblas_complex_numIfEPKS1_PS1_EviT6_lT7_lT5_lS6_lS7_lS5_lT8_i.num_vgpr, 146
	.set _ZL26rocblas_hemvn_kernel_upperILb0ELi64ELi4ELi33ELi32ELi16El19rocblas_complex_numIfEPKS1_PS1_EviT6_lT7_lT5_lS6_lS7_lS5_lT8_i.num_agpr, 0
	.set _ZL26rocblas_hemvn_kernel_upperILb0ELi64ELi4ELi33ELi32ELi16El19rocblas_complex_numIfEPKS1_PS1_EviT6_lT7_lT5_lS6_lS7_lS5_lT8_i.numbered_sgpr, 42
	.set _ZL26rocblas_hemvn_kernel_upperILb0ELi64ELi4ELi33ELi32ELi16El19rocblas_complex_numIfEPKS1_PS1_EviT6_lT7_lT5_lS6_lS7_lS5_lT8_i.num_named_barrier, 0
	.set _ZL26rocblas_hemvn_kernel_upperILb0ELi64ELi4ELi33ELi32ELi16El19rocblas_complex_numIfEPKS1_PS1_EviT6_lT7_lT5_lS6_lS7_lS5_lT8_i.private_seg_size, 0
	.set _ZL26rocblas_hemvn_kernel_upperILb0ELi64ELi4ELi33ELi32ELi16El19rocblas_complex_numIfEPKS1_PS1_EviT6_lT7_lT5_lS6_lS7_lS5_lT8_i.uses_vcc, 1
	.set _ZL26rocblas_hemvn_kernel_upperILb0ELi64ELi4ELi33ELi32ELi16El19rocblas_complex_numIfEPKS1_PS1_EviT6_lT7_lT5_lS6_lS7_lS5_lT8_i.uses_flat_scratch, 0
	.set _ZL26rocblas_hemvn_kernel_upperILb0ELi64ELi4ELi33ELi32ELi16El19rocblas_complex_numIfEPKS1_PS1_EviT6_lT7_lT5_lS6_lS7_lS5_lT8_i.has_dyn_sized_stack, 0
	.set _ZL26rocblas_hemvn_kernel_upperILb0ELi64ELi4ELi33ELi32ELi16El19rocblas_complex_numIfEPKS1_PS1_EviT6_lT7_lT5_lS6_lS7_lS5_lT8_i.has_recursion, 0
	.set _ZL26rocblas_hemvn_kernel_upperILb0ELi64ELi4ELi33ELi32ELi16El19rocblas_complex_numIfEPKS1_PS1_EviT6_lT7_lT5_lS6_lS7_lS5_lT8_i.has_indirect_call, 0
	.section	.AMDGPU.csdata,"",@progbits
; Kernel info:
; codeLenInByte = 8276
; TotalNumSgprs: 46
; NumVgprs: 146
; ScratchSize: 0
; MemoryBound: 1
; FloatMode: 240
; IeeeMode: 1
; LDSByteSize: 9600 bytes/workgroup (compile time only)
; SGPRBlocks: 12
; VGPRBlocks: 36
; NumSGPRsForWavesPerEU: 97
; NumVGPRsForWavesPerEU: 146
; Occupancy: 1
; WaveLimiterHint : 0
; COMPUTE_PGM_RSRC2:SCRATCH_EN: 0
; COMPUTE_PGM_RSRC2:USER_SGPR: 6
; COMPUTE_PGM_RSRC2:TRAP_HANDLER: 0
; COMPUTE_PGM_RSRC2:TGID_X_EN: 1
; COMPUTE_PGM_RSRC2:TGID_Y_EN: 0
; COMPUTE_PGM_RSRC2:TGID_Z_EN: 1
; COMPUTE_PGM_RSRC2:TIDIG_COMP_CNT: 1
	.section	.text._ZL26rocblas_hemvn_kernel_upperILb0ELi64ELi4ELi33ELi32ELi16Ei19rocblas_complex_numIfEPKS1_PS1_EviT6_lT7_lT5_lS6_lS7_lS5_lT8_i,"axG",@progbits,_ZL26rocblas_hemvn_kernel_upperILb0ELi64ELi4ELi33ELi32ELi16Ei19rocblas_complex_numIfEPKS1_PS1_EviT6_lT7_lT5_lS6_lS7_lS5_lT8_i,comdat
	.globl	_ZL26rocblas_hemvn_kernel_upperILb0ELi64ELi4ELi33ELi32ELi16Ei19rocblas_complex_numIfEPKS1_PS1_EviT6_lT7_lT5_lS6_lS7_lS5_lT8_i ; -- Begin function _ZL26rocblas_hemvn_kernel_upperILb0ELi64ELi4ELi33ELi32ELi16Ei19rocblas_complex_numIfEPKS1_PS1_EviT6_lT7_lT5_lS6_lS7_lS5_lT8_i
	.p2align	8
	.type	_ZL26rocblas_hemvn_kernel_upperILb0ELi64ELi4ELi33ELi32ELi16Ei19rocblas_complex_numIfEPKS1_PS1_EviT6_lT7_lT5_lS6_lS7_lS5_lT8_i,@function
_ZL26rocblas_hemvn_kernel_upperILb0ELi64ELi4ELi33ELi32ELi16Ei19rocblas_complex_numIfEPKS1_PS1_EviT6_lT7_lT5_lS6_lS7_lS5_lT8_i: ; @_ZL26rocblas_hemvn_kernel_upperILb0ELi64ELi4ELi33ELi32ELi16Ei19rocblas_complex_numIfEPKS1_PS1_EviT6_lT7_lT5_lS6_lS7_lS5_lT8_i
; %bb.0:
	s_load_dwordx2 s[2:3], s[4:5], 0x84
	s_add_u32 s0, s4, 0x78
	s_addc_u32 s1, s5, 0
	s_waitcnt lgkmcnt(0)
	s_lshr_b32 s8, s2, 16
	s_and_b32 s2, s2, 0xffff
	s_and_b32 s3, s3, 0xffff
	s_mul_i32 s2, s8, s2
	s_mul_i32 s2, s2, s3
	s_cmpk_lg_i32 s2, 0x100
	s_cbranch_scc1 .LBB117_156
; %bb.1:
	s_load_dwordx2 s[2:3], s[4:5], 0x4
	s_mov_b64 s[8:9], -1
	s_waitcnt lgkmcnt(0)
	s_or_b32 s2, s2, s3
	s_bitset0_b32 s2, 31
	s_cmp_lg_u32 s2, 0
	s_cselect_b64 s[2:3], -1, 0
	s_and_b64 vcc, exec, s[2:3]
	s_cbranch_vccnz .LBB117_3
; %bb.2:
	s_load_dwordx2 s[8:9], s[4:5], 0x58
	s_waitcnt lgkmcnt(0)
	v_cmp_neq_f32_e64 s[10:11], s8, 1.0
	v_cmp_neq_f32_e64 s[8:9], s9, 0
	s_or_b64 s[8:9], s[10:11], s[8:9]
.LBB117_3:
	s_andn2_b64 vcc, exec, s[8:9]
	s_cbranch_vccnz .LBB117_156
; %bb.4:
	s_andn2_b64 vcc, exec, s[2:3]
	s_cbranch_vccnz .LBB117_156
; %bb.5:
	s_load_dwordx2 s[2:3], s[4:5], 0x40
	s_load_dwordx2 s[12:13], s[4:5], 0x50
	s_load_dword s39, s[4:5], 0x48
	s_load_dword s33, s[0:1], 0x0
	;; [unrolled: 1-line block ×3, first 2 shown]
	s_load_dwordx4 s[8:11], s[4:5], 0x30
	s_waitcnt lgkmcnt(0)
	s_mul_i32 s0, s13, s7
	s_mul_hi_u32 s1, s12, s7
	s_add_i32 s1, s1, s0
	s_mul_i32 s0, s12, s7
	s_lshl_b64 s[0:1], s[0:1], 3
	s_add_u32 s10, s10, s0
	s_addc_u32 s11, s11, s1
	s_lshl_b64 s[0:1], s[2:3], 3
	s_add_u32 s0, s10, s0
	s_addc_u32 s1, s11, s1
	s_lshl_b32 s24, s6, 6
	v_add_u32_e32 v50, s24, v0
	v_mul_lo_u32 v2, s39, v50
	s_ashr_i32 s41, s40, 31
	s_lshr_b32 s3, s41, 26
	s_add_i32 s3, s40, s3
	v_ashrrev_i32_e32 v3, 31, v2
	s_andn2_b32 s3, s3, 63
	v_lshlrev_b64 v[2:3], 3, v[2:3]
	s_add_i32 s2, s33, -1
	s_sub_i32 s38, s40, s3
	s_cmp_eq_u32 s6, s2
	v_mov_b32_e32 v4, s1
	v_add_co_u32_e32 v16, vcc, s0, v2
	s_cselect_b32 s18, s38, 0
	v_addc_co_u32_e32 v17, vcc, v4, v3, vcc
	v_cmp_eq_u32_e64 s[0:1], 0, v1
	s_and_saveexec_b64 s[2:3], s[0:1]
	s_cbranch_execz .LBB117_10
; %bb.6:
	s_cmp_lg_u32 s18, 0
	s_cselect_b64 s[10:11], -1, 0
	v_cmp_le_i32_e32 vcc, s18, v0
	v_mov_b32_e32 v2, 0x2380
	s_and_b64 s[10:11], s[10:11], vcc
	v_lshl_add_u32 v2, v0, 3, v2
	s_and_saveexec_b64 s[12:13], s[10:11]
	s_xor_b64 s[10:11], exec, s[12:13]
; %bb.7:
	v_mov_b32_e32 v3, 0
	v_mov_b32_e32 v4, v3
	ds_write_b64 v2, v[3:4]
                                        ; implicit-def: $vgpr2
; %bb.8:
	s_andn2_saveexec_b64 s[10:11], s[10:11]
	s_cbranch_execz .LBB117_10
; %bb.9:
	global_load_dwordx2 v[3:4], v[16:17], off
	s_waitcnt vmcnt(0)
	ds_write_b64 v2, v[3:4]
.LBB117_10:
	s_or_b64 exec, exec, s[2:3]
	s_load_dwordx4 s[12:15], s[4:5], 0x18
	s_load_dword s22, s[4:5], 0x28
	s_mul_i32 s2, s9, s7
	s_mul_hi_u32 s3, s8, s7
	s_add_i32 s3, s3, s2
	s_mul_i32 s2, s8, s7
	s_lshl_b64 s[2:3], s[2:3], 3
	s_waitcnt lgkmcnt(0)
	s_add_u32 s8, s12, s2
	v_lshl_add_u32 v24, v1, 6, v0
	s_addc_u32 s9, s13, s3
	s_lshl_b64 s[2:3], s[14:15], 3
	v_and_b32_e32 v2, 31, v0
	v_lshrrev_b32_e32 v9, 5, v24
	s_add_u32 s8, s8, s2
	s_addc_u32 s9, s9, s3
	v_mad_u64_u32 v[3:4], s[2:3], s22, v9, v[2:3]
	s_ashr_i32 s25, s24, 31
	s_lshl_b64 s[2:3], s[24:25], 3
	v_ashrrev_i32_e32 v4, 31, v3
	v_lshlrev_b64 v[14:15], 3, v[3:4]
	s_add_u32 s2, s8, s2
	s_addc_u32 s3, s9, s3
	v_add_co_u32_e32 v4, vcc, s2, v14
	s_mul_i32 s2, s22, s24
	v_mov_b32_e32 v3, s3
	s_ashr_i32 s3, s2, 31
	s_lshl_b64 s[2:3], s[2:3], 3
	v_addc_co_u32_e32 v5, vcc, v3, v15, vcc
	s_cmp_eq_u32 s18, 0
	v_mov_b32_e32 v6, s3
	v_add_co_u32_e32 v3, vcc, s2, v4
	s_cselect_b64 s[20:21], -1, 0
	s_cmp_lg_u32 s18, 0
	v_addc_co_u32_e32 v4, vcc, v5, v6, vcc
	s_cselect_b64 s[30:31], -1, 0
	s_and_b64 vcc, exec, s[30:31]
	v_cmp_gt_i32_e64 s[2:3], s18, v2
	v_lshlrev_b32_e32 v10, 3, v2
	s_cbranch_vccz .LBB117_28
; %bb.11:
	v_sub_co_u32_e32 v5, vcc, v3, v10
	s_ashr_i32 s19, s18, 31
	v_subbrev_co_u32_e32 v6, vcc, 0, v4, vcc
	s_lshl_b64 s[8:9], s[18:19], 3
	v_mov_b32_e32 v7, s9
	v_add_co_u32_e32 v5, vcc, s8, v5
	v_addc_co_u32_e32 v6, vcc, v6, v7, vcc
	v_add_co_u32_e32 v5, vcc, -8, v5
	v_addc_co_u32_e32 v6, vcc, -1, v6, vcc
	v_mul_u32_u24_e32 v7, 0x108, v9
	v_cndmask_b32_e64 v6, v6, v4, s[2:3]
	v_cndmask_b32_e64 v5, v5, v3, s[2:3]
	v_cmp_le_i32_e32 vcc, s18, v9
	v_add_u32_e32 v7, v10, v7
	s_and_saveexec_b64 s[10:11], vcc
	s_xor_b64 s[10:11], exec, s[10:11]
; %bb.12:
	v_mov_b32_e32 v11, 0
	v_mov_b32_e32 v12, v11
	ds_write_b64 v7, v[11:12]
; %bb.13:
	s_andn2_saveexec_b64 s[10:11], s[10:11]
	s_cbranch_execz .LBB117_15
; %bb.14:
	global_load_dwordx2 v[11:12], v[5:6], off
	s_waitcnt vmcnt(0)
	ds_write_b64 v7, v[11:12]
.LBB117_15:
	s_or_b64 exec, exec, s[10:11]
	v_add_u32_e32 v8, 8, v9
	v_cmp_le_i32_e32 vcc, s18, v8
	s_and_saveexec_b64 s[10:11], vcc
	s_xor_b64 s[10:11], exec, s[10:11]
; %bb.16:
	v_mov_b32_e32 v11, 0
	v_mov_b32_e32 v12, v11
	ds_write_b64 v7, v[11:12] offset:2112
; %bb.17:
	s_andn2_saveexec_b64 s[10:11], s[10:11]
	s_cbranch_execz .LBB117_19
; %bb.18:
	s_lshl_b32 s12, s22, 3
	s_ashr_i32 s13, s12, 31
	s_lshl_b64 s[12:13], s[12:13], 3
	v_mov_b32_e32 v8, s13
	v_add_co_u32_e32 v11, vcc, s12, v5
	v_addc_co_u32_e32 v12, vcc, v6, v8, vcc
	global_load_dwordx2 v[11:12], v[11:12], off
	s_waitcnt vmcnt(0)
	ds_write_b64 v7, v[11:12] offset:2112
.LBB117_19:
	s_or_b64 exec, exec, s[10:11]
	v_add_u32_e32 v8, 16, v9
	v_cmp_le_i32_e32 vcc, s18, v8
	s_and_saveexec_b64 s[10:11], vcc
	s_xor_b64 s[10:11], exec, s[10:11]
; %bb.20:
	v_mov_b32_e32 v11, 0
	v_mov_b32_e32 v12, v11
	ds_write_b64 v7, v[11:12] offset:4224
; %bb.21:
	s_andn2_saveexec_b64 s[10:11], s[10:11]
	s_cbranch_execz .LBB117_23
; %bb.22:
	s_lshl_b32 s12, s22, 4
	s_ashr_i32 s13, s12, 31
	s_lshl_b64 s[12:13], s[12:13], 3
	v_mov_b32_e32 v8, s13
	v_add_co_u32_e32 v11, vcc, s12, v5
	v_addc_co_u32_e32 v12, vcc, v6, v8, vcc
	global_load_dwordx2 v[11:12], v[11:12], off
	s_waitcnt vmcnt(0)
	ds_write_b64 v7, v[11:12] offset:4224
.LBB117_23:
	s_or_b64 exec, exec, s[10:11]
	v_add_u32_e32 v8, 24, v9
	v_cmp_le_i32_e32 vcc, s18, v8
	s_and_saveexec_b64 s[10:11], vcc
	s_xor_b64 s[10:11], exec, s[10:11]
; %bb.24:
	v_mov_b32_e32 v11, 0
	v_mov_b32_e32 v12, v11
	ds_write_b64 v7, v[11:12] offset:6336
                                        ; implicit-def: $vgpr7
; %bb.25:
	s_andn2_saveexec_b64 s[10:11], s[10:11]
	s_cbranch_execz .LBB117_27
; %bb.26:
	s_mul_i32 s12, s22, 24
	s_ashr_i32 s13, s12, 31
	s_lshl_b64 s[12:13], s[12:13], 3
	v_mov_b32_e32 v8, s13
	v_add_co_u32_e32 v11, vcc, s12, v5
	v_addc_co_u32_e32 v12, vcc, v6, v8, vcc
	global_load_dwordx2 v[11:12], v[11:12], off
	s_waitcnt vmcnt(0)
	ds_write_b64 v7, v[11:12] offset:6336
.LBB117_27:
	s_or_b64 exec, exec, s[10:11]
	v_add_co_u32_e32 v5, vcc, v5, v10
	v_addc_co_u32_e32 v6, vcc, 0, v6, vcc
	v_mov_b32_e32 v7, s9
	v_subrev_co_u32_e32 v5, vcc, s8, v5
	v_subb_co_u32_e32 v6, vcc, v6, v7, vcc
	v_add_co_u32_e32 v5, vcc, 8, v5
	v_addc_co_u32_e32 v6, vcc, 0, v6, vcc
	v_cndmask_b32_e64 v6, v6, v4, s[2:3]
	v_cndmask_b32_e64 v5, v5, v3, s[2:3]
	s_branch .LBB117_30
.LBB117_28:
                                        ; implicit-def: $vgpr5_vgpr6
	s_cbranch_execz .LBB117_30
; %bb.29:
	s_lshl_b32 s2, s22, 3
	s_ashr_i32 s3, s2, 31
	s_lshl_b64 s[2:3], s[2:3], 3
	v_mov_b32_e32 v6, s3
	v_add_co_u32_e32 v5, vcc, s2, v3
	s_ashr_i32 s23, s22, 31
	v_addc_co_u32_e32 v6, vcc, v4, v6, vcc
	s_lshl_b64 s[2:3], s[22:23], 6
	v_mov_b32_e32 v12, s3
	v_add_co_u32_e32 v7, vcc, s2, v5
	v_addc_co_u32_e32 v8, vcc, v6, v12, vcc
	v_add_co_u32_e32 v11, vcc, s2, v7
	v_addc_co_u32_e32 v12, vcc, v8, v12, vcc
	global_load_dwordx2 v[18:19], v[3:4], off
	global_load_dwordx2 v[20:21], v[5:6], off
	;; [unrolled: 1-line block ×4, first 2 shown]
	v_mul_u32_u24_e32 v5, 0x108, v9
	v_lshl_add_u32 v5, v2, 3, v5
	s_waitcnt vmcnt(3)
	ds_write_b64 v5, v[18:19]
	s_waitcnt vmcnt(2)
	ds_write_b64 v5, v[20:21] offset:2112
	s_waitcnt vmcnt(1)
	ds_write_b64 v5, v[22:23] offset:4224
	s_waitcnt vmcnt(0)
	ds_write_b64 v5, v[25:26] offset:6336
	v_mov_b32_e32 v6, v4
	v_mov_b32_e32 v5, v3
.LBB117_30:
	v_lshlrev_b32_e32 v13, 2, v9
	v_lshl_or_b32 v3, v2, 8, v10
	v_cmp_gt_u32_e64 s[16:17], v13, v2
	v_lshl_add_u32 v3, v13, 3, v3
	s_waitcnt lgkmcnt(0)
	s_barrier
	s_and_saveexec_b64 s[2:3], s[16:17]
	s_cbranch_execz .LBB117_32
; %bb.31:
	s_movk_i32 s8, 0x420
	v_mad_u32_u24 v4, v9, s8, v10
	ds_read_b64 v[7:8], v4
	s_waitcnt lgkmcnt(0)
	ds_write_b64 v3, v[7:8]
.LBB117_32:
	s_or_b64 exec, exec, s[2:3]
	v_or_b32_e32 v12, 1, v13
	v_cmp_ge_u32_e64 s[8:9], v13, v2
	s_and_saveexec_b64 s[2:3], s[8:9]
	s_cbranch_execz .LBB117_34
; %bb.33:
	s_movk_i32 s10, 0x108
	v_mad_u32_u24 v4, v12, s10, v10
	ds_read_b64 v[7:8], v4
	s_waitcnt lgkmcnt(0)
	ds_write_b64 v3, v[7:8] offset:8
.LBB117_34:
	s_or_b64 exec, exec, s[2:3]
	v_or_b32_e32 v4, 2, v13
	v_cmp_gt_u32_e64 s[10:11], v4, v2
	s_and_saveexec_b64 s[2:3], s[10:11]
	s_cbranch_execz .LBB117_36
; %bb.35:
	s_movk_i32 s12, 0x108
	v_mad_u32_u24 v4, v4, s12, v10
	ds_read_b64 v[7:8], v4
	s_waitcnt lgkmcnt(0)
	ds_write_b64 v3, v[7:8] offset:16
.LBB117_36:
	s_or_b64 exec, exec, s[2:3]
	v_or_b32_e32 v7, 3, v13
	v_cmp_gt_u32_e64 s[12:13], v7, v2
	v_cmp_le_u32_e32 vcc, v7, v2
                                        ; implicit-def: $vgpr4
	s_and_saveexec_b64 s[2:3], vcc
	s_xor_b64 s[2:3], exec, s[2:3]
; %bb.37:
	v_mul_u32_u24_e32 v4, 0x108, v7
                                        ; implicit-def: $vgpr7
                                        ; implicit-def: $vgpr3
; %bb.38:
	s_andn2_saveexec_b64 s[2:3], s[2:3]
	s_cbranch_execz .LBB117_40
; %bb.39:
	s_movk_i32 s14, 0x108
	v_mad_u32_u24 v4, v7, s14, v10
	ds_read_b64 v[18:19], v4
	v_mul_u32_u24_e32 v4, 0x108, v7
	s_waitcnt lgkmcnt(0)
	ds_write_b64 v3, v[18:19] offset:24
.LBB117_40:
	s_or_b64 exec, exec, s[2:3]
	s_movk_i32 s2, 0x420
	v_mad_u32_u24 v3, v9, s2, v10
	s_movk_i32 s2, 0x108
	v_mad_u32_u24 v11, v12, s2, v10
	s_waitcnt lgkmcnt(0)
	s_barrier
	v_lshlrev_b32_e32 v18, 3, v13
	ds_read_b64 v[7:8], v3
	ds_read_b128 v[19:22], v18 offset:9088
	ds_read_b128 v[25:28], v18 offset:9104
	ds_read2_b64 v[29:32], v11 offset1:33
	v_mov_b32_e32 v51, 0
	v_cmp_gt_u32_e64 s[2:3], 32, v24
	s_waitcnt lgkmcnt(2)
	v_mul_f32_e32 v3, v20, v8
	v_mul_f32_e32 v8, v19, v8
	v_fmac_f32_e32 v8, v20, v7
	s_waitcnt lgkmcnt(0)
	v_mul_f32_e32 v11, v21, v30
	v_fma_f32 v3, v19, v7, -v3
	v_add_f32_e32 v7, 0, v8
	v_mul_f32_e32 v8, v22, v30
	v_fmac_f32_e32 v11, v22, v29
	v_add_f32_e32 v3, 0, v3
	v_fma_f32 v8, v21, v29, -v8
	v_add_f32_e32 v7, v7, v11
	v_add_u32_e32 v11, v10, v4
	v_add_f32_e32 v8, v3, v8
	ds_read_b64 v[3:4], v11
	v_mul_f32_e32 v19, v26, v32
	v_fma_f32 v19, v25, v31, -v19
	v_mul_f32_e32 v20, v25, v32
	v_fmac_f32_e32 v20, v26, v31
	v_add_f32_e32 v8, v8, v19
	s_waitcnt lgkmcnt(0)
	v_mul_f32_e32 v19, v28, v4
	v_mul_f32_e32 v4, v27, v4
	v_add_f32_e32 v7, v7, v20
	v_fmac_f32_e32 v4, v28, v3
	v_add_f32_e32 v4, v7, v4
	v_mul_u32_u24_e32 v7, 33, v2
	v_fma_f32 v19, v27, v3, -v19
	v_lshlrev_b32_e32 v25, 3, v7
	v_add_f32_e32 v3, v8, v19
	v_lshl_add_u32 v26, v9, 3, v25
	v_mov_b32_e32 v52, 0
	s_barrier
	ds_write_b64 v26, v[3:4]
	s_waitcnt lgkmcnt(0)
	s_barrier
	s_and_saveexec_b64 s[14:15], s[2:3]
	s_cbranch_execz .LBB117_42
; %bb.41:
	ds_read2_b64 v[19:22], v25 offset1:7
	ds_read2_b64 v[27:30], v25 offset0:1 offset1:2
	ds_read2_b64 v[31:34], v25 offset0:3 offset1:4
	s_waitcnt lgkmcnt(1)
	v_add_f32_e32 v3, v27, v19
	v_add_f32_e32 v4, v28, v20
	;; [unrolled: 1-line block ×4, first 2 shown]
	ds_read2_b64 v[27:30], v25 offset0:5 offset1:6
	s_waitcnt lgkmcnt(1)
	v_add_f32_e32 v3, v3, v31
	v_add_f32_e32 v4, v4, v32
	;; [unrolled: 1-line block ×4, first 2 shown]
	s_waitcnt lgkmcnt(0)
	v_add_f32_e32 v3, v3, v27
	v_add_f32_e32 v4, v4, v28
	;; [unrolled: 1-line block ×6, first 2 shown]
.LBB117_42:
	s_or_b64 exec, exec, s[14:15]
	s_lshl_b32 s26, s22, 5
	s_ashr_i32 s27, s26, 31
	s_lshl_b64 s[28:29], s[26:27], 3
	v_mov_b32_e32 v3, s29
	v_add_co_u32_e32 v7, vcc, s28, v5
	v_addc_co_u32_e32 v8, vcc, v6, v3, vcc
	v_add_co_u32_e32 v5, vcc, 0x100, v7
	v_addc_co_u32_e32 v6, vcc, 0, v8, vcc
	s_and_b64 vcc, exec, s[30:31]
	s_barrier
	s_cbranch_vccz .LBB117_60
; %bb.43:
	v_sub_co_u32_e32 v4, vcc, v7, v10
	s_ashr_i32 s19, s18, 31
	v_subbrev_co_u32_e32 v19, vcc, 0, v8, vcc
	s_lshl_b64 s[34:35], s[18:19], 3
	v_mov_b32_e32 v20, s35
	v_add_co_u32_e32 v4, vcc, s34, v4
	v_addc_co_u32_e32 v19, vcc, v19, v20, vcc
	v_or_b32_e32 v3, 32, v2
	v_add_co_u32_e32 v20, vcc, -8, v4
	v_addc_co_u32_e32 v4, vcc, -1, v19, vcc
	v_cmp_gt_i32_e64 s[14:15], s18, v3
	s_sub_i32 s19, s18, 32
	v_mul_u32_u24_e32 v19, 0x108, v9
	v_cndmask_b32_e64 v4, v4, v6, s[14:15]
	v_cndmask_b32_e64 v3, v20, v5, s[14:15]
	v_cmp_le_i32_e32 vcc, s19, v9
	v_add_u32_e32 v19, v10, v19
	s_and_saveexec_b64 s[36:37], vcc
	s_xor_b64 s[36:37], exec, s[36:37]
; %bb.44:
	v_mov_b32_e32 v20, 0
	v_mov_b32_e32 v21, v20
	ds_write_b64 v19, v[20:21]
; %bb.45:
	s_andn2_saveexec_b64 s[36:37], s[36:37]
	s_cbranch_execz .LBB117_47
; %bb.46:
	global_load_dwordx2 v[20:21], v[3:4], off
	s_waitcnt vmcnt(0)
	ds_write_b64 v19, v[20:21]
.LBB117_47:
	s_or_b64 exec, exec, s[36:37]
	v_add_u32_e32 v20, 8, v9
	v_cmp_le_i32_e32 vcc, s19, v20
	s_and_saveexec_b64 s[36:37], vcc
	s_xor_b64 s[36:37], exec, s[36:37]
; %bb.48:
	v_mov_b32_e32 v20, 0
	v_mov_b32_e32 v21, v20
	ds_write_b64 v19, v[20:21] offset:2112
; %bb.49:
	s_andn2_saveexec_b64 s[36:37], s[36:37]
	s_cbranch_execz .LBB117_51
; %bb.50:
	s_lshl_b32 s42, s22, 3
	s_ashr_i32 s43, s42, 31
	s_lshl_b64 s[42:43], s[42:43], 3
	v_mov_b32_e32 v21, s43
	v_add_co_u32_e32 v20, vcc, s42, v3
	v_addc_co_u32_e32 v21, vcc, v4, v21, vcc
	global_load_dwordx2 v[20:21], v[20:21], off
	s_waitcnt vmcnt(0)
	ds_write_b64 v19, v[20:21] offset:2112
.LBB117_51:
	s_or_b64 exec, exec, s[36:37]
	v_add_u32_e32 v20, 16, v9
	v_cmp_le_i32_e32 vcc, s19, v20
	s_and_saveexec_b64 s[36:37], vcc
	s_xor_b64 s[36:37], exec, s[36:37]
; %bb.52:
	v_mov_b32_e32 v20, 0
	v_mov_b32_e32 v21, v20
	ds_write_b64 v19, v[20:21] offset:4224
; %bb.53:
	s_andn2_saveexec_b64 s[36:37], s[36:37]
	s_cbranch_execz .LBB117_55
; %bb.54:
	s_lshl_b32 s42, s22, 4
	s_ashr_i32 s43, s42, 31
	s_lshl_b64 s[42:43], s[42:43], 3
	v_mov_b32_e32 v21, s43
	v_add_co_u32_e32 v20, vcc, s42, v3
	v_addc_co_u32_e32 v21, vcc, v4, v21, vcc
	global_load_dwordx2 v[20:21], v[20:21], off
	s_waitcnt vmcnt(0)
	ds_write_b64 v19, v[20:21] offset:4224
.LBB117_55:
	s_or_b64 exec, exec, s[36:37]
	v_add_u32_e32 v20, 24, v9
	v_cmp_le_i32_e32 vcc, s19, v20
	s_and_saveexec_b64 s[36:37], vcc
	s_xor_b64 s[36:37], exec, s[36:37]
; %bb.56:
	v_mov_b32_e32 v20, 0
	v_mov_b32_e32 v21, v20
	ds_write_b64 v19, v[20:21] offset:6336
                                        ; implicit-def: $vgpr19
; %bb.57:
	s_andn2_saveexec_b64 s[36:37], s[36:37]
	s_cbranch_execz .LBB117_59
; %bb.58:
	s_mul_i32 s42, s22, 24
	s_ashr_i32 s43, s42, 31
	s_lshl_b64 s[42:43], s[42:43], 3
	v_mov_b32_e32 v21, s43
	v_add_co_u32_e32 v20, vcc, s42, v3
	v_addc_co_u32_e32 v21, vcc, v4, v21, vcc
	global_load_dwordx2 v[20:21], v[20:21], off
	s_waitcnt vmcnt(0)
	ds_write_b64 v19, v[20:21] offset:6336
.LBB117_59:
	s_or_b64 exec, exec, s[36:37]
	v_add_co_u32_e32 v3, vcc, v3, v10
	v_addc_co_u32_e32 v4, vcc, 0, v4, vcc
	v_mov_b32_e32 v19, s35
	v_subrev_co_u32_e32 v3, vcc, s34, v3
	v_subb_co_u32_e32 v4, vcc, v4, v19, vcc
	v_add_co_u32_e32 v3, vcc, 0x108, v3
	v_addc_co_u32_e32 v4, vcc, 0, v4, vcc
	v_cndmask_b32_e64 v4, v4, v6, s[14:15]
	v_cndmask_b32_e64 v3, v3, v5, s[14:15]
	v_mul_u32_u24_e32 v19, 0x420, v9
	s_branch .LBB117_62
.LBB117_60:
                                        ; implicit-def: $vgpr3_vgpr4
	v_mul_u32_u24_e32 v19, 0x420, v9
	s_cbranch_execz .LBB117_62
; %bb.61:
	s_lshl_b32 s14, s22, 3
	s_ashr_i32 s15, s14, 31
	s_lshl_b64 s[14:15], s[14:15], 3
	v_mov_b32_e32 v4, s15
	v_add_co_u32_e32 v3, vcc, s14, v7
	s_ashr_i32 s23, s22, 31
	v_addc_co_u32_e32 v4, vcc, v8, v4, vcc
	s_lshl_b64 s[14:15], s[22:23], 6
	v_mov_b32_e32 v23, s15
	v_add_co_u32_e32 v20, vcc, s14, v3
	v_addc_co_u32_e32 v21, vcc, v4, v23, vcc
	v_add_co_u32_e32 v22, vcc, s14, v20
	v_addc_co_u32_e32 v23, vcc, v21, v23, vcc
	global_load_dwordx2 v[27:28], v[7:8], off offset:256
	global_load_dwordx2 v[29:30], v[3:4], off offset:256
	;; [unrolled: 1-line block ×4, first 2 shown]
	s_movk_i32 s14, 0x108
	v_mad_u32_u24 v3, v9, s14, v10
	s_waitcnt vmcnt(3)
	ds_write_b64 v3, v[27:28]
	s_waitcnt vmcnt(2)
	ds_write_b64 v3, v[29:30] offset:2112
	s_waitcnt vmcnt(1)
	ds_write_b64 v3, v[31:32] offset:4224
	;; [unrolled: 2-line block ×3, first 2 shown]
	v_mov_b32_e32 v3, v5
	v_mov_b32_e32 v4, v6
.LBB117_62:
	v_mul_u32_u24_e32 v6, 0x108, v12
	v_add_u32_e32 v12, v10, v19
	v_lshl_add_u32 v5, v13, 3, v25
	s_waitcnt lgkmcnt(0)
	s_barrier
	s_and_saveexec_b64 s[14:15], s[16:17]
	s_cbranch_execnz .LBB117_87
; %bb.63:
	s_or_b64 exec, exec, s[14:15]
	v_add_u32_e32 v27, v10, v6
	s_and_saveexec_b64 s[14:15], s[8:9]
	s_cbranch_execnz .LBB117_88
.LBB117_64:
	s_or_b64 exec, exec, s[14:15]
	s_and_saveexec_b64 s[8:9], s[10:11]
	s_cbranch_execnz .LBB117_89
.LBB117_65:
	s_or_b64 exec, exec, s[8:9]
	v_add_u32_e32 v28, 0x2380, v18
	s_and_saveexec_b64 s[8:9], s[12:13]
	s_cbranch_execz .LBB117_67
.LBB117_66:
	ds_read_b64 v[6:7], v11
	s_waitcnt lgkmcnt(0)
	ds_write_b64 v5, v[6:7] offset:24
.LBB117_67:
	s_or_b64 exec, exec, s[8:9]
	s_waitcnt lgkmcnt(0)
	s_barrier
	ds_read_b64 v[22:23], v12
	ds_read_b128 v[5:8], v28 offset:256
	ds_read_b128 v[18:21], v28 offset:272
	ds_read_b64 v[33:34], v11
	ds_read2_b64 v[29:32], v27 offset1:33
	v_cmp_eq_u32_e64 s[8:9], 1, v9
	s_waitcnt lgkmcnt(3)
	v_mul_f32_e32 v13, v6, v23
	v_fma_f32 v13, v5, v22, -v13
	v_mul_f32_e32 v5, v5, v23
	v_fmac_f32_e32 v5, v6, v22
	v_add_f32_e32 v6, 0, v13
	s_waitcnt lgkmcnt(0)
	v_mul_f32_e32 v13, v8, v30
	v_fma_f32 v13, v7, v29, -v13
	v_mul_f32_e32 v7, v7, v30
	v_add_f32_e32 v5, 0, v5
	v_fmac_f32_e32 v7, v8, v29
	v_add_f32_e32 v5, v5, v7
	v_mul_f32_e32 v7, v19, v32
	v_mul_f32_e32 v8, v18, v32
	v_add_f32_e32 v6, v6, v13
	v_fma_f32 v7, v18, v31, -v7
	v_fmac_f32_e32 v8, v19, v31
	v_add_f32_e32 v6, v6, v7
	v_add_f32_e32 v7, v5, v8
	v_mul_f32_e32 v5, v21, v34
	v_mul_f32_e32 v8, v20, v34
	v_fma_f32 v5, v20, v33, -v5
	v_fmac_f32_e32 v8, v21, v33
	v_add_f32_e32 v5, v6, v5
	v_add_f32_e32 v6, v7, v8
	s_barrier
	ds_write_b64 v26, v[5:6]
	s_waitcnt lgkmcnt(0)
	s_barrier
	s_and_saveexec_b64 s[10:11], s[8:9]
	s_cbranch_execz .LBB117_69
; %bb.68:
	ds_read2_b64 v[5:8], v25 offset1:7
	ds_read2_b64 v[18:21], v25 offset0:1 offset1:2
	ds_read2_b64 v[29:32], v25 offset0:3 offset1:4
	s_waitcnt lgkmcnt(1)
	v_add_f32_e32 v5, v18, v5
	v_add_f32_e32 v6, v19, v6
	;; [unrolled: 1-line block ×4, first 2 shown]
	ds_read2_b64 v[18:21], v25 offset0:5 offset1:6
	s_waitcnt lgkmcnt(1)
	v_add_f32_e32 v5, v5, v29
	v_add_f32_e32 v6, v6, v30
	;; [unrolled: 1-line block ×4, first 2 shown]
	s_waitcnt lgkmcnt(0)
	v_add_f32_e32 v5, v5, v18
	v_add_f32_e32 v6, v6, v19
	;; [unrolled: 1-line block ×6, first 2 shown]
.LBB117_69:
	s_or_b64 exec, exec, s[10:11]
	v_add_co_u32_e32 v5, vcc, 0xffffff00, v3
	v_addc_co_u32_e32 v6, vcc, -1, v4, vcc
	s_and_b64 vcc, exec, s[30:31]
	s_barrier
	s_cbranch_vccz .LBB117_90
; %bb.70:
	v_sub_co_u32_e32 v7, vcc, v3, v10
	s_ashr_i32 s19, s18, 31
	v_subbrev_co_u32_e32 v8, vcc, 0, v4, vcc
	s_lshl_b64 s[12:13], s[18:19], 3
	v_mov_b32_e32 v13, s13
	v_add_co_u32_e32 v7, vcc, s12, v7
	v_addc_co_u32_e32 v8, vcc, v8, v13, vcc
	v_add_co_u32_e32 v7, vcc, 0xfffffef8, v7
	v_addc_co_u32_e32 v8, vcc, -1, v8, vcc
	v_cmp_gt_i32_e32 vcc, s18, v2
	s_sub_i32 s16, s18, 32
	v_mul_u32_u24_e32 v2, 0x108, v9
	v_cndmask_b32_e32 v8, v8, v6, vcc
	v_cndmask_b32_e32 v7, v7, v5, vcc
	v_cmp_le_i32_e64 s[10:11], s16, v9
	v_add_u32_e32 v18, v10, v2
	s_and_saveexec_b64 s[14:15], s[10:11]
	s_xor_b64 s[10:11], exec, s[14:15]
; %bb.71:
	v_mov_b32_e32 v19, 0
	v_mov_b32_e32 v20, v19
	ds_write_b64 v18, v[19:20]
; %bb.72:
	s_andn2_saveexec_b64 s[10:11], s[10:11]
	s_cbranch_execz .LBB117_74
; %bb.73:
	global_load_dwordx2 v[19:20], v[7:8], off
	s_waitcnt vmcnt(0)
	ds_write_b64 v18, v[19:20]
.LBB117_74:
	s_or_b64 exec, exec, s[10:11]
	v_add_u32_e32 v2, 8, v9
	v_cmp_le_i32_e64 s[10:11], s16, v2
	s_and_saveexec_b64 s[14:15], s[10:11]
	s_xor_b64 s[10:11], exec, s[14:15]
; %bb.75:
	v_mov_b32_e32 v19, 0
	v_mov_b32_e32 v20, v19
	ds_write_b64 v18, v[19:20] offset:2112
; %bb.76:
	s_andn2_saveexec_b64 s[14:15], s[10:11]
	s_cbranch_execz .LBB117_78
; %bb.77:
	s_lshl_b32 s10, s22, 3
	s_ashr_i32 s11, s10, 31
	s_lshl_b64 s[10:11], s[10:11], 3
	v_mov_b32_e32 v13, s11
	v_add_co_u32_e64 v19, s[10:11], s10, v7
	v_addc_co_u32_e64 v20, s[10:11], v8, v13, s[10:11]
	global_load_dwordx2 v[19:20], v[19:20], off
	s_waitcnt vmcnt(0)
	ds_write_b64 v18, v[19:20] offset:2112
.LBB117_78:
	s_or_b64 exec, exec, s[14:15]
	v_add_u32_e32 v13, 16, v9
	v_cmp_le_i32_e64 s[10:11], s16, v13
	s_and_saveexec_b64 s[14:15], s[10:11]
	s_xor_b64 s[10:11], exec, s[14:15]
; %bb.79:
	v_mov_b32_e32 v19, 0
	v_mov_b32_e32 v20, v19
	ds_write_b64 v18, v[19:20] offset:4224
; %bb.80:
	s_andn2_saveexec_b64 s[14:15], s[10:11]
	s_cbranch_execz .LBB117_82
; %bb.81:
	s_lshl_b32 s10, s22, 4
	s_ashr_i32 s11, s10, 31
	s_lshl_b64 s[10:11], s[10:11], 3
	v_mov_b32_e32 v20, s11
	v_add_co_u32_e64 v19, s[10:11], s10, v7
	v_addc_co_u32_e64 v20, s[10:11], v8, v20, s[10:11]
	global_load_dwordx2 v[19:20], v[19:20], off
	s_waitcnt vmcnt(0)
	ds_write_b64 v18, v[19:20] offset:4224
.LBB117_82:
	s_or_b64 exec, exec, s[14:15]
	v_add_u32_e32 v22, 24, v9
	v_cmp_le_i32_e64 s[10:11], s16, v22
	s_and_saveexec_b64 s[14:15], s[10:11]
	s_xor_b64 s[10:11], exec, s[14:15]
; %bb.83:
	v_mov_b32_e32 v19, 0
	v_mov_b32_e32 v20, v19
	ds_write_b64 v18, v[19:20] offset:6336
                                        ; implicit-def: $vgpr18
; %bb.84:
	s_andn2_saveexec_b64 s[14:15], s[10:11]
	s_cbranch_execz .LBB117_86
; %bb.85:
	s_mul_i32 s10, s22, 24
	s_ashr_i32 s11, s10, 31
	s_lshl_b64 s[10:11], s[10:11], 3
	v_mov_b32_e32 v20, s11
	v_add_co_u32_e64 v19, s[10:11], s10, v7
	v_addc_co_u32_e64 v20, s[10:11], v8, v20, s[10:11]
	global_load_dwordx2 v[19:20], v[19:20], off
	s_waitcnt vmcnt(0)
	ds_write_b64 v18, v[19:20] offset:6336
.LBB117_86:
	s_or_b64 exec, exec, s[14:15]
	v_add_co_u32_e64 v7, s[10:11], v7, v10
	v_addc_co_u32_e64 v8, s[10:11], 0, v8, s[10:11]
	v_mov_b32_e32 v18, s13
	v_subrev_co_u32_e64 v7, s[10:11], s12, v7
	v_subb_co_u32_e64 v8, s[10:11], v8, v18, s[10:11]
	v_add_co_u32_e64 v7, s[10:11], 8, v7
	v_addc_co_u32_e64 v8, s[10:11], 0, v8, s[10:11]
	v_cndmask_b32_e32 v19, v8, v6, vcc
	v_cndmask_b32_e32 v18, v7, v5, vcc
	s_branch .LBB117_92
.LBB117_87:
	ds_read_b64 v[7:8], v12
	s_waitcnt lgkmcnt(0)
	ds_write_b64 v5, v[7:8]
	s_or_b64 exec, exec, s[14:15]
	v_add_u32_e32 v27, v10, v6
	s_and_saveexec_b64 s[14:15], s[8:9]
	s_cbranch_execz .LBB117_64
.LBB117_88:
	ds_read_b64 v[6:7], v27
	s_waitcnt lgkmcnt(0)
	ds_write_b64 v5, v[6:7] offset:8
	s_or_b64 exec, exec, s[14:15]
	s_and_saveexec_b64 s[8:9], s[10:11]
	s_cbranch_execz .LBB117_65
.LBB117_89:
	ds_read_b64 v[6:7], v27 offset:264
	s_waitcnt lgkmcnt(0)
	ds_write_b64 v5, v[6:7] offset:16
	s_or_b64 exec, exec, s[8:9]
	v_add_u32_e32 v28, 0x2380, v18
	s_and_saveexec_b64 s[8:9], s[12:13]
	s_cbranch_execnz .LBB117_66
	s_branch .LBB117_67
.LBB117_90:
                                        ; implicit-def: $vgpr18_vgpr19
                                        ; implicit-def: $vgpr2
                                        ; implicit-def: $vgpr13
                                        ; implicit-def: $vgpr22
	s_cbranch_execz .LBB117_92
; %bb.91:
	s_lshl_b32 s10, s22, 3
	s_ashr_i32 s11, s10, 31
	s_lshl_b64 s[10:11], s[10:11], 3
	v_mov_b32_e32 v2, s11
	v_add_co_u32_e32 v7, vcc, s10, v3
	s_ashr_i32 s23, s22, 31
	v_addc_co_u32_e32 v8, vcc, v4, v2, vcc
	s_lshl_b64 s[10:11], s[22:23], 6
	v_mov_b32_e32 v2, s11
	v_add_co_u32_e32 v18, vcc, s10, v7
	v_addc_co_u32_e32 v19, vcc, v8, v2, vcc
	v_add_co_u32_e32 v20, vcc, s10, v18
	v_addc_co_u32_e32 v21, vcc, v19, v2, vcc
	global_load_dwordx2 v[29:30], v[3:4], off offset:-256
	global_load_dwordx2 v[31:32], v[7:8], off offset:-256
	;; [unrolled: 1-line block ×4, first 2 shown]
	s_movk_i32 s10, 0x108
	v_mov_b32_e32 v19, v6
	v_add_u32_e32 v2, 8, v9
	v_add_u32_e32 v13, 16, v9
	v_add_u32_e32 v22, 24, v9
	v_mad_u32_u24 v3, v9, s10, v10
	v_mov_b32_e32 v18, v5
	s_waitcnt vmcnt(3)
	ds_write_b64 v3, v[29:30]
	s_waitcnt vmcnt(2)
	ds_write_b64 v3, v[31:32] offset:2112
	s_waitcnt vmcnt(1)
	ds_write_b64 v3, v[33:34] offset:4224
	;; [unrolled: 2-line block ×3, first 2 shown]
.LBB117_92:
	v_lshlrev_b32_e32 v3, 3, v9
	v_add_u32_e32 v4, v25, v3
	v_lshlrev_b32_e32 v2, 3, v2
	s_waitcnt lgkmcnt(0)
	s_barrier
	ds_read_b64 v[6:7], v4
	ds_read_b64 v[29:30], v2 offset:9088
	ds_read_b64 v[8:9], v3 offset:9088
	ds_read_b64 v[20:21], v11
	v_add_u32_e32 v2, v25, v2
	ds_read_b64 v[31:32], v2
	v_lshlrev_b32_e32 v2, 3, v13
	s_waitcnt lgkmcnt(2)
	v_mul_f32_e32 v3, v9, v7
	v_add_u32_e32 v4, v25, v2
	v_fma_f32 v3, v8, v6, -v3
	v_lshlrev_b32_e32 v5, 3, v22
	ds_read_b64 v[33:34], v4
	ds_read_b64 v[35:36], v5 offset:9088
	ds_read_b64 v[37:38], v2 offset:9088
	s_waitcnt lgkmcnt(3)
	v_mul_f32_e32 v2, v30, v32
	v_add_f32_e32 v3, 0, v3
	v_fma_f32 v2, v29, v31, -v2
	v_add_f32_e32 v2, v3, v2
	v_add_u32_e32 v3, v25, v5
	ds_read_b64 v[39:40], v3
	ds_read_b64 v[22:23], v12
	s_waitcnt lgkmcnt(2)
	v_mul_f32_e32 v3, v38, v34
	v_fma_f32 v3, v37, v33, -v3
	v_add_f32_e32 v2, v2, v3
	s_waitcnt lgkmcnt(1)
	v_mul_f32_e32 v3, v36, v40
	v_fma_f32 v3, v35, v39, -v3
	v_add_f32_e32 v41, v2, v3
	ds_read_b128 v[10:13], v28 offset:256
	ds_read_b128 v[2:5], v28 offset:272
	v_mul_f32_e32 v28, v8, v7
	v_fmac_f32_e32 v28, v9, v6
	ds_read2_b64 v[6:9], v27 offset1:33
	v_add_f32_e32 v27, 0, v28
	v_mul_f32_e32 v28, v29, v32
	v_fmac_f32_e32 v28, v30, v31
	v_add_f32_e32 v27, v27, v28
	v_mul_f32_e32 v28, v37, v34
	v_fmac_f32_e32 v28, v38, v33
	;; [unrolled: 3-line block ×3, first 2 shown]
	v_add_f32_e32 v42, v27, v28
	s_waitcnt lgkmcnt(0)
	s_barrier
	ds_write_b64 v26, v[41:42]
	s_waitcnt lgkmcnt(0)
	s_barrier
	s_and_saveexec_b64 s[10:11], s[8:9]
	s_cbranch_execz .LBB117_94
; %bb.93:
	ds_read2_b64 v[27:30], v25 offset1:1
	ds_read2_b64 v[31:34], v25 offset0:2 offset1:3
	ds_read2_b64 v[35:38], v25 offset0:4 offset1:5
	s_waitcnt lgkmcnt(2)
	v_add_f32_e32 v27, v51, v27
	v_add_f32_e32 v28, v52, v28
	;; [unrolled: 1-line block ×4, first 2 shown]
	s_waitcnt lgkmcnt(1)
	v_add_f32_e32 v27, v27, v31
	v_add_f32_e32 v28, v28, v32
	;; [unrolled: 1-line block ×4, first 2 shown]
	ds_read2_b64 v[27:30], v25 offset0:6 offset1:7
	s_waitcnt lgkmcnt(1)
	v_add_f32_e32 v31, v31, v35
	v_add_f32_e32 v32, v32, v36
	;; [unrolled: 1-line block ×4, first 2 shown]
	s_waitcnt lgkmcnt(0)
	v_add_f32_e32 v27, v31, v27
	v_add_f32_e32 v28, v32, v28
	;; [unrolled: 1-line block ×4, first 2 shown]
.LBB117_94:
	s_or_b64 exec, exec, s[10:11]
	v_mul_f32_e32 v27, v11, v23
	v_fma_f32 v27, v10, v22, -v27
	v_mul_f32_e32 v10, v10, v23
	v_fmac_f32_e32 v10, v11, v22
	v_mul_f32_e32 v22, v13, v7
	v_mul_f32_e32 v7, v12, v7
	v_add_f32_e32 v10, 0, v10
	v_fmac_f32_e32 v7, v13, v6
	v_add_f32_e32 v7, v10, v7
	v_mul_f32_e32 v10, v3, v9
	v_add_f32_e32 v11, 0, v27
	v_fma_f32 v22, v12, v6, -v22
	v_fma_f32 v10, v2, v8, -v10
	v_mul_f32_e32 v2, v2, v9
	v_add_f32_e32 v6, v11, v22
	v_fmac_f32_e32 v2, v3, v8
	v_add_f32_e32 v3, v6, v10
	v_add_f32_e32 v6, v7, v2
	v_mul_f32_e32 v2, v5, v21
	v_fma_f32 v2, v4, v20, -v2
	v_mul_f32_e32 v4, v4, v21
	v_fmac_f32_e32 v4, v5, v20
	v_add_f32_e32 v2, v3, v2
	v_add_f32_e32 v3, v6, v4
	s_barrier
	ds_write_b64 v26, v[2:3]
	s_waitcnt lgkmcnt(0)
	s_barrier
	s_and_saveexec_b64 s[8:9], s[2:3]
	s_cbranch_execz .LBB117_96
; %bb.95:
	ds_read2_b64 v[2:5], v25 offset1:1
	ds_read2_b64 v[6:9], v25 offset0:2 offset1:3
	ds_read2_b64 v[10:13], v25 offset0:4 offset1:5
	s_waitcnt lgkmcnt(2)
	v_add_f32_e32 v2, v51, v2
	v_add_f32_e32 v3, v52, v3
	;; [unrolled: 1-line block ×4, first 2 shown]
	s_waitcnt lgkmcnt(1)
	v_add_f32_e32 v2, v2, v6
	v_add_f32_e32 v3, v3, v7
	;; [unrolled: 1-line block ×4, first 2 shown]
	ds_read2_b64 v[2:5], v25 offset0:6 offset1:7
	s_waitcnt lgkmcnt(1)
	v_add_f32_e32 v6, v6, v10
	v_add_f32_e32 v7, v7, v11
	;; [unrolled: 1-line block ×4, first 2 shown]
	s_waitcnt lgkmcnt(0)
	v_add_f32_e32 v2, v6, v2
	v_add_f32_e32 v3, v7, v3
	;; [unrolled: 1-line block ×4, first 2 shown]
.LBB117_96:
	s_or_b64 exec, exec, s[8:9]
	s_load_dwordx2 s[2:3], s[4:5], 0x68
	s_mul_hi_u32 s4, s40, s7
	s_mul_i32 s41, s41, s7
	s_add_i32 s4, s4, s41
	s_mul_i32 s7, s40, s7
	s_mul_i32 s4, s4, s33
	s_mul_hi_u32 s5, s7, s33
	s_add_i32 s5, s5, s4
	s_mul_i32 s4, s7, s33
	s_lshl_b64 s[4:5], s[4:5], 3
	s_waitcnt lgkmcnt(0)
	s_add_u32 s4, s2, s4
	s_addc_u32 s5, s3, s5
	s_mul_hi_i32 s3, s40, s6
	s_mul_i32 s2, s40, s6
	s_lshl_b64 s[2:3], s[2:3], 3
	s_add_u32 s7, s4, s2
	s_addc_u32 s19, s5, s3
	s_add_i32 s8, s6, 1
	s_cmp_ge_u32 s8, s33
	v_lshlrev_b32_e32 v88, 3, v0
	s_barrier
	s_cbranch_scc1 .LBB117_154
; %bb.97:
	v_lshlrev_b32_e32 v89, 2, v1
	v_mad_u64_u32 v[2:3], s[4:5], s22, v89, v[0:1]
	s_mul_i32 s2, s39, s24
	s_ashr_i32 s3, s2, 31
	s_lshl_b64 s[2:3], s[2:3], 3
	v_mov_b32_e32 v4, s3
	v_subrev_co_u32_e32 v90, vcc, s2, v16
	v_ashrrev_i32_e32 v3, 31, v2
	s_lshl_b32 s2, s22, 4
	v_subb_co_u32_e32 v91, vcc, v17, v4, vcc
	s_lshl_b32 s25, s39, 6
	s_ashr_i32 s3, s2, 31
	s_ashr_i32 s23, s22, 31
	s_lshl_b32 s14, s22, 1
	s_mul_i32 s16, s22, 3
	s_mul_i32 s39, s39, s8
	v_lshlrev_b64 v[4:5], 3, v[2:3]
	s_add_i32 s24, s33, -2
	s_ashr_i32 s15, s14, 31
	s_ashr_i32 s17, s16, 31
	s_lshl_b64 s[4:5], s[22:23], 3
	s_lshl_b32 s10, s39, 6
	s_lshl_b64 s[12:13], s[2:3], 5
	s_lshl_b64 s[8:9], s[22:23], 4
	v_mov_b32_e32 v6, s29
	v_add_co_u32_e32 v7, vcc, s28, v4
	s_add_u32 s11, s8, s28
	v_addc_co_u32_e32 v6, vcc, v6, v5, vcc
	s_addc_u32 s23, s9, s29
	v_mov_b32_e32 v8, s23
	v_add_co_u32_e32 v9, vcc, s11, v4
	s_add_u32 s34, s4, s28
	v_addc_co_u32_e32 v8, vcc, v8, v5, vcc
	s_addc_u32 s35, s5, s29
	s_lshl_b64 s[14:15], s[14:15], 3
	v_mov_b32_e32 v10, s35
	v_add_co_u32_e32 v11, vcc, s34, v4
	s_add_u32 s30, s28, s14
	v_addc_co_u32_e32 v10, vcc, v10, v5, vcc
	s_addc_u32 s31, s29, s15
	s_lshl_b64 s[16:17], s[16:17], 3
	v_mov_b32_e32 v12, s31
	v_add_co_u32_e32 v13, vcc, s30, v4
	s_add_u32 s30, s28, s16
	v_addc_co_u32_e32 v12, vcc, v12, v5, vcc
	s_addc_u32 s31, s29, s17
	v_mov_b32_e32 v16, s31
	v_add_co_u32_e32 v17, vcc, s30, v4
	s_lshl_b64 s[30:31], s[2:3], 3
	s_add_u32 s36, s28, s30
	v_addc_co_u32_e32 v16, vcc, v16, v5, vcc
	s_addc_u32 s37, s29, s31
	v_mov_b32_e32 v20, s37
	v_add_co_u32_e32 v21, vcc, s36, v4
	s_add_u32 s34, s34, s30
	v_addc_co_u32_e32 v20, vcc, v20, v5, vcc
	s_addc_u32 s35, s35, s31
	v_mov_b32_e32 v22, s35
	v_add_co_u32_e32 v23, vcc, s34, v4
	s_add_u32 s34, s36, s14
	v_addc_co_u32_e32 v22, vcc, v22, v5, vcc
	s_addc_u32 s35, s37, s15
	v_mov_b32_e32 v25, s35
	v_add_co_u32_e32 v26, vcc, s34, v4
	s_add_u32 s30, s11, s30
	v_addc_co_u32_e32 v25, vcc, v25, v5, vcc
	s_addc_u32 s31, s23, s31
	v_mov_b32_e32 v27, s31
	v_add_co_u32_e32 v28, vcc, s30, v4
	s_add_u32 s30, s36, s16
	v_addc_co_u32_e32 v27, vcc, v27, v5, vcc
	s_addc_u32 s31, s37, s17
	v_mov_b32_e32 v29, s31
	v_add_co_u32_e32 v30, vcc, s30, v4
	s_lshl_b64 s[30:31], s[2:3], 4
	s_add_u32 s3, s30, s28
	v_addc_co_u32_e32 v29, vcc, v29, v5, vcc
	s_addc_u32 s28, s31, s29
	v_mov_b32_e32 v31, s28
	v_add_co_u32_e32 v32, vcc, s3, v4
	v_addc_co_u32_e32 v31, vcc, v31, v5, vcc
	s_add_u32 s29, s3, s4
	v_mov_b32_e32 v34, s27
	v_add_co_u32_e32 v2, vcc, s26, v2
	s_addc_u32 s34, s28, s5
	v_addc_co_u32_e32 v3, vcc, v34, v3, vcc
	v_mov_b32_e32 v33, s34
	v_add_co_u32_e32 v34, vcc, s29, v4
	s_add_u32 s26, s3, s14
	v_addc_co_u32_e32 v33, vcc, v33, v5, vcc
	s_addc_u32 s27, s28, s15
	v_mov_b32_e32 v35, s27
	v_add_co_u32_e32 v36, vcc, s26, v4
	s_add_u32 s11, s11, s30
	v_addc_co_u32_e32 v35, vcc, v35, v5, vcc
	s_addc_u32 s23, s23, s31
	v_mov_b32_e32 v37, s23
	v_add_co_u32_e32 v38, vcc, s11, v4
	v_addc_co_u32_e32 v37, vcc, v37, v5, vcc
	s_add_u32 s3, s3, s16
	s_addc_u32 s11, s28, s17
	v_add_co_u32_e32 v40, vcc, s3, v4
	s_mul_i32 s3, s22, 0x180
	v_mov_b32_e32 v39, s11
	s_mul_hi_i32 s11, s2, 24
	v_lshlrev_b64 v[2:3], 3, v[2:3]
	s_add_u32 s8, s3, s8
	s_addc_u32 s3, s11, s9
	v_addc_co_u32_e32 v39, vcc, v39, v5, vcc
	v_mov_b32_e32 v41, s3
	v_mad_i64_i32 v[4:5], s[2:3], s2, 24, v[2:3]
	v_add_co_u32_e32 v2, vcc, s8, v2
	v_addc_co_u32_e32 v3, vcc, v41, v3, vcc
	v_mov_b32_e32 v41, s5
	v_add_co_u32_e32 v42, vcc, s4, v4
	v_addc_co_u32_e32 v41, vcc, v5, v41, vcc
	v_mov_b32_e32 v43, s15
	;; [unrolled: 3-line block ×3, first 2 shown]
	v_add_co_u32_e32 v46, vcc, s16, v4
	v_addc_co_u32_e32 v45, vcc, v5, v45, vcc
	v_add_co_u32_e32 v92, vcc, v18, v4
	v_addc_co_u32_e32 v93, vcc, v19, v5, vcc
	;; [unrolled: 2-line block ×19, first 2 shown]
	v_add_co_u32_e32 v128, vcc, v18, v2
	v_lshrrev_b32_e32 v2, 4, v24
	v_addc_co_u32_e32 v129, vcc, v19, v3, vcc
	s_movk_i32 s4, 0x218
	v_and_b32_e32 v3, 15, v0
	v_lshlrev_b32_e32 v4, 5, v2
	v_mad_u32_u24 v132, v3, s4, v4
	v_and_b32_e32 v4, 48, v0
	v_add_co_u32_e32 v130, vcc, v18, v46
	v_lshlrev_b32_e32 v4, 3, v4
	v_addc_co_u32_e32 v131, vcc, v19, v45, vcc
	v_mad_u32_u24 v133, v3, s4, v4
	v_or_b32_e32 v4, 0x78, v88
	v_mad_u32_u24 v134, v3, s4, v4
	v_sub_co_u32_e32 v135, vcc, 0, v14
	v_mov_b32_e32 v3, 0x2180
	s_movk_i32 s4, 0x860
	v_mul_i32_i24_e32 v2, 0xffffffe8, v2
	v_cmp_gt_u32_e64 s[2:3], 64, v24
	v_subb_co_u32_e32 v136, vcc, 0, v15, vcc
	v_lshl_add_u32 v137, v1, 5, v3
	v_add_u32_e32 v138, v132, v2
	v_add_u32_e32 v139, 0x2180, v88
	;; [unrolled: 1-line block ×3, first 2 shown]
	v_mad_u32_u24 v141, v1, s4, v88
	v_or_b32_e32 v142, 1, v89
	v_or_b32_e32 v143, 2, v89
	;; [unrolled: 1-line block ×3, first 2 shown]
	v_add_u32_e32 v145, 16, v89
	v_add_u32_e32 v146, 17, v89
	;; [unrolled: 1-line block ×13, first 2 shown]
	v_mov_b32_e32 v55, 0
	s_cmp_eq_u32 s24, s6
	s_cselect_b32 s22, s38, 0
	s_and_saveexec_b64 s[4:5], s[0:1]
	s_cbranch_execz .LBB117_102
.LBB117_98:
	s_cmp_lg_u32 s22, 0
	s_cselect_b64 s[8:9], -1, 0
	v_cmp_le_i32_e32 vcc, s22, v0
	s_and_b64 s[8:9], s[8:9], vcc
	s_and_saveexec_b64 s[14:15], s[8:9]
	s_xor_b64 s[8:9], exec, s[14:15]
; %bb.99:
	v_mov_b32_e32 v56, v55
	ds_write_b64 v139, v[55:56]
; %bb.100:
	s_andn2_saveexec_b64 s[8:9], s[8:9]
	s_cbranch_execz .LBB117_102
; %bb.101:
	s_ashr_i32 s11, s10, 31
	s_lshl_b64 s[8:9], s[10:11], 3
	v_mov_b32_e32 v3, s9
	v_add_co_u32_e32 v2, vcc, s8, v90
	v_addc_co_u32_e32 v3, vcc, v91, v3, vcc
	global_load_dwordx2 v[2:3], v[2:3], off
	s_waitcnt vmcnt(0)
	ds_write_b64 v139, v[2:3]
.LBB117_102:                            ; =>This Inner Loop Header: Depth=1
	s_or_b64 exec, exec, s[4:5]
	s_cmp_eq_u32 s22, 0
	v_add_co_u32_e32 v2, vcc, v94, v135
	s_cselect_b64 s[14:15], -1, 0
	s_cmp_lg_u32 s22, 0
	v_addc_co_u32_e32 v3, vcc, v95, v136, vcc
	s_cselect_b64 s[8:9], -1, 0
	s_and_b64 vcc, exec, s[8:9]
	s_waitcnt lgkmcnt(0)
	s_barrier
	s_cbranch_vccz .LBB117_110
; %bb.103:                              ;   in Loop: Header=BB117_102 Depth=1
	v_mov_b32_e32 v58, 0
	v_mov_b32_e32 v56, 0
	;; [unrolled: 1-line block ×4, first 2 shown]
	v_cmp_gt_i32_e32 vcc, s22, v89
	s_and_saveexec_b64 s[4:5], vcc
	s_cbranch_execz .LBB117_105
; %bb.104:                              ;   in Loop: Header=BB117_102 Depth=1
	global_load_dwordx2 v[56:57], v[2:3], off
.LBB117_105:                            ;   in Loop: Header=BB117_102 Depth=1
	s_or_b64 exec, exec, s[4:5]
	v_cmp_gt_i32_e32 vcc, s22, v142
	s_and_saveexec_b64 s[4:5], vcc
	s_cbranch_execz .LBB117_107
; %bb.106:                              ;   in Loop: Header=BB117_102 Depth=1
	v_add_co_u32_e32 v4, vcc, v98, v135
	v_addc_co_u32_e32 v5, vcc, v99, v136, vcc
	global_load_dwordx2 v[58:59], v[4:5], off
.LBB117_107:                            ;   in Loop: Header=BB117_102 Depth=1
	s_or_b64 exec, exec, s[4:5]
	v_mov_b32_e32 v60, 0
	v_mov_b32_e32 v61, 0
	v_cmp_gt_i32_e32 vcc, s22, v143
	s_and_saveexec_b64 s[4:5], vcc
	s_cbranch_execz .LBB117_109
; %bb.108:                              ;   in Loop: Header=BB117_102 Depth=1
	v_add_co_u32_e32 v4, vcc, v100, v135
	v_addc_co_u32_e32 v5, vcc, v101, v136, vcc
	global_load_dwordx2 v[60:61], v[4:5], off
.LBB117_109:                            ;   in Loop: Header=BB117_102 Depth=1
	s_or_b64 exec, exec, s[4:5]
	v_cmp_gt_i32_e64 s[4:5], s22, v144
	s_branch .LBB117_112
.LBB117_110:                            ;   in Loop: Header=BB117_102 Depth=1
	s_mov_b64 s[4:5], 0
                                        ; implicit-def: $vgpr60_vgpr61
                                        ; implicit-def: $vgpr58_vgpr59
                                        ; implicit-def: $vgpr56_vgpr57
	s_cbranch_execz .LBB117_112
; %bb.111:                              ;   in Loop: Header=BB117_102 Depth=1
	global_load_dwordx2 v[56:57], v[2:3], off
	v_add_co_u32_e32 v2, vcc, v98, v135
	v_addc_co_u32_e32 v3, vcc, v99, v136, vcc
	global_load_dwordx2 v[58:59], v[2:3], off
	v_add_co_u32_e32 v2, vcc, v96, v135
	v_addc_co_u32_e32 v3, vcc, v97, v136, vcc
	global_load_dwordx2 v[60:61], v[2:3], off
	s_or_b64 s[4:5], s[4:5], exec
.LBB117_112:                            ;   in Loop: Header=BB117_102 Depth=1
	v_mov_b32_e32 v62, 0
	v_mov_b32_e32 v63, 0
	s_and_saveexec_b64 s[16:17], s[4:5]
	s_cbranch_execz .LBB117_114
; %bb.113:                              ;   in Loop: Header=BB117_102 Depth=1
	v_add_co_u32_e32 v2, vcc, v102, v135
	v_addc_co_u32_e32 v3, vcc, v103, v136, vcc
	global_load_dwordx2 v[62:63], v[2:3], off
.LBB117_114:                            ;   in Loop: Header=BB117_102 Depth=1
	s_or_b64 exec, exec, s[16:17]
	ds_read_b64 v[10:11], v140
	ds_read_b128 v[6:9], v137
	ds_read_b128 v[2:5], v137 offset:16
	s_andn2_b64 vcc, exec, s[8:9]
	s_waitcnt vmcnt(0) lgkmcnt(2)
	v_mul_f32_e32 v12, v11, v57
	v_mul_f32_e32 v13, v11, v56
	;; [unrolled: 1-line block ×4, first 2 shown]
	v_fma_f32 v12, v10, v56, -v12
	v_fmac_f32_e32 v13, v10, v57
	v_fma_f32 v14, v10, v58, -v14
	v_fmac_f32_e32 v15, v10, v59
	ds_write2_b64 v141, v[12:13], v[14:15] offset1:67
	v_mul_f32_e32 v12, v11, v61
	v_mul_f32_e32 v13, v11, v60
	;; [unrolled: 1-line block ×4, first 2 shown]
	v_fma_f32 v12, v10, v60, -v12
	v_fmac_f32_e32 v13, v10, v61
	v_fma_f32 v14, v10, v62, -v14
	v_fmac_f32_e32 v15, v11, v62
	ds_write2_b64 v141, v[12:13], v[14:15] offset0:134 offset1:201
	s_waitcnt lgkmcnt(0)
	s_barrier
	ds_read2_b64 v[22:25], v132 offset1:1
	ds_read2_b64 v[18:21], v132 offset0:2 offset1:3
	v_cndmask_b32_e64 v10, 0, 1, s[8:9]
	v_cmp_ne_u32_e64 s[4:5], 1, v10
	v_add_co_u32_e64 v10, s[8:9], v104, v135
	v_addc_co_u32_e64 v11, s[8:9], v105, v136, s[8:9]
	s_waitcnt lgkmcnt(0)
	s_barrier
	s_cbranch_vccnz .LBB117_122
; %bb.115:                              ;   in Loop: Header=BB117_102 Depth=1
	v_mov_b32_e32 v66, 0
	v_mov_b32_e32 v64, 0
	;; [unrolled: 1-line block ×4, first 2 shown]
	v_cmp_gt_i32_e32 vcc, s22, v145
	s_and_saveexec_b64 s[8:9], vcc
	s_cbranch_execz .LBB117_117
; %bb.116:                              ;   in Loop: Header=BB117_102 Depth=1
	global_load_dwordx2 v[64:65], v[10:11], off
.LBB117_117:                            ;   in Loop: Header=BB117_102 Depth=1
	s_or_b64 exec, exec, s[8:9]
	v_cmp_gt_i32_e32 vcc, s22, v146
	s_and_saveexec_b64 s[8:9], vcc
	s_cbranch_execz .LBB117_119
; %bb.118:                              ;   in Loop: Header=BB117_102 Depth=1
	v_add_co_u32_e32 v12, vcc, v106, v135
	v_addc_co_u32_e32 v13, vcc, v107, v136, vcc
	global_load_dwordx2 v[66:67], v[12:13], off
.LBB117_119:                            ;   in Loop: Header=BB117_102 Depth=1
	s_or_b64 exec, exec, s[8:9]
	v_mov_b32_e32 v68, 0
	v_mov_b32_e32 v69, 0
	v_cmp_gt_i32_e32 vcc, s22, v147
	s_and_saveexec_b64 s[8:9], vcc
	s_cbranch_execz .LBB117_121
; %bb.120:                              ;   in Loop: Header=BB117_102 Depth=1
	v_add_co_u32_e32 v12, vcc, v108, v135
	v_addc_co_u32_e32 v13, vcc, v109, v136, vcc
	global_load_dwordx2 v[68:69], v[12:13], off
.LBB117_121:                            ;   in Loop: Header=BB117_102 Depth=1
	s_or_b64 exec, exec, s[8:9]
	v_cmp_gt_i32_e64 s[8:9], s22, v148
	s_branch .LBB117_124
.LBB117_122:                            ;   in Loop: Header=BB117_102 Depth=1
	s_mov_b64 s[8:9], 0
                                        ; implicit-def: $vgpr68_vgpr69
                                        ; implicit-def: $vgpr66_vgpr67
                                        ; implicit-def: $vgpr64_vgpr65
	s_cbranch_execz .LBB117_124
; %bb.123:                              ;   in Loop: Header=BB117_102 Depth=1
	global_load_dwordx2 v[64:65], v[10:11], off
	v_add_co_u32_e32 v10, vcc, v106, v135
	v_addc_co_u32_e32 v11, vcc, v107, v136, vcc
	global_load_dwordx2 v[66:67], v[10:11], off
	v_add_co_u32_e32 v10, vcc, v110, v135
	v_addc_co_u32_e32 v11, vcc, v111, v136, vcc
	global_load_dwordx2 v[68:69], v[10:11], off
	s_or_b64 s[8:9], s[8:9], exec
.LBB117_124:                            ;   in Loop: Header=BB117_102 Depth=1
	v_mov_b32_e32 v70, 0
	v_mov_b32_e32 v71, 0
	s_and_saveexec_b64 s[16:17], s[8:9]
	s_cbranch_execz .LBB117_126
; %bb.125:                              ;   in Loop: Header=BB117_102 Depth=1
	v_add_co_u32_e32 v10, vcc, v112, v135
	v_addc_co_u32_e32 v11, vcc, v113, v136, vcc
	global_load_dwordx2 v[70:71], v[10:11], off
.LBB117_126:                            ;   in Loop: Header=BB117_102 Depth=1
	s_or_b64 exec, exec, s[16:17]
	ds_read_b64 v[26:27], v140
	ds_read_b128 v[14:17], v137 offset:128
	ds_read_b128 v[10:13], v137 offset:144
	s_and_b64 vcc, exec, s[4:5]
	s_waitcnt vmcnt(0) lgkmcnt(2)
	v_mul_f32_e32 v28, v27, v65
	v_mul_f32_e32 v29, v27, v64
	;; [unrolled: 1-line block ×4, first 2 shown]
	v_fma_f32 v28, v26, v64, -v28
	v_fmac_f32_e32 v29, v26, v65
	v_fma_f32 v30, v26, v66, -v30
	v_fmac_f32_e32 v31, v26, v67
	ds_write2_b64 v141, v[28:29], v[30:31] offset1:67
	v_mul_f32_e32 v28, v27, v69
	v_mul_f32_e32 v29, v27, v68
	;; [unrolled: 1-line block ×4, first 2 shown]
	v_fma_f32 v28, v26, v68, -v28
	v_fmac_f32_e32 v29, v26, v69
	v_fma_f32 v30, v26, v70, -v30
	v_fmac_f32_e32 v31, v27, v70
	ds_write2_b64 v141, v[28:29], v[30:31] offset0:134 offset1:201
	s_waitcnt lgkmcnt(0)
	s_barrier
	ds_read2_b64 v[38:41], v132 offset1:1
	ds_read2_b64 v[34:37], v132 offset0:2 offset1:3
	v_add_co_u32_e64 v26, s[8:9], v114, v135
	v_addc_co_u32_e64 v27, s[8:9], v115, v136, s[8:9]
	s_waitcnt lgkmcnt(0)
	s_barrier
	s_cbranch_vccnz .LBB117_134
; %bb.127:                              ;   in Loop: Header=BB117_102 Depth=1
	v_mov_b32_e32 v74, 0
	v_mov_b32_e32 v72, 0
	;; [unrolled: 1-line block ×4, first 2 shown]
	v_cmp_gt_i32_e32 vcc, s22, v149
	s_and_saveexec_b64 s[8:9], vcc
	s_cbranch_execz .LBB117_129
; %bb.128:                              ;   in Loop: Header=BB117_102 Depth=1
	global_load_dwordx2 v[72:73], v[26:27], off
.LBB117_129:                            ;   in Loop: Header=BB117_102 Depth=1
	s_or_b64 exec, exec, s[8:9]
	v_cmp_gt_i32_e32 vcc, s22, v150
	s_and_saveexec_b64 s[8:9], vcc
	s_cbranch_execz .LBB117_131
; %bb.130:                              ;   in Loop: Header=BB117_102 Depth=1
	v_add_co_u32_e32 v28, vcc, v116, v135
	v_addc_co_u32_e32 v29, vcc, v117, v136, vcc
	global_load_dwordx2 v[74:75], v[28:29], off
.LBB117_131:                            ;   in Loop: Header=BB117_102 Depth=1
	s_or_b64 exec, exec, s[8:9]
	v_mov_b32_e32 v76, 0
	v_mov_b32_e32 v77, 0
	v_cmp_gt_i32_e32 vcc, s22, v151
	s_and_saveexec_b64 s[8:9], vcc
	s_cbranch_execz .LBB117_133
; %bb.132:                              ;   in Loop: Header=BB117_102 Depth=1
	v_add_co_u32_e32 v28, vcc, v118, v135
	v_addc_co_u32_e32 v29, vcc, v119, v136, vcc
	global_load_dwordx2 v[76:77], v[28:29], off
.LBB117_133:                            ;   in Loop: Header=BB117_102 Depth=1
	s_or_b64 exec, exec, s[8:9]
	v_cmp_gt_i32_e64 s[8:9], s22, v152
	s_branch .LBB117_136
.LBB117_134:                            ;   in Loop: Header=BB117_102 Depth=1
	s_mov_b64 s[8:9], 0
                                        ; implicit-def: $vgpr76_vgpr77
                                        ; implicit-def: $vgpr74_vgpr75
                                        ; implicit-def: $vgpr72_vgpr73
	s_cbranch_execz .LBB117_136
; %bb.135:                              ;   in Loop: Header=BB117_102 Depth=1
	global_load_dwordx2 v[72:73], v[26:27], off
	v_add_co_u32_e32 v26, vcc, v116, v135
	v_addc_co_u32_e32 v27, vcc, v117, v136, vcc
	global_load_dwordx2 v[74:75], v[26:27], off
	v_add_co_u32_e32 v26, vcc, v120, v135
	v_addc_co_u32_e32 v27, vcc, v121, v136, vcc
	global_load_dwordx2 v[76:77], v[26:27], off
	s_or_b64 s[8:9], s[8:9], exec
.LBB117_136:                            ;   in Loop: Header=BB117_102 Depth=1
	v_mov_b32_e32 v78, 0
	v_mov_b32_e32 v79, 0
	s_and_saveexec_b64 s[16:17], s[8:9]
	s_cbranch_execz .LBB117_138
; %bb.137:                              ;   in Loop: Header=BB117_102 Depth=1
	v_add_co_u32_e32 v26, vcc, v122, v135
	v_addc_co_u32_e32 v27, vcc, v123, v136, vcc
	global_load_dwordx2 v[78:79], v[26:27], off
.LBB117_138:                            ;   in Loop: Header=BB117_102 Depth=1
	s_or_b64 exec, exec, s[16:17]
	ds_read_b64 v[42:43], v140
	ds_read_b128 v[30:33], v137 offset:256
	ds_read_b128 v[26:29], v137 offset:272
	s_and_b64 vcc, exec, s[4:5]
	v_add_co_u32_e64 v86, s[4:5], v92, v135
	s_waitcnt vmcnt(0) lgkmcnt(2)
	v_mul_f32_e32 v44, v43, v73
	v_mul_f32_e32 v45, v43, v72
	;; [unrolled: 1-line block ×4, first 2 shown]
	v_fma_f32 v44, v42, v72, -v44
	v_fmac_f32_e32 v45, v42, v73
	v_fma_f32 v46, v42, v74, -v46
	v_fmac_f32_e32 v47, v42, v75
	ds_write2_b64 v141, v[44:45], v[46:47] offset1:67
	v_mul_f32_e32 v44, v43, v77
	v_mul_f32_e32 v45, v43, v76
	;; [unrolled: 1-line block ×4, first 2 shown]
	v_fma_f32 v44, v42, v76, -v44
	v_fmac_f32_e32 v45, v42, v77
	v_fma_f32 v46, v42, v78, -v46
	v_fmac_f32_e32 v47, v43, v78
	ds_write2_b64 v141, v[44:45], v[46:47] offset0:134 offset1:201
	s_waitcnt lgkmcnt(0)
	s_barrier
	ds_read2_b64 v[46:49], v132 offset1:1
	ds_read2_b64 v[42:45], v132 offset0:2 offset1:3
	v_addc_co_u32_e64 v87, s[4:5], v93, v136, s[4:5]
	s_waitcnt lgkmcnt(0)
	s_barrier
	s_cbranch_vccnz .LBB117_146
; %bb.139:                              ;   in Loop: Header=BB117_102 Depth=1
	v_mov_b32_e32 v82, 0
	v_mov_b32_e32 v80, 0
	;; [unrolled: 1-line block ×4, first 2 shown]
	v_cmp_gt_i32_e32 vcc, s22, v153
	s_and_saveexec_b64 s[4:5], vcc
	s_cbranch_execz .LBB117_141
; %bb.140:                              ;   in Loop: Header=BB117_102 Depth=1
	global_load_dwordx2 v[80:81], v[86:87], off
.LBB117_141:                            ;   in Loop: Header=BB117_102 Depth=1
	s_or_b64 exec, exec, s[4:5]
	v_cmp_gt_i32_e32 vcc, s22, v154
	s_and_saveexec_b64 s[4:5], vcc
	s_cbranch_execz .LBB117_143
; %bb.142:                              ;   in Loop: Header=BB117_102 Depth=1
	v_add_co_u32_e32 v82, vcc, v124, v135
	v_addc_co_u32_e32 v83, vcc, v125, v136, vcc
	global_load_dwordx2 v[82:83], v[82:83], off
.LBB117_143:                            ;   in Loop: Header=BB117_102 Depth=1
	s_or_b64 exec, exec, s[4:5]
	v_mov_b32_e32 v84, 0
	v_mov_b32_e32 v85, 0
	v_cmp_gt_i32_e32 vcc, s22, v155
	s_and_saveexec_b64 s[4:5], vcc
	s_cbranch_execz .LBB117_145
; %bb.144:                              ;   in Loop: Header=BB117_102 Depth=1
	v_add_co_u32_e32 v84, vcc, v126, v135
	v_addc_co_u32_e32 v85, vcc, v127, v136, vcc
	global_load_dwordx2 v[84:85], v[84:85], off
.LBB117_145:                            ;   in Loop: Header=BB117_102 Depth=1
	s_or_b64 exec, exec, s[4:5]
	v_cmp_gt_i32_e64 s[4:5], s22, v156
	s_branch .LBB117_148
.LBB117_146:                            ;   in Loop: Header=BB117_102 Depth=1
	s_mov_b64 s[4:5], 0
                                        ; implicit-def: $vgpr84_vgpr85
                                        ; implicit-def: $vgpr82_vgpr83
                                        ; implicit-def: $vgpr80_vgpr81
	s_cbranch_execz .LBB117_148
; %bb.147:                              ;   in Loop: Header=BB117_102 Depth=1
	s_waitcnt vmcnt(0)
	v_add_co_u32_e32 v82, vcc, v124, v135
	v_addc_co_u32_e32 v83, vcc, v125, v136, vcc
	v_add_co_u32_e32 v84, vcc, v128, v135
	v_addc_co_u32_e32 v85, vcc, v129, v136, vcc
	global_load_dwordx2 v[80:81], v[86:87], off
	s_or_b64 s[4:5], s[4:5], exec
	global_load_dwordx2 v[82:83], v[82:83], off
	s_nop 0
	global_load_dwordx2 v[84:85], v[84:85], off
.LBB117_148:                            ;   in Loop: Header=BB117_102 Depth=1
	v_mov_b32_e32 v86, 0
	v_mov_b32_e32 v87, 0
	s_and_saveexec_b64 s[8:9], s[4:5]
	s_cbranch_execz .LBB117_150
; %bb.149:                              ;   in Loop: Header=BB117_102 Depth=1
	v_add_co_u32_e32 v86, vcc, v130, v135
	v_addc_co_u32_e32 v87, vcc, v131, v136, vcc
	global_load_dwordx2 v[86:87], v[86:87], off
.LBB117_150:                            ;   in Loop: Header=BB117_102 Depth=1
	s_or_b64 exec, exec, s[8:9]
	v_add_f32_e32 v38, 0, v38
	v_add_f32_e32 v39, 0, v39
	;; [unrolled: 1-line block ×6, first 2 shown]
	ds_read_b64 v[38:39], v140
	v_add_f32_e32 v46, 0, v46
	v_add_f32_e32 v47, 0, v47
	;; [unrolled: 1-line block ×7, first 2 shown]
	s_waitcnt vmcnt(0) lgkmcnt(0)
	v_mul_f32_e32 v40, v39, v81
	v_mul_f32_e32 v41, v39, v80
	;; [unrolled: 1-line block ×4, first 2 shown]
	v_add_f32_e32 v23, 0, v23
	v_add_f32_e32 v22, v22, v24
	v_fma_f32 v40, v38, v80, -v40
	v_fmac_f32_e32 v41, v38, v81
	v_fma_f32 v46, v38, v82, -v46
	v_fmac_f32_e32 v47, v38, v83
	v_add_f32_e32 v42, v42, v44
	v_add_f32_e32 v43, v43, v45
	;; [unrolled: 1-line block ×6, first 2 shown]
	ds_read_b128 v[34:37], v137 offset:384
	ds_read_b128 v[22:25], v137 offset:400
	ds_write2_b64 v141, v[40:41], v[46:47] offset1:67
	v_mul_f32_e32 v40, v39, v85
	v_mul_f32_e32 v41, v39, v84
	;; [unrolled: 1-line block ×4, first 2 shown]
	v_fma_f32 v40, v38, v84, -v40
	v_fmac_f32_e32 v41, v38, v85
	v_fma_f32 v46, v38, v86, -v46
	v_fmac_f32_e32 v47, v39, v86
	ds_write2_b64 v141, v[40:41], v[46:47] offset0:134 offset1:201
	s_waitcnt lgkmcnt(0)
	s_barrier
	ds_read2_b64 v[38:41], v132 offset1:1
	v_add_f32_e32 v19, v48, v19
	v_add_f32_e32 v46, v18, v20
	;; [unrolled: 1-line block ×3, first 2 shown]
	ds_read2_b64 v[18:21], v132 offset0:2 offset1:3
	s_waitcnt lgkmcnt(1)
	v_add_f32_e32 v38, 0, v38
	v_add_f32_e32 v39, 0, v39
	v_cmp_gt_i32_e32 vcc, s22, v0
	v_add_f32_e32 v38, v38, v40
	v_add_f32_e32 v39, v39, v41
	s_or_b64 s[4:5], s[14:15], vcc
	s_waitcnt lgkmcnt(0)
	v_add_f32_e32 v18, v38, v18
	v_add_f32_e32 v19, v39, v19
	s_and_b64 s[8:9], s[2:3], s[4:5]
	v_add_f32_e32 v18, v18, v20
	v_add_f32_e32 v19, v19, v21
	s_barrier
	ds_write2_b64 v138, v[46:47], v[44:45] offset1:16
	ds_write2_b64 v138, v[42:43], v[18:19] offset0:32 offset1:48
	s_waitcnt lgkmcnt(0)
	s_barrier
	s_and_saveexec_b64 s[4:5], s[8:9]
	s_cbranch_execz .LBB117_152
; %bb.151:                              ;   in Loop: Header=BB117_102 Depth=1
	ds_read_b64 v[42:43], v133
	ds_read2_b64 v[18:21], v133 offset0:1 offset1:2
	ds_read2_b64 v[38:41], v133 offset0:3 offset1:4
	v_ashrrev_i32_e32 v54, 31, v53
	s_waitcnt lgkmcnt(1)
	v_add_f32_e32 v18, v18, v42
	v_add_f32_e32 v19, v19, v43
	;; [unrolled: 1-line block ×4, first 2 shown]
	ds_read2_b64 v[18:21], v133 offset0:5 offset1:6
	s_waitcnt lgkmcnt(1)
	v_add_f32_e32 v38, v42, v38
	v_add_f32_e32 v39, v43, v39
	;; [unrolled: 1-line block ×4, first 2 shown]
	s_waitcnt lgkmcnt(0)
	v_add_f32_e32 v18, v38, v18
	ds_read2_b64 v[38:41], v133 offset0:7 offset1:8
	v_add_f32_e32 v19, v42, v19
	v_add_f32_e32 v42, v18, v20
	;; [unrolled: 1-line block ×3, first 2 shown]
	ds_read2_b64 v[18:21], v133 offset0:9 offset1:10
	s_waitcnt lgkmcnt(1)
	v_add_f32_e32 v38, v42, v38
	v_add_f32_e32 v39, v43, v39
	;; [unrolled: 1-line block ×4, first 2 shown]
	s_waitcnt lgkmcnt(0)
	v_add_f32_e32 v18, v38, v18
	ds_read2_b64 v[38:41], v133 offset0:11 offset1:12
	v_add_f32_e32 v19, v42, v19
	v_add_f32_e32 v42, v18, v20
	;; [unrolled: 1-line block ×3, first 2 shown]
	ds_read2_b64 v[18:21], v133 offset0:13 offset1:14
	s_waitcnt lgkmcnt(1)
	v_add_f32_e32 v38, v42, v38
	v_add_f32_e32 v39, v43, v39
	;; [unrolled: 1-line block ×4, first 2 shown]
	ds_read_b64 v[38:39], v134
	s_waitcnt lgkmcnt(1)
	v_add_f32_e32 v18, v40, v18
	v_add_f32_e32 v19, v41, v19
	;; [unrolled: 1-line block ×4, first 2 shown]
	v_lshlrev_b64 v[20:21], 3, v[53:54]
	s_waitcnt lgkmcnt(0)
	v_add_f32_e32 v18, v18, v38
	v_mov_b32_e32 v38, s19
	v_add_co_u32_e32 v20, vcc, s7, v20
	v_add_f32_e32 v19, v19, v39
	v_addc_co_u32_e32 v21, vcc, v38, v21, vcc
	global_store_dwordx2 v[20:21], v[18:19], off
.LBB117_152:                            ;   in Loop: Header=BB117_102 Depth=1
	s_or_b64 exec, exec, s[4:5]
	v_mul_f32_e32 v18, v7, v57
	v_fma_f32 v18, v6, v56, -v18
	v_mul_f32_e32 v19, v9, v59
	v_mul_f32_e32 v7, v7, v56
	v_add_f32_e32 v18, v51, v18
	v_fma_f32 v19, v8, v58, -v19
	v_mul_f32_e32 v9, v9, v58
	v_add_f32_e32 v18, v18, v19
	v_mul_f32_e32 v19, v3, v61
	v_fmac_f32_e32 v7, v6, v57
	v_fma_f32 v19, v2, v60, -v19
	v_mul_f32_e32 v3, v3, v60
	v_add_f32_e32 v6, v52, v7
	v_fmac_f32_e32 v9, v8, v59
	v_add_f32_e32 v18, v18, v19
	v_mul_f32_e32 v19, v5, v63
	v_mul_f32_e32 v5, v5, v62
	v_add_f32_e32 v6, v6, v9
	v_fmac_f32_e32 v3, v2, v61
	v_fma_f32 v19, v4, v62, -v19
	v_add_f32_e32 v2, v6, v3
	v_fmac_f32_e32 v5, v4, v63
	v_mul_f32_e32 v3, v15, v65
	v_add_f32_e32 v18, v18, v19
	v_add_f32_e32 v2, v2, v5
	v_fma_f32 v3, v14, v64, -v3
	v_mul_f32_e32 v5, v17, v67
	v_add_f32_e32 v3, v18, v3
	v_fma_f32 v5, v16, v66, -v5
	v_mul_f32_e32 v4, v15, v64
	v_add_f32_e32 v3, v3, v5
	v_mul_f32_e32 v5, v11, v69
	v_mul_f32_e32 v6, v17, v66
	v_fma_f32 v5, v10, v68, -v5
	v_fmac_f32_e32 v4, v14, v65
	v_mul_f32_e32 v7, v11, v68
	v_add_f32_e32 v3, v3, v5
	v_mul_f32_e32 v5, v13, v71
	v_add_f32_e32 v2, v2, v4
	v_fmac_f32_e32 v6, v16, v67
	v_fma_f32 v5, v12, v70, -v5
	v_mul_f32_e32 v8, v13, v70
	v_add_f32_e32 v2, v2, v6
	v_fmac_f32_e32 v7, v10, v69
	v_add_f32_e32 v3, v3, v5
	v_add_f32_e32 v2, v2, v7
	v_fmac_f32_e32 v8, v12, v71
	v_mul_f32_e32 v5, v31, v72
	v_add_f32_e32 v2, v2, v8
	v_mul_f32_e32 v6, v33, v74
	v_fmac_f32_e32 v5, v30, v73
	v_mul_f32_e32 v7, v27, v76
	v_add_f32_e32 v2, v2, v5
	v_fmac_f32_e32 v6, v32, v75
	v_mul_f32_e32 v8, v29, v78
	v_add_f32_e32 v2, v2, v6
	v_fmac_f32_e32 v7, v26, v77
	v_add_f32_e32 v2, v2, v7
	v_fmac_f32_e32 v8, v28, v79
	v_mul_f32_e32 v5, v35, v80
	v_add_f32_e32 v2, v2, v8
	v_mul_f32_e32 v6, v37, v82
	v_fmac_f32_e32 v5, v34, v81
	v_mul_f32_e32 v7, v23, v84
	v_fmac_f32_e32 v6, v36, v83
	v_add_f32_e32 v2, v2, v5
	v_mul_f32_e32 v8, v25, v86
	v_fmac_f32_e32 v7, v22, v85
	v_add_f32_e32 v2, v2, v6
	v_fmac_f32_e32 v8, v24, v87
	v_add_f32_e32 v2, v2, v7
	v_add_f32_e32 v52, v2, v8
	v_mov_b32_e32 v2, s13
	v_add_co_u32_e32 v94, vcc, s12, v94
	v_addc_co_u32_e32 v95, vcc, v95, v2, vcc
	v_add_co_u32_e32 v96, vcc, s12, v96
	v_addc_co_u32_e32 v97, vcc, v97, v2, vcc
	;; [unrolled: 2-line block ×11, first 2 shown]
	v_add_co_u32_e32 v116, vcc, s12, v116
	v_mul_f32_e32 v4, v31, v73
	v_addc_co_u32_e32 v117, vcc, v117, v2, vcc
	v_fma_f32 v4, v30, v72, -v4
	v_add_co_u32_e32 v118, vcc, s12, v118
	v_add_f32_e32 v3, v3, v4
	v_mul_f32_e32 v4, v33, v75
	v_addc_co_u32_e32 v119, vcc, v119, v2, vcc
	v_fma_f32 v4, v32, v74, -v4
	v_add_co_u32_e32 v120, vcc, s12, v120
	v_add_f32_e32 v3, v3, v4
	;; [unrolled: 5-line block ×7, first 2 shown]
	v_mul_f32_e32 v4, v25, v87
	v_addc_co_u32_e32 v129, vcc, v129, v2, vcc
	v_fma_f32 v4, v24, v86, -v4
	s_add_i32 s4, s6, 1
	s_add_i32 s10, s10, s25
	;; [unrolled: 1-line block ×3, first 2 shown]
	v_add_co_u32_e32 v130, vcc, s12, v130
	v_add_f32_e32 v51, v3, v4
	v_add_u32_e32 v53, 64, v53
	s_cmp_ge_u32 s5, s33
	v_addc_co_u32_e32 v131, vcc, v131, v2, vcc
	s_waitcnt vmcnt(0)
	s_barrier
	s_cbranch_scc1 .LBB117_154
; %bb.153:                              ;   in Loop: Header=BB117_102 Depth=1
	s_mov_b32 s6, s4
	s_cmp_eq_u32 s24, s6
	s_cselect_b32 s22, s38, 0
	s_and_saveexec_b64 s[4:5], s[0:1]
	s_cbranch_execnz .LBB117_98
	s_branch .LBB117_102
.LBB117_154:
	s_movk_i32 s2, 0x218
	v_cmp_gt_i32_e32 vcc, s18, v0
	v_mad_u32_u24 v1, v1, s2, v88
	s_or_b64 s[2:3], s[20:21], vcc
	s_and_b64 s[0:1], s[0:1], s[2:3]
	ds_write_b64 v1, v[51:52]
	s_waitcnt lgkmcnt(0)
	s_barrier
	s_and_saveexec_b64 s[2:3], s[0:1]
	s_cbranch_execz .LBB117_156
; %bb.155:
	ds_read2_b64 v[0:3], v88 offset1:67
	ds_read2_b64 v[4:7], v88 offset0:134 offset1:201
	v_ashrrev_i32_e32 v51, 31, v50
	s_waitcnt lgkmcnt(1)
	v_add_f32_e32 v0, v2, v0
	v_add_f32_e32 v1, v3, v1
	v_lshlrev_b64 v[2:3], 3, v[50:51]
	s_waitcnt lgkmcnt(0)
	v_add_f32_e32 v0, v4, v0
	v_add_f32_e32 v1, v5, v1
	v_mov_b32_e32 v4, s19
	v_add_co_u32_e32 v2, vcc, s7, v2
	v_add_f32_e32 v0, v0, v6
	v_add_f32_e32 v1, v1, v7
	v_addc_co_u32_e32 v3, vcc, v4, v3, vcc
	global_store_dwordx2 v[2:3], v[0:1], off
.LBB117_156:
	s_endpgm
	.section	.rodata,"a",@progbits
	.p2align	6, 0x0
	.amdhsa_kernel _ZL26rocblas_hemvn_kernel_upperILb0ELi64ELi4ELi33ELi32ELi16Ei19rocblas_complex_numIfEPKS1_PS1_EviT6_lT7_lT5_lS6_lS7_lS5_lT8_i
		.amdhsa_group_segment_fixed_size 9600
		.amdhsa_private_segment_fixed_size 0
		.amdhsa_kernarg_size 376
		.amdhsa_user_sgpr_count 6
		.amdhsa_user_sgpr_private_segment_buffer 1
		.amdhsa_user_sgpr_dispatch_ptr 0
		.amdhsa_user_sgpr_queue_ptr 0
		.amdhsa_user_sgpr_kernarg_segment_ptr 1
		.amdhsa_user_sgpr_dispatch_id 0
		.amdhsa_user_sgpr_flat_scratch_init 0
		.amdhsa_user_sgpr_private_segment_size 0
		.amdhsa_uses_dynamic_stack 0
		.amdhsa_system_sgpr_private_segment_wavefront_offset 0
		.amdhsa_system_sgpr_workgroup_id_x 1
		.amdhsa_system_sgpr_workgroup_id_y 0
		.amdhsa_system_sgpr_workgroup_id_z 1
		.amdhsa_system_sgpr_workgroup_info 0
		.amdhsa_system_vgpr_workitem_id 1
		.amdhsa_next_free_vgpr 157
		.amdhsa_next_free_sgpr 93
		.amdhsa_reserve_vcc 1
		.amdhsa_reserve_flat_scratch 0
		.amdhsa_float_round_mode_32 0
		.amdhsa_float_round_mode_16_64 0
		.amdhsa_float_denorm_mode_32 3
		.amdhsa_float_denorm_mode_16_64 3
		.amdhsa_dx10_clamp 1
		.amdhsa_ieee_mode 1
		.amdhsa_fp16_overflow 0
		.amdhsa_exception_fp_ieee_invalid_op 0
		.amdhsa_exception_fp_denorm_src 0
		.amdhsa_exception_fp_ieee_div_zero 0
		.amdhsa_exception_fp_ieee_overflow 0
		.amdhsa_exception_fp_ieee_underflow 0
		.amdhsa_exception_fp_ieee_inexact 0
		.amdhsa_exception_int_div_zero 0
	.end_amdhsa_kernel
	.section	.text._ZL26rocblas_hemvn_kernel_upperILb0ELi64ELi4ELi33ELi32ELi16Ei19rocblas_complex_numIfEPKS1_PS1_EviT6_lT7_lT5_lS6_lS7_lS5_lT8_i,"axG",@progbits,_ZL26rocblas_hemvn_kernel_upperILb0ELi64ELi4ELi33ELi32ELi16Ei19rocblas_complex_numIfEPKS1_PS1_EviT6_lT7_lT5_lS6_lS7_lS5_lT8_i,comdat
.Lfunc_end117:
	.size	_ZL26rocblas_hemvn_kernel_upperILb0ELi64ELi4ELi33ELi32ELi16Ei19rocblas_complex_numIfEPKS1_PS1_EviT6_lT7_lT5_lS6_lS7_lS5_lT8_i, .Lfunc_end117-_ZL26rocblas_hemvn_kernel_upperILb0ELi64ELi4ELi33ELi32ELi16Ei19rocblas_complex_numIfEPKS1_PS1_EviT6_lT7_lT5_lS6_lS7_lS5_lT8_i
                                        ; -- End function
	.set _ZL26rocblas_hemvn_kernel_upperILb0ELi64ELi4ELi33ELi32ELi16Ei19rocblas_complex_numIfEPKS1_PS1_EviT6_lT7_lT5_lS6_lS7_lS5_lT8_i.num_vgpr, 157
	.set _ZL26rocblas_hemvn_kernel_upperILb0ELi64ELi4ELi33ELi32ELi16Ei19rocblas_complex_numIfEPKS1_PS1_EviT6_lT7_lT5_lS6_lS7_lS5_lT8_i.num_agpr, 0
	.set _ZL26rocblas_hemvn_kernel_upperILb0ELi64ELi4ELi33ELi32ELi16Ei19rocblas_complex_numIfEPKS1_PS1_EviT6_lT7_lT5_lS6_lS7_lS5_lT8_i.numbered_sgpr, 44
	.set _ZL26rocblas_hemvn_kernel_upperILb0ELi64ELi4ELi33ELi32ELi16Ei19rocblas_complex_numIfEPKS1_PS1_EviT6_lT7_lT5_lS6_lS7_lS5_lT8_i.num_named_barrier, 0
	.set _ZL26rocblas_hemvn_kernel_upperILb0ELi64ELi4ELi33ELi32ELi16Ei19rocblas_complex_numIfEPKS1_PS1_EviT6_lT7_lT5_lS6_lS7_lS5_lT8_i.private_seg_size, 0
	.set _ZL26rocblas_hemvn_kernel_upperILb0ELi64ELi4ELi33ELi32ELi16Ei19rocblas_complex_numIfEPKS1_PS1_EviT6_lT7_lT5_lS6_lS7_lS5_lT8_i.uses_vcc, 1
	.set _ZL26rocblas_hemvn_kernel_upperILb0ELi64ELi4ELi33ELi32ELi16Ei19rocblas_complex_numIfEPKS1_PS1_EviT6_lT7_lT5_lS6_lS7_lS5_lT8_i.uses_flat_scratch, 0
	.set _ZL26rocblas_hemvn_kernel_upperILb0ELi64ELi4ELi33ELi32ELi16Ei19rocblas_complex_numIfEPKS1_PS1_EviT6_lT7_lT5_lS6_lS7_lS5_lT8_i.has_dyn_sized_stack, 0
	.set _ZL26rocblas_hemvn_kernel_upperILb0ELi64ELi4ELi33ELi32ELi16Ei19rocblas_complex_numIfEPKS1_PS1_EviT6_lT7_lT5_lS6_lS7_lS5_lT8_i.has_recursion, 0
	.set _ZL26rocblas_hemvn_kernel_upperILb0ELi64ELi4ELi33ELi32ELi16Ei19rocblas_complex_numIfEPKS1_PS1_EviT6_lT7_lT5_lS6_lS7_lS5_lT8_i.has_indirect_call, 0
	.section	.AMDGPU.csdata,"",@progbits
; Kernel info:
; codeLenInByte = 8316
; TotalNumSgprs: 48
; NumVgprs: 157
; ScratchSize: 0
; MemoryBound: 1
; FloatMode: 240
; IeeeMode: 1
; LDSByteSize: 9600 bytes/workgroup (compile time only)
; SGPRBlocks: 12
; VGPRBlocks: 39
; NumSGPRsForWavesPerEU: 97
; NumVGPRsForWavesPerEU: 157
; Occupancy: 1
; WaveLimiterHint : 1
; COMPUTE_PGM_RSRC2:SCRATCH_EN: 0
; COMPUTE_PGM_RSRC2:USER_SGPR: 6
; COMPUTE_PGM_RSRC2:TRAP_HANDLER: 0
; COMPUTE_PGM_RSRC2:TGID_X_EN: 1
; COMPUTE_PGM_RSRC2:TGID_Y_EN: 0
; COMPUTE_PGM_RSRC2:TGID_Z_EN: 1
; COMPUTE_PGM_RSRC2:TIDIG_COMP_CNT: 1
	.section	.text._ZL26rocblas_hemvn_kernel_lowerILb0ELi64ELi4ELi33ELi32ELi16ElPK19rocblas_complex_numIfES3_PS1_EviT6_lT7_lT5_lS6_lS7_lS5_lT8_i,"axG",@progbits,_ZL26rocblas_hemvn_kernel_lowerILb0ELi64ELi4ELi33ELi32ELi16ElPK19rocblas_complex_numIfES3_PS1_EviT6_lT7_lT5_lS6_lS7_lS5_lT8_i,comdat
	.globl	_ZL26rocblas_hemvn_kernel_lowerILb0ELi64ELi4ELi33ELi32ELi16ElPK19rocblas_complex_numIfES3_PS1_EviT6_lT7_lT5_lS6_lS7_lS5_lT8_i ; -- Begin function _ZL26rocblas_hemvn_kernel_lowerILb0ELi64ELi4ELi33ELi32ELi16ElPK19rocblas_complex_numIfES3_PS1_EviT6_lT7_lT5_lS6_lS7_lS5_lT8_i
	.p2align	8
	.type	_ZL26rocblas_hemvn_kernel_lowerILb0ELi64ELi4ELi33ELi32ELi16ElPK19rocblas_complex_numIfES3_PS1_EviT6_lT7_lT5_lS6_lS7_lS5_lT8_i,@function
_ZL26rocblas_hemvn_kernel_lowerILb0ELi64ELi4ELi33ELi32ELi16ElPK19rocblas_complex_numIfES3_PS1_EviT6_lT7_lT5_lS6_lS7_lS5_lT8_i: ; @_ZL26rocblas_hemvn_kernel_lowerILb0ELi64ELi4ELi33ELi32ELi16ElPK19rocblas_complex_numIfES3_PS1_EviT6_lT7_lT5_lS6_lS7_lS5_lT8_i
; %bb.0:
	s_load_dwordx2 s[2:3], s[4:5], 0x84
	s_add_u32 s0, s4, 0x78
	s_addc_u32 s1, s5, 0
	s_waitcnt lgkmcnt(0)
	s_lshr_b32 s8, s2, 16
	s_and_b32 s2, s2, 0xffff
	s_and_b32 s3, s3, 0xffff
	s_mul_i32 s2, s8, s2
	s_mul_i32 s2, s2, s3
	s_cmpk_lg_i32 s2, 0x100
	s_cbranch_scc1 .LBB118_105
; %bb.1:
	s_load_dwordx16 s[12:27], s[4:5], 0x8
	s_waitcnt lgkmcnt(0)
	s_mul_i32 s3, s15, s7
	s_mul_hi_u32 s8, s14, s7
	s_mul_i32 s2, s14, s7
	s_add_i32 s3, s8, s3
	s_lshl_b64 s[2:3], s[2:3], 3
	s_add_u32 s2, s12, s2
	s_addc_u32 s3, s13, s3
	s_load_dwordx2 s[8:9], s[2:3], 0x0
	s_load_dwordx2 s[28:29], s[4:5], 0x68
	s_load_dwordx8 s[36:43], s[4:5], 0x48
	s_waitcnt lgkmcnt(0)
	s_or_b32 s2, s8, s9
	s_bitset0_b32 s2, 31
	s_cmp_lg_u32 s2, 0
	s_cselect_b64 s[2:3], -1, 0
	s_mov_b64 s[8:9], -1
	s_and_b64 vcc, exec, s[2:3]
	s_cbranch_vccnz .LBB118_3
; %bb.2:
	s_mul_i32 s8, s43, s7
	s_mul_hi_u32 s9, s42, s7
	s_add_i32 s9, s9, s8
	s_mul_i32 s8, s42, s7
	s_lshl_b64 s[8:9], s[8:9], 3
	s_add_u32 s8, s40, s8
	s_addc_u32 s9, s41, s9
	s_load_dwordx2 s[10:11], s[8:9], 0x0
	s_waitcnt lgkmcnt(0)
	v_cmp_neq_f32_e64 s[8:9], s10, 1.0
	v_cmp_neq_f32_e64 s[10:11], s11, 0
	s_or_b64 s[8:9], s[8:9], s[10:11]
.LBB118_3:
	s_andn2_b64 vcc, exec, s[8:9]
	s_cbranch_vccnz .LBB118_105
; %bb.4:
	s_andn2_b64 vcc, exec, s[2:3]
	s_cbranch_vccnz .LBB118_105
; %bb.5:
	s_load_dword s42, s[0:1], 0x0
	s_load_dword s33, s[4:5], 0x0
	s_mul_i32 s0, s39, s7
	s_mul_hi_u32 s1, s38, s7
	s_add_i32 s1, s1, s0
	s_mul_i32 s0, s38, s7
	s_lshl_b64 s[0:1], s[0:1], 3
	s_add_u32 s2, s24, s0
	s_addc_u32 s3, s25, s1
	s_lshl_b64 s[0:1], s[26:27], 3
	s_add_u32 s2, s2, s0
	s_addc_u32 s3, s3, s1
	s_lshl_b32 s26, s6, 6
	s_waitcnt lgkmcnt(0)
	s_ashr_i32 s43, s33, 31
	s_lshr_b32 s0, s43, 26
	v_add_u32_e32 v34, s26, v0
	s_add_i32 s0, s33, s0
	v_ashrrev_i32_e32 v35, 31, v34
	s_and_b32 s5, s0, 0xffffffc0
	v_mul_lo_u32 v4, s36, v35
	v_mul_lo_u32 v5, s37, v34
	v_mad_u64_u32 v[2:3], s[0:1], s36, v34, 0
	s_add_i32 s4, s42, -1
	s_sub_i32 s0, s33, s5
	v_add3_u32 v3, v3, v4, v5
	v_lshlrev_b64 v[2:3], 3, v[2:3]
	s_cmp_eq_u32 s6, s4
	v_mov_b32_e32 v4, s3
	v_add_co_u32_e32 v18, vcc, s2, v2
	s_cselect_b32 s24, s0, 0
	v_addc_co_u32_e32 v19, vcc, v4, v3, vcc
	v_cmp_ne_u32_e64 s[0:1], 0, v1
	v_cmp_eq_u32_e64 s[2:3], 0, v1
	s_and_saveexec_b64 s[4:5], s[2:3]
	s_cbranch_execz .LBB118_10
; %bb.6:
	s_cmp_lg_u32 s24, 0
	s_cselect_b64 s[8:9], -1, 0
	v_cmp_le_i32_e32 vcc, s24, v0
	v_mov_b32_e32 v2, 0x2380
	s_and_b64 s[8:9], s[8:9], vcc
	v_lshl_add_u32 v2, v0, 3, v2
	s_and_saveexec_b64 s[10:11], s[8:9]
	s_xor_b64 s[8:9], exec, s[10:11]
; %bb.7:
	v_mov_b32_e32 v3, 0
	v_mov_b32_e32 v4, v3
	ds_write_b64 v2, v[3:4]
                                        ; implicit-def: $vgpr2
; %bb.8:
	s_andn2_saveexec_b64 s[8:9], s[8:9]
	s_cbranch_execz .LBB118_10
; %bb.9:
	global_load_dwordx2 v[3:4], v[18:19], off
	s_waitcnt vmcnt(0)
	ds_write_b64 v2, v[3:4]
.LBB118_10:
	s_or_b64 exec, exec, s[4:5]
	v_lshl_add_u32 v24, v1, 6, v0
	s_mul_i32 s4, s23, s7
	s_mul_hi_u32 s5, s22, s7
	v_and_b32_e32 v2, 31, v0
	v_lshrrev_b32_e32 v7, 5, v24
	s_add_i32 s5, s5, s4
	s_mul_i32 s4, s22, s7
	v_mov_b32_e32 v3, 0
	s_lshl_b64 s[4:5], s[4:5], 3
	v_mad_u64_u32 v[3:4], s[8:9], s20, v7, v[2:3]
	s_add_u32 s10, s16, s4
	s_addc_u32 s11, s17, s5
	s_lshl_b64 s[4:5], s[18:19], 3
	s_add_u32 s8, s10, s4
	s_addc_u32 s9, s11, s5
	v_mad_u64_u32 v[4:5], s[4:5], s21, v7, v[4:5]
	s_ashr_i32 s27, s26, 31
	s_lshl_b64 s[4:5], s[26:27], 3
	s_add_u32 s4, s8, s4
	v_lshlrev_b64 v[20:21], 3, v[3:4]
	s_addc_u32 s5, s9, s5
	v_mov_b32_e32 v3, s5
	v_add_co_u32_e32 v4, vcc, s4, v20
	s_mul_hi_u32 s4, s20, s26
	s_mul_i32 s5, s20, s27
	s_add_i32 s4, s4, s5
	s_mul_i32 s5, s21, s26
	s_add_i32 s5, s4, s5
	s_mul_i32 s4, s20, s26
	v_addc_co_u32_e32 v5, vcc, v3, v21, vcc
	s_lshl_b64 s[30:31], s[4:5], 3
	v_mov_b32_e32 v6, s31
	v_add_co_u32_e32 v3, vcc, s30, v4
	s_cmp_lg_u32 s24, 0
	v_addc_co_u32_e32 v4, vcc, v5, v6, vcc
	s_cselect_b64 s[34:35], -1, 0
	s_cmp_eq_u32 s24, 0
	s_cselect_b64 s[16:17], -1, 0
	s_mov_b64 s[4:5], -1
	s_and_b64 vcc, exec, s[34:35]
	s_cbranch_vccnz .LBB118_12
; %bb.11:
	s_lshl_b64 s[4:5], s[20:21], 6
	v_mov_b32_e32 v11, s5
	v_add_co_u32_e32 v5, vcc, s4, v3
	v_addc_co_u32_e32 v6, vcc, v4, v11, vcc
	v_add_co_u32_e32 v8, vcc, s4, v5
	v_addc_co_u32_e32 v9, vcc, v6, v11, vcc
	;; [unrolled: 2-line block ×3, first 2 shown]
	global_load_dwordx2 v[12:13], v[3:4], off
	global_load_dwordx2 v[14:15], v[5:6], off
	;; [unrolled: 1-line block ×4, first 2 shown]
	v_mul_u32_u24_e32 v5, 0x108, v7
	v_lshl_add_u32 v5, v2, 3, v5
	s_mov_b64 s[4:5], 0
	s_waitcnt vmcnt(3)
	ds_write_b64 v5, v[12:13]
	s_waitcnt vmcnt(2)
	ds_write_b64 v5, v[14:15] offset:2112
	s_waitcnt vmcnt(1)
	ds_write_b64 v5, v[16:17] offset:4224
	;; [unrolled: 2-line block ×3, first 2 shown]
.LBB118_12:
	s_andn2_b64 vcc, exec, s[4:5]
	v_lshlrev_b32_e32 v8, 3, v2
	s_cbranch_vccnz .LBB118_30
; %bb.13:
	v_lshlrev_b32_e32 v9, 3, v2
	v_sub_co_u32_e32 v5, vcc, v3, v9
	s_ashr_i32 s25, s24, 31
	v_subbrev_co_u32_e32 v6, vcc, 0, v4, vcc
	s_lshl_b64 s[8:9], s[24:25], 3
	v_mov_b32_e32 v10, s9
	v_add_co_u32_e32 v5, vcc, s8, v5
	v_addc_co_u32_e32 v6, vcc, v6, v10, vcc
	v_add_co_u32_e32 v5, vcc, -8, v5
	v_addc_co_u32_e32 v6, vcc, -1, v6, vcc
	v_cmp_gt_i32_e32 vcc, s24, v2
	v_cndmask_b32_e32 v6, v6, v4, vcc
	v_cndmask_b32_e32 v5, v5, v3, vcc
	v_cmp_le_i32_e64 s[4:5], s24, v7
	v_mul_u32_u24_e32 v10, 0x108, v7
	s_and_saveexec_b64 s[10:11], s[4:5]
	s_xor_b64 s[4:5], exec, s[10:11]
; %bb.14:
	v_mov_b32_e32 v11, 0
	v_add_u32_e32 v13, v8, v10
	v_mov_b32_e32 v12, v11
	ds_write_b64 v13, v[11:12]
; %bb.15:
	s_andn2_saveexec_b64 s[4:5], s[4:5]
	s_cbranch_execz .LBB118_17
; %bb.16:
	global_load_dwordx2 v[11:12], v[5:6], off
	v_add_u32_e32 v13, v8, v10
	s_waitcnt vmcnt(0)
	ds_write_b64 v13, v[11:12]
.LBB118_17:
	s_or_b64 exec, exec, s[4:5]
	v_add_u32_e32 v11, 8, v7
	v_cmp_le_i32_e64 s[4:5], s24, v11
	s_and_saveexec_b64 s[10:11], s[4:5]
	s_xor_b64 s[4:5], exec, s[10:11]
; %bb.18:
	v_mov_b32_e32 v11, 0
	v_add_u32_e32 v13, v10, v8
	v_mov_b32_e32 v12, v11
	ds_write_b64 v13, v[11:12] offset:2112
; %bb.19:
	s_andn2_saveexec_b64 s[10:11], s[4:5]
	s_cbranch_execz .LBB118_21
; %bb.20:
	s_lshl_b64 s[4:5], s[20:21], 6
	v_mov_b32_e32 v12, s5
	v_add_co_u32_e64 v11, s[4:5], s4, v5
	v_addc_co_u32_e64 v12, s[4:5], v6, v12, s[4:5]
	global_load_dwordx2 v[11:12], v[11:12], off
	v_add_u32_e32 v13, v10, v8
	s_waitcnt vmcnt(0)
	ds_write_b64 v13, v[11:12] offset:2112
.LBB118_21:
	s_or_b64 exec, exec, s[10:11]
	v_add_u32_e32 v11, 16, v7
	v_cmp_le_i32_e64 s[4:5], s24, v11
	s_and_saveexec_b64 s[10:11], s[4:5]
	s_xor_b64 s[4:5], exec, s[10:11]
; %bb.22:
	v_mov_b32_e32 v11, 0
	v_add_u32_e32 v13, v10, v8
	v_mov_b32_e32 v12, v11
	ds_write_b64 v13, v[11:12] offset:4224
; %bb.23:
	s_andn2_saveexec_b64 s[10:11], s[4:5]
	s_cbranch_execz .LBB118_25
; %bb.24:
	s_lshl_b64 s[4:5], s[20:21], 7
	v_mov_b32_e32 v12, s5
	v_add_co_u32_e64 v11, s[4:5], s4, v5
	v_addc_co_u32_e64 v12, s[4:5], v6, v12, s[4:5]
	global_load_dwordx2 v[11:12], v[11:12], off
	v_add_u32_e32 v13, v10, v8
	s_waitcnt vmcnt(0)
	ds_write_b64 v13, v[11:12] offset:4224
.LBB118_25:
	s_or_b64 exec, exec, s[10:11]
	v_add_u32_e32 v11, 24, v7
	v_cmp_le_i32_e64 s[4:5], s24, v11
	s_and_saveexec_b64 s[10:11], s[4:5]
	s_xor_b64 s[4:5], exec, s[10:11]
; %bb.26:
	v_add_u32_e32 v12, v10, v8
	v_mov_b32_e32 v10, 0
	v_mov_b32_e32 v11, v10
	ds_write_b64 v12, v[10:11] offset:6336
                                        ; implicit-def: $vgpr10
; %bb.27:
	s_andn2_saveexec_b64 s[4:5], s[4:5]
	s_cbranch_execz .LBB118_29
; %bb.28:
	v_mov_b32_e32 v11, 0xc0
	v_mad_u64_u32 v[11:12], s[10:11], s20, v11, v[5:6]
	s_mul_i32 s10, s21, 0xc0
	v_add_u32_e32 v10, v10, v8
	v_add_u32_e32 v12, s10, v12
	global_load_dwordx2 v[11:12], v[11:12], off
	s_waitcnt vmcnt(0)
	ds_write_b64 v10, v[11:12] offset:6336
.LBB118_29:
	s_or_b64 exec, exec, s[4:5]
	v_add_co_u32_e64 v5, s[4:5], v5, v9
	v_addc_co_u32_e64 v6, s[4:5], 0, v6, s[4:5]
	v_mov_b32_e32 v9, s9
	v_subrev_co_u32_e64 v5, s[4:5], s8, v5
	v_subb_co_u32_e64 v6, s[4:5], v6, v9, s[4:5]
	v_add_co_u32_e64 v5, s[4:5], 8, v5
	v_addc_co_u32_e64 v6, s[4:5], 0, v6, s[4:5]
	v_cndmask_b32_e32 v4, v6, v4, vcc
	v_cndmask_b32_e32 v3, v5, v3, vcc
.LBB118_30:
	v_lshlrev_b32_e32 v5, 2, v7
	v_lshl_or_b32 v9, v2, 8, v8
	v_cmp_lt_u32_e64 s[18:19], v5, v2
	s_waitcnt lgkmcnt(0)
	s_barrier
	s_and_saveexec_b64 s[4:5], s[18:19]
	s_cbranch_execz .LBB118_32
; %bb.31:
	s_movk_i32 s8, 0x420
	v_mad_u32_u24 v6, v7, s8, v8
	ds_read_b64 v[10:11], v6
	v_lshl_add_u32 v6, v5, 3, v9
	s_waitcnt lgkmcnt(0)
	ds_write_b64 v6, v[10:11]
.LBB118_32:
	s_or_b64 exec, exec, s[4:5]
	v_or_b32_e32 v6, 1, v5
	v_cmp_lt_u32_e64 s[8:9], v6, v2
	s_and_saveexec_b64 s[4:5], s[8:9]
	s_cbranch_execz .LBB118_34
; %bb.33:
	s_movk_i32 s10, 0x108
	v_mad_u32_u24 v10, v6, s10, v8
	ds_read_b64 v[10:11], v10
	v_lshl_add_u32 v12, v5, 3, v9
	s_waitcnt lgkmcnt(0)
	ds_write_b64 v12, v[10:11] offset:8
.LBB118_34:
	s_or_b64 exec, exec, s[4:5]
	v_or_b32_e32 v10, 2, v5
	v_cmp_lt_u32_e64 s[10:11], v10, v2
	s_and_saveexec_b64 s[4:5], s[10:11]
	s_cbranch_execz .LBB118_36
; %bb.35:
	s_movk_i32 s12, 0x108
	v_mad_u32_u24 v10, v10, s12, v8
	ds_read_b64 v[10:11], v10
	v_lshl_add_u32 v12, v5, 3, v9
	s_waitcnt lgkmcnt(0)
	ds_write_b64 v12, v[10:11] offset:16
.LBB118_36:
	s_or_b64 exec, exec, s[4:5]
	v_or_b32_e32 v11, 3, v5
	v_cmp_lt_u32_e64 s[12:13], v11, v2
	v_cmp_ge_u32_e32 vcc, v11, v2
                                        ; implicit-def: $vgpr10
	s_and_saveexec_b64 s[4:5], vcc
	s_xor_b64 s[4:5], exec, s[4:5]
; %bb.37:
	v_mul_u32_u24_e32 v10, 0x108, v11
                                        ; implicit-def: $vgpr9
                                        ; implicit-def: $vgpr11
; %bb.38:
	s_andn2_saveexec_b64 s[4:5], s[4:5]
	s_cbranch_execz .LBB118_40
; %bb.39:
	s_movk_i32 s14, 0x108
	v_mad_u32_u24 v10, v11, s14, v8
	ds_read_b64 v[12:13], v10
	v_lshl_add_u32 v9, v5, 3, v9
	v_mul_u32_u24_e32 v10, 0x108, v11
	s_waitcnt lgkmcnt(0)
	ds_write_b64 v9, v[12:13] offset:24
.LBB118_40:
	s_or_b64 exec, exec, s[4:5]
	s_movk_i32 s4, 0x420
	v_mad_u32_u24 v9, v7, s4, v8
	s_waitcnt lgkmcnt(0)
	s_barrier
	v_lshlrev_b32_e32 v12, 3, v5
	ds_read_b64 v[22:23], v9
	ds_read_b128 v[13:16], v12 offset:9088
	ds_read_b128 v[25:28], v12 offset:9104
	s_movk_i32 s4, 0x108
	v_mov_b32_e32 v36, 0
	v_mov_b32_e32 v37, 0
	s_waitcnt lgkmcnt(1)
	v_mul_f32_e32 v9, v14, v23
	v_fma_f32 v9, v13, v22, -v9
	v_mul_f32_e32 v11, v13, v23
	v_mad_u32_u24 v13, v6, s4, v8
	ds_read2_b64 v[29:32], v13 offset1:33
	v_fmac_f32_e32 v11, v14, v22
	v_add_f32_e32 v11, 0, v11
	v_add_f32_e32 v9, 0, v9
	v_cmp_gt_u32_e64 s[4:5], 32, v24
	s_waitcnt lgkmcnt(0)
	v_mul_f32_e32 v14, v15, v30
	v_mul_f32_e32 v13, v16, v30
	v_fmac_f32_e32 v14, v16, v29
	v_fma_f32 v13, v15, v29, -v13
	v_add_f32_e32 v14, v11, v14
	v_add_u32_e32 v11, v8, v10
	v_add_f32_e32 v13, v9, v13
	ds_read_b64 v[9:10], v11
	v_mul_f32_e32 v15, v26, v32
	v_fma_f32 v15, v25, v31, -v15
	v_add_f32_e32 v13, v13, v15
	v_mul_f32_e32 v16, v25, v32
	s_waitcnt lgkmcnt(0)
	v_mul_f32_e32 v15, v28, v10
	v_fma_f32 v15, v27, v9, -v15
	v_mul_f32_e32 v10, v27, v10
	v_fmac_f32_e32 v16, v26, v31
	v_fmac_f32_e32 v10, v28, v9
	v_add_f32_e32 v9, v13, v15
	v_mul_u32_u24_e32 v13, 33, v2
	v_add_f32_e32 v14, v14, v16
	v_lshlrev_b32_e32 v25, 3, v13
	v_add_f32_e32 v10, v14, v10
	v_lshl_add_u32 v26, v7, 3, v25
	s_barrier
	ds_write_b64 v26, v[9:10]
	s_waitcnt lgkmcnt(0)
	s_barrier
	s_and_saveexec_b64 s[14:15], s[4:5]
	s_cbranch_execz .LBB118_42
; %bb.41:
	ds_read2_b64 v[13:16], v25 offset1:7
	ds_read2_b64 v[27:30], v25 offset0:1 offset1:2
	ds_read2_b64 v[36:39], v25 offset0:3 offset1:4
	s_waitcnt lgkmcnt(1)
	v_add_f32_e32 v9, v27, v13
	v_add_f32_e32 v10, v28, v14
	;; [unrolled: 1-line block ×4, first 2 shown]
	ds_read2_b64 v[27:30], v25 offset0:5 offset1:6
	s_waitcnt lgkmcnt(1)
	v_add_f32_e32 v9, v9, v36
	v_add_f32_e32 v10, v10, v37
	;; [unrolled: 1-line block ×4, first 2 shown]
	s_waitcnt lgkmcnt(0)
	v_add_f32_e32 v9, v9, v27
	v_add_f32_e32 v10, v10, v28
	;; [unrolled: 1-line block ×6, first 2 shown]
.LBB118_42:
	s_or_b64 exec, exec, s[14:15]
	s_lshl_b64 s[22:23], s[20:21], 8
	v_mov_b32_e32 v9, s23
	v_add_co_u32_e32 v3, vcc, s22, v3
	v_addc_co_u32_e32 v4, vcc, v4, v9, vcc
	v_add_co_u32_e32 v9, vcc, 0x100, v3
	v_addc_co_u32_e32 v10, vcc, 0, v4, vcc
	v_cndmask_b32_e64 v13, 0, 1, s[16:17]
	v_cmp_ne_u32_e64 s[14:15], 1, v13
	s_andn2_b64 vcc, exec, s[16:17]
	s_mov_b64 s[16:17], -1
	s_barrier
	s_cbranch_vccnz .LBB118_44
; %bb.43:
	s_lshl_b64 s[16:17], s[20:21], 6
	v_mov_b32_e32 v17, s17
	v_add_co_u32_e32 v13, vcc, s16, v3
	v_addc_co_u32_e32 v14, vcc, v4, v17, vcc
	v_add_co_u32_e32 v15, vcc, s16, v13
	v_addc_co_u32_e32 v16, vcc, v14, v17, vcc
	;; [unrolled: 2-line block ×3, first 2 shown]
	global_load_dwordx2 v[27:28], v[3:4], off offset:256
	global_load_dwordx2 v[29:30], v[13:14], off offset:256
	;; [unrolled: 1-line block ×4, first 2 shown]
	s_movk_i32 s16, 0x108
	v_mad_u32_u24 v13, v7, s16, v8
	s_mov_b64 s[16:17], 0
	s_waitcnt vmcnt(3)
	ds_write_b64 v13, v[27:28]
	s_waitcnt vmcnt(2)
	ds_write_b64 v13, v[29:30] offset:2112
	s_waitcnt vmcnt(1)
	ds_write_b64 v13, v[31:32] offset:4224
	;; [unrolled: 2-line block ×3, first 2 shown]
.LBB118_44:
	s_andn2_b64 vcc, exec, s[16:17]
	s_cbranch_vccnz .LBB118_62
; %bb.45:
	v_lshlrev_b32_e32 v13, 3, v2
	v_sub_co_u32_e32 v3, vcc, v3, v13
	s_ashr_i32 s25, s24, 31
	v_subbrev_co_u32_e32 v4, vcc, 0, v4, vcc
	s_lshl_b64 s[38:39], s[24:25], 3
	v_mov_b32_e32 v15, s39
	v_add_co_u32_e32 v3, vcc, s38, v3
	v_addc_co_u32_e32 v4, vcc, v4, v15, vcc
	v_or_b32_e32 v14, 32, v2
	v_add_co_u32_e32 v3, vcc, -8, v3
	v_addc_co_u32_e32 v4, vcc, -1, v4, vcc
	v_cmp_gt_i32_e64 s[16:17], s24, v14
	s_sub_i32 s25, s24, 32
	v_cndmask_b32_e64 v4, v4, v10, s[16:17]
	v_cndmask_b32_e64 v3, v3, v9, s[16:17]
	v_cmp_le_i32_e32 vcc, s25, v7
	v_mul_u32_u24_e32 v14, 0x108, v7
	s_and_saveexec_b64 s[40:41], vcc
	s_xor_b64 s[40:41], exec, s[40:41]
; %bb.46:
	v_mov_b32_e32 v15, 0
	v_add_u32_e32 v17, v8, v14
	v_mov_b32_e32 v16, v15
	ds_write_b64 v17, v[15:16]
; %bb.47:
	s_andn2_saveexec_b64 s[40:41], s[40:41]
	s_cbranch_execz .LBB118_49
; %bb.48:
	global_load_dwordx2 v[15:16], v[3:4], off
	v_add_u32_e32 v17, v8, v14
	s_waitcnt vmcnt(0)
	ds_write_b64 v17, v[15:16]
.LBB118_49:
	s_or_b64 exec, exec, s[40:41]
	v_add_u32_e32 v15, 8, v7
	v_cmp_le_i32_e32 vcc, s25, v15
	s_and_saveexec_b64 s[40:41], vcc
	s_xor_b64 s[40:41], exec, s[40:41]
; %bb.50:
	v_mov_b32_e32 v15, 0
	v_add_u32_e32 v17, v14, v8
	v_mov_b32_e32 v16, v15
	ds_write_b64 v17, v[15:16] offset:2112
; %bb.51:
	s_andn2_saveexec_b64 s[40:41], s[40:41]
	s_cbranch_execz .LBB118_53
; %bb.52:
	s_lshl_b64 s[44:45], s[20:21], 6
	v_mov_b32_e32 v16, s45
	v_add_co_u32_e32 v15, vcc, s44, v3
	v_addc_co_u32_e32 v16, vcc, v4, v16, vcc
	global_load_dwordx2 v[15:16], v[15:16], off
	v_add_u32_e32 v17, v14, v8
	s_waitcnt vmcnt(0)
	ds_write_b64 v17, v[15:16] offset:2112
.LBB118_53:
	s_or_b64 exec, exec, s[40:41]
	v_add_u32_e32 v15, 16, v7
	v_cmp_le_i32_e32 vcc, s25, v15
	s_and_saveexec_b64 s[40:41], vcc
	s_xor_b64 s[40:41], exec, s[40:41]
; %bb.54:
	v_mov_b32_e32 v15, 0
	v_add_u32_e32 v17, v14, v8
	v_mov_b32_e32 v16, v15
	ds_write_b64 v17, v[15:16] offset:4224
; %bb.55:
	s_andn2_saveexec_b64 s[40:41], s[40:41]
	s_cbranch_execz .LBB118_57
; %bb.56:
	s_lshl_b64 s[44:45], s[20:21], 7
	v_mov_b32_e32 v16, s45
	v_add_co_u32_e32 v15, vcc, s44, v3
	v_addc_co_u32_e32 v16, vcc, v4, v16, vcc
	global_load_dwordx2 v[15:16], v[15:16], off
	v_add_u32_e32 v17, v14, v8
	s_waitcnt vmcnt(0)
	ds_write_b64 v17, v[15:16] offset:4224
.LBB118_57:
	s_or_b64 exec, exec, s[40:41]
	v_add_u32_e32 v15, 24, v7
	v_cmp_le_i32_e32 vcc, s25, v15
	s_and_saveexec_b64 s[40:41], vcc
	s_xor_b64 s[40:41], exec, s[40:41]
; %bb.58:
	v_add_u32_e32 v16, v14, v8
	v_mov_b32_e32 v14, 0
	v_mov_b32_e32 v15, v14
	ds_write_b64 v16, v[14:15] offset:6336
                                        ; implicit-def: $vgpr14
; %bb.59:
	s_andn2_saveexec_b64 s[40:41], s[40:41]
	s_cbranch_execz .LBB118_61
; %bb.60:
	v_mov_b32_e32 v15, 0xc0
	v_mad_u64_u32 v[15:16], s[44:45], s20, v15, v[3:4]
	s_mul_i32 s25, s21, 0xc0
	v_add_u32_e32 v14, v14, v8
	v_add_u32_e32 v16, s25, v16
	global_load_dwordx2 v[15:16], v[15:16], off
	s_waitcnt vmcnt(0)
	ds_write_b64 v14, v[15:16] offset:6336
.LBB118_61:
	s_or_b64 exec, exec, s[40:41]
	v_add_co_u32_e32 v3, vcc, v3, v13
	v_addc_co_u32_e32 v4, vcc, 0, v4, vcc
	v_mov_b32_e32 v13, s39
	v_subrev_co_u32_e32 v3, vcc, s38, v3
	v_subb_co_u32_e32 v4, vcc, v4, v13, vcc
	v_add_co_u32_e32 v3, vcc, 0x108, v3
	v_addc_co_u32_e32 v4, vcc, 0, v4, vcc
	v_cndmask_b32_e64 v10, v4, v10, s[16:17]
	v_cndmask_b32_e64 v9, v3, v9, s[16:17]
.LBB118_62:
	v_mul_u32_u24_e32 v13, 0x420, v7
	v_add_u32_e32 v4, 0x2380, v12
	v_mul_u32_u24_e32 v3, 0x108, v6
	s_lshl_b64 s[16:17], s[20:21], 5
	v_add_u32_e32 v6, v8, v13
	s_waitcnt lgkmcnt(0)
	s_barrier
	s_and_saveexec_b64 s[38:39], s[18:19]
	s_cbranch_execnz .LBB118_71
; %bb.63:
	s_or_b64 exec, exec, s[38:39]
	v_add_u32_e32 v3, v8, v3
	s_and_saveexec_b64 s[18:19], s[8:9]
	s_cbranch_execnz .LBB118_72
.LBB118_64:
	s_or_b64 exec, exec, s[18:19]
	s_and_saveexec_b64 s[8:9], s[10:11]
	s_cbranch_execnz .LBB118_73
.LBB118_65:
	s_or_b64 exec, exec, s[8:9]
	s_and_saveexec_b64 s[8:9], s[12:13]
	s_cbranch_execz .LBB118_67
.LBB118_66:
	ds_read_b64 v[12:13], v11
	v_lshl_add_u32 v14, v5, 3, v25
	s_waitcnt lgkmcnt(0)
	ds_write_b64 v14, v[12:13] offset:24
.LBB118_67:
	s_or_b64 exec, exec, s[8:9]
	s_waitcnt lgkmcnt(0)
	s_barrier
	ds_read_b64 v[16:17], v6
	ds_read_b128 v[12:15], v4 offset:256
	ds_read_b128 v[27:30], v4 offset:272
	ds_read_b64 v[22:23], v11
	ds_read2_b64 v[38:41], v3 offset1:33
	v_cmp_eq_u32_e64 s[10:11], 1, v7
	s_waitcnt lgkmcnt(3)
	v_mul_f32_e32 v6, v13, v17
	v_mul_f32_e32 v3, v12, v17
	v_fma_f32 v6, v12, v16, -v6
	v_fmac_f32_e32 v3, v13, v16
	s_waitcnt lgkmcnt(0)
	v_mul_f32_e32 v11, v15, v39
	v_mul_f32_e32 v12, v14, v39
	v_add_f32_e32 v6, 0, v6
	v_add_f32_e32 v3, 0, v3
	v_fma_f32 v11, v14, v38, -v11
	v_fmac_f32_e32 v12, v15, v38
	v_add_f32_e32 v6, v6, v11
	v_add_f32_e32 v3, v3, v12
	v_mul_f32_e32 v11, v28, v41
	v_mul_f32_e32 v12, v27, v41
	v_fma_f32 v11, v27, v40, -v11
	v_fmac_f32_e32 v12, v28, v40
	v_add_f32_e32 v6, v6, v11
	v_add_f32_e32 v3, v3, v12
	v_mul_f32_e32 v11, v30, v23
	v_mul_f32_e32 v12, v29, v23
	v_fma_f32 v11, v29, v22, -v11
	v_fmac_f32_e32 v12, v30, v22
	v_add_f32_e32 v11, v6, v11
	v_add_f32_e32 v12, v3, v12
	s_barrier
	ds_write_b64 v26, v[11:12]
	s_waitcnt lgkmcnt(0)
	s_barrier
	s_and_saveexec_b64 s[8:9], s[10:11]
	s_cbranch_execz .LBB118_69
; %bb.68:
	ds_read2_b64 v[11:14], v25 offset1:7
	ds_read2_b64 v[27:30], v25 offset0:1 offset1:2
	ds_read2_b64 v[36:39], v25 offset0:3 offset1:4
	s_waitcnt lgkmcnt(1)
	v_add_f32_e32 v3, v27, v11
	v_add_f32_e32 v6, v28, v12
	;; [unrolled: 1-line block ×4, first 2 shown]
	ds_read2_b64 v[27:30], v25 offset0:5 offset1:6
	s_waitcnt lgkmcnt(1)
	v_add_f32_e32 v3, v3, v36
	v_add_f32_e32 v6, v6, v37
	v_add_f32_e32 v3, v3, v38
	v_add_f32_e32 v6, v6, v39
	s_waitcnt lgkmcnt(0)
	v_add_f32_e32 v3, v3, v27
	v_add_f32_e32 v6, v6, v28
	;; [unrolled: 1-line block ×6, first 2 shown]
.LBB118_69:
	s_or_b64 exec, exec, s[8:9]
	s_lshl_b64 s[8:9], s[16:17], 3
	v_mov_b32_e32 v3, s9
	v_subrev_co_u32_e64 v22, s[8:9], s8, v9
	s_and_b64 vcc, exec, s[14:15]
	v_subb_co_u32_e64 v23, s[8:9], v10, v3, s[8:9]
	s_barrier
	s_cbranch_vccnz .LBB118_74
; %bb.70:
	s_lshl_b64 s[8:9], s[20:21], 6
	v_mov_b32_e32 v3, s9
	v_add_co_u32_e32 v9, vcc, s8, v22
	v_addc_co_u32_e32 v10, vcc, v23, v3, vcc
	v_add_co_u32_e32 v11, vcc, s8, v9
	v_addc_co_u32_e32 v12, vcc, v10, v3, vcc
	;; [unrolled: 2-line block ×3, first 2 shown]
	global_load_dwordx2 v[15:16], v[22:23], off
	global_load_dwordx2 v[27:28], v[9:10], off
	;; [unrolled: 1-line block ×4, first 2 shown]
	s_movk_i32 s8, 0x108
	v_mov_b32_e32 v3, 0x840
	v_mov_b32_e32 v13, 0x1080
	;; [unrolled: 1-line block ×3, first 2 shown]
	v_mul_u32_u24_e32 v6, 0x108, v7
	v_add_u32_e32 v9, 8, v7
	v_add_u32_e32 v10, 16, v7
	;; [unrolled: 1-line block ×3, first 2 shown]
	v_mad_u32_u24 v17, v7, s8, v8
	v_mad_u32_u24 v11, v7, s8, v3
	;; [unrolled: 1-line block ×4, first 2 shown]
	v_add_u32_e32 v14, v8, v11
	v_add_u32_e32 v33, v8, v3
	;; [unrolled: 1-line block ×3, first 2 shown]
	s_waitcnt vmcnt(3)
	ds_write_b64 v17, v[15:16]
	s_waitcnt vmcnt(2)
	ds_write_b64 v14, v[27:28]
	;; [unrolled: 2-line block ×4, first 2 shown]
	s_cbranch_execz .LBB118_75
	s_branch .LBB118_92
.LBB118_71:
	ds_read_b64 v[12:13], v6
	v_lshl_add_u32 v14, v5, 3, v25
	s_waitcnt lgkmcnt(0)
	ds_write_b64 v14, v[12:13]
	s_or_b64 exec, exec, s[38:39]
	v_add_u32_e32 v3, v8, v3
	s_and_saveexec_b64 s[18:19], s[8:9]
	s_cbranch_execz .LBB118_64
.LBB118_72:
	ds_read_b64 v[12:13], v3
	v_lshl_add_u32 v14, v5, 3, v25
	s_waitcnt lgkmcnt(0)
	ds_write_b64 v14, v[12:13] offset:8
	s_or_b64 exec, exec, s[18:19]
	s_and_saveexec_b64 s[8:9], s[10:11]
	s_cbranch_execz .LBB118_65
.LBB118_73:
	ds_read_b64 v[12:13], v3 offset:264
	v_lshl_add_u32 v14, v5, 3, v25
	s_waitcnt lgkmcnt(0)
	ds_write_b64 v14, v[12:13] offset:16
	s_or_b64 exec, exec, s[8:9]
	s_and_saveexec_b64 s[8:9], s[12:13]
	s_cbranch_execnz .LBB118_66
	s_branch .LBB118_67
.LBB118_74:
                                        ; implicit-def: $vgpr6
                                        ; implicit-def: $vgpr9
                                        ; implicit-def: $vgpr11
                                        ; implicit-def: $vgpr10
                                        ; implicit-def: $vgpr3
                                        ; implicit-def: $vgpr12
                                        ; implicit-def: $vgpr13
.LBB118_75:
	v_lshlrev_b32_e32 v11, 3, v2
	v_or_b32_e32 v3, 32, v2
	v_sub_co_u32_e32 v2, vcc, v22, v11
	s_ashr_i32 s25, s24, 31
	v_subbrev_co_u32_e32 v6, vcc, 0, v23, vcc
	s_lshl_b64 s[12:13], s[24:25], 3
	v_mov_b32_e32 v9, s13
	v_add_co_u32_e32 v2, vcc, s12, v2
	v_addc_co_u32_e32 v6, vcc, v6, v9, vcc
	v_add_co_u32_e32 v2, vcc, 0xfffffef8, v2
	v_addc_co_u32_e32 v6, vcc, -1, v6, vcc
	v_cmp_gt_i32_e64 s[8:9], s24, v3
	v_cndmask_b32_e64 v3, v6, v23, s[8:9]
	v_cndmask_b32_e64 v2, v2, v22, s[8:9]
	v_cmp_le_i32_e32 vcc, s24, v7
	v_mul_u32_u24_e32 v6, 0x108, v7
	s_and_saveexec_b64 s[14:15], vcc
	s_xor_b64 s[14:15], exec, s[14:15]
; %bb.76:
	v_mov_b32_e32 v9, 0
	v_add_u32_e32 v12, v8, v6
	v_mov_b32_e32 v10, v9
	ds_write_b64 v12, v[9:10]
; %bb.77:
	s_andn2_saveexec_b64 s[14:15], s[14:15]
	s_cbranch_execz .LBB118_79
; %bb.78:
	global_load_dwordx2 v[9:10], v[2:3], off
	v_add_u32_e32 v12, v8, v6
	s_waitcnt vmcnt(0)
	ds_write_b64 v12, v[9:10]
.LBB118_79:
	s_or_b64 exec, exec, s[14:15]
	v_add_u32_e32 v9, 8, v7
	v_cmp_le_i32_e32 vcc, s24, v9
	s_and_saveexec_b64 s[14:15], vcc
	s_xor_b64 s[14:15], exec, s[14:15]
; %bb.80:
	v_mov_b32_e32 v12, 0
	v_add_u32_e32 v10, v6, v8
	v_mov_b32_e32 v13, v12
	ds_write_b64 v10, v[12:13] offset:2112
; %bb.81:
	s_andn2_saveexec_b64 s[14:15], s[14:15]
	s_cbranch_execz .LBB118_83
; %bb.82:
	s_lshl_b64 s[16:17], s[20:21], 6
	v_mov_b32_e32 v10, s17
	v_add_co_u32_e32 v12, vcc, s16, v2
	v_addc_co_u32_e32 v13, vcc, v3, v10, vcc
	global_load_dwordx2 v[12:13], v[12:13], off
	v_add_u32_e32 v10, v6, v8
	s_waitcnt vmcnt(0)
	ds_write_b64 v10, v[12:13] offset:2112
.LBB118_83:
	s_or_b64 exec, exec, s[14:15]
	v_add_u32_e32 v10, 16, v7
	v_cmp_le_i32_e32 vcc, s24, v10
	s_and_saveexec_b64 s[14:15], vcc
	s_xor_b64 s[14:15], exec, s[14:15]
; %bb.84:
	v_mov_b32_e32 v12, 0
	v_add_u32_e32 v14, v6, v8
	v_mov_b32_e32 v13, v12
	ds_write_b64 v14, v[12:13] offset:4224
; %bb.85:
	s_andn2_saveexec_b64 s[14:15], s[14:15]
	s_cbranch_execz .LBB118_87
; %bb.86:
	s_lshl_b64 s[16:17], s[20:21], 7
	v_mov_b32_e32 v13, s17
	v_add_co_u32_e32 v12, vcc, s16, v2
	v_addc_co_u32_e32 v13, vcc, v3, v13, vcc
	global_load_dwordx2 v[12:13], v[12:13], off
	v_add_u32_e32 v14, v6, v8
	s_waitcnt vmcnt(0)
	ds_write_b64 v14, v[12:13] offset:4224
.LBB118_87:
	s_or_b64 exec, exec, s[14:15]
	v_add_u32_e32 v12, 24, v7
	v_cmp_le_i32_e32 vcc, s24, v12
                                        ; implicit-def: $vgpr13
	s_and_saveexec_b64 s[14:15], vcc
	s_xor_b64 s[14:15], exec, s[14:15]
; %bb.88:
	v_add_u32_e32 v13, 0x18c0, v6
	v_mov_b32_e32 v14, 0
	v_add_u32_e32 v16, v8, v13
	v_mov_b32_e32 v15, v14
	ds_write_b64 v16, v[14:15]
; %bb.89:
	s_andn2_saveexec_b64 s[14:15], s[14:15]
	s_cbranch_execz .LBB118_91
; %bb.90:
	v_mov_b32_e32 v13, 0xc0
	v_mad_u64_u32 v[13:14], s[16:17], s20, v13, v[2:3]
	s_mul_i32 s16, s21, 0xc0
	v_add_u32_e32 v14, s16, v14
	global_load_dwordx2 v[14:15], v[13:14], off
	v_add_u32_e32 v13, 0x18c0, v6
	v_add_u32_e32 v16, v8, v13
	s_waitcnt vmcnt(0)
	ds_write_b64 v16, v[14:15]
.LBB118_91:
	s_or_b64 exec, exec, s[14:15]
	v_add_co_u32_e32 v2, vcc, v2, v11
	v_addc_co_u32_e32 v3, vcc, 0, v3, vcc
	v_mov_b32_e32 v11, s13
	v_subrev_co_u32_e32 v2, vcc, s12, v2
	v_subb_co_u32_e32 v3, vcc, v3, v11, vcc
	v_add_co_u32_e32 v2, vcc, 0x108, v2
	v_addc_co_u32_e32 v3, vcc, 0, v3, vcc
	v_cndmask_b32_e64 v23, v3, v23, s[8:9]
	v_cndmask_b32_e64 v22, v2, v22, s[8:9]
	v_add_u32_e32 v11, 0x840, v6
	v_add_u32_e32 v3, 0x1080, v6
.LBB118_92:
	v_add_u32_e32 v2, v8, v6
	v_lshlrev_b32_e32 v14, 3, v7
	s_waitcnt lgkmcnt(0)
	s_barrier
	ds_read_b64 v[6:7], v2
	ds_read_b64 v[14:15], v14 offset:9088
	v_add_u32_e32 v2, v8, v11
	v_lshlrev_b32_e32 v9, 3, v9
	ds_read_b64 v[27:28], v2
	ds_read_b64 v[29:30], v9 offset:9088
	v_add_u32_e32 v3, v8, v3
	v_lshlrev_b32_e32 v10, 3, v10
	ds_read_b64 v[31:32], v3
	ds_read_b64 v[38:39], v10 offset:9088
	v_add_u32_e32 v3, v8, v13
	v_lshlrev_b32_e32 v8, 3, v12
	ds_read2_b32 v[40:41], v3 offset1:1
	ds_read_b64 v[42:43], v8 offset:9088
	s_waitcnt lgkmcnt(6)
	v_mul_f32_e32 v2, v15, v7
	v_fma_f32 v2, v14, v6, -v2
	s_waitcnt lgkmcnt(4)
	v_mul_f32_e32 v9, v30, v28
	v_add_f32_e32 v2, 0, v2
	v_fma_f32 v9, v29, v27, -v9
	s_waitcnt lgkmcnt(2)
	v_mul_f32_e32 v3, v39, v32
	v_add_f32_e32 v2, v2, v9
	v_fma_f32 v3, v38, v31, -v3
	v_mul_f32_e32 v33, v14, v7
	v_add_f32_e32 v2, v2, v3
	s_waitcnt lgkmcnt(0)
	v_mul_f32_e32 v3, v43, v41
	v_fmac_f32_e32 v33, v15, v6
	v_mul_f32_e32 v28, v29, v28
	v_fma_f32 v3, v42, v40, -v3
	v_lshl_add_u32 v8, v5, 3, v25
	v_add_f32_e32 v33, 0, v33
	v_fmac_f32_e32 v28, v30, v27
	v_add_f32_e32 v44, v2, v3
	ds_read_b128 v[10:13], v4 offset:256
	ds_read_b128 v[2:5], v4 offset:272
	ds_read2_b64 v[14:17], v8 offset1:1
	ds_read2_b64 v[6:9], v8 offset0:2 offset1:3
	v_add_f32_e32 v27, v33, v28
	v_mul_f32_e32 v28, v38, v32
	v_fmac_f32_e32 v28, v39, v31
	v_add_f32_e32 v27, v27, v28
	v_mul_f32_e32 v28, v42, v41
	v_fmac_f32_e32 v28, v43, v40
	v_add_f32_e32 v45, v27, v28
	s_waitcnt lgkmcnt(0)
	s_barrier
	ds_write_b64 v26, v[44:45]
	s_waitcnt lgkmcnt(0)
	s_barrier
	s_and_saveexec_b64 s[8:9], s[10:11]
	s_cbranch_execz .LBB118_94
; %bb.93:
	ds_read2_b64 v[27:30], v25 offset1:1
	ds_read2_b64 v[38:41], v25 offset0:2 offset1:3
	ds_read2_b64 v[42:45], v25 offset0:4 offset1:5
	s_waitcnt lgkmcnt(2)
	v_add_f32_e32 v27, v36, v27
	v_add_f32_e32 v28, v37, v28
	;; [unrolled: 1-line block ×4, first 2 shown]
	s_waitcnt lgkmcnt(1)
	v_add_f32_e32 v27, v27, v38
	v_add_f32_e32 v28, v28, v39
	;; [unrolled: 1-line block ×4, first 2 shown]
	ds_read2_b64 v[27:30], v25 offset0:6 offset1:7
	s_waitcnt lgkmcnt(1)
	v_add_f32_e32 v31, v31, v42
	v_add_f32_e32 v32, v32, v43
	;; [unrolled: 1-line block ×4, first 2 shown]
	s_waitcnt lgkmcnt(0)
	v_add_f32_e32 v27, v31, v27
	v_add_f32_e32 v28, v32, v28
	v_add_f32_e32 v36, v27, v29
	v_add_f32_e32 v37, v28, v30
.LBB118_94:
	s_or_b64 exec, exec, s[8:9]
	v_mul_f32_e32 v27, v11, v15
	v_fma_f32 v27, v10, v14, -v27
	v_mul_f32_e32 v10, v10, v15
	v_fmac_f32_e32 v10, v11, v14
	v_mul_f32_e32 v14, v13, v17
	v_fma_f32 v14, v12, v16, -v14
	v_mul_f32_e32 v12, v12, v17
	v_add_f32_e32 v10, 0, v10
	v_fmac_f32_e32 v12, v13, v16
	v_add_f32_e32 v10, v10, v12
	v_mul_f32_e32 v12, v3, v7
	v_fma_f32 v12, v2, v6, -v12
	v_mul_f32_e32 v2, v2, v7
	v_fmac_f32_e32 v2, v3, v6
	v_add_f32_e32 v11, 0, v27
	v_add_f32_e32 v6, v10, v2
	v_mul_f32_e32 v2, v5, v9
	v_add_f32_e32 v11, v11, v14
	v_fma_f32 v2, v4, v8, -v2
	v_mul_f32_e32 v4, v4, v9
	v_add_f32_e32 v3, v11, v12
	v_fmac_f32_e32 v4, v5, v8
	v_add_f32_e32 v2, v3, v2
	v_add_f32_e32 v3, v6, v4
	s_barrier
	ds_write_b64 v26, v[2:3]
	s_waitcnt lgkmcnt(0)
	s_barrier
	s_and_saveexec_b64 s[8:9], s[4:5]
	s_cbranch_execz .LBB118_96
; %bb.95:
	ds_read2_b64 v[2:5], v25 offset1:1
	ds_read2_b64 v[6:9], v25 offset0:2 offset1:3
	ds_read2_b64 v[10:13], v25 offset0:4 offset1:5
	s_waitcnt lgkmcnt(2)
	v_add_f32_e32 v2, v36, v2
	v_add_f32_e32 v3, v37, v3
	;; [unrolled: 1-line block ×4, first 2 shown]
	s_waitcnt lgkmcnt(1)
	v_add_f32_e32 v2, v2, v6
	v_add_f32_e32 v3, v3, v7
	;; [unrolled: 1-line block ×4, first 2 shown]
	ds_read2_b64 v[2:5], v25 offset0:6 offset1:7
	s_waitcnt lgkmcnt(1)
	v_add_f32_e32 v6, v6, v10
	v_add_f32_e32 v7, v7, v11
	;; [unrolled: 1-line block ×4, first 2 shown]
	s_waitcnt lgkmcnt(0)
	v_add_f32_e32 v2, v6, v2
	v_add_f32_e32 v3, v7, v3
	;; [unrolled: 1-line block ×4, first 2 shown]
.LBB118_96:
	s_or_b64 exec, exec, s[8:9]
	s_mul_hi_u32 s4, s33, s7
	s_mul_i32 s43, s43, s7
	s_add_i32 s4, s4, s43
	s_mul_i32 s7, s33, s7
	s_mul_i32 s4, s4, s42
	s_mul_hi_u32 s5, s7, s42
	s_add_i32 s5, s5, s4
	s_mul_i32 s4, s7, s42
	s_lshl_b64 s[4:5], s[4:5], 3
	s_add_u32 s7, s28, s4
	s_mul_i32 s4, s33, s6
	s_addc_u32 s8, s29, s5
	s_ashr_i32 s5, s4, 31
	s_lshl_b64 s[4:5], s[4:5], 3
	s_add_u32 s7, s7, s4
	v_cmp_le_i32_e32 vcc, s24, v0
	s_addc_u32 s28, s8, s5
	s_and_b64 vcc, s[34:35], vcc
	s_cmp_lt_i32 s6, 1
	v_lshlrev_b32_e32 v74, 3, v0
	s_barrier
	s_cbranch_scc1 .LBB118_103
; %bb.97:
	s_mul_i32 s4, s36, s27
	s_mul_hi_u32 s5, s36, s26
	s_add_i32 s4, s5, s4
	s_mul_i32 s5, s37, s26
	s_add_i32 s5, s4, s5
	s_mul_i32 s4, s36, s26
	s_lshl_b64 s[4:5], s[4:5], 3
	v_mov_b32_e32 v2, s5
	v_subrev_co_u32_e64 v75, s[4:5], s4, v18
	v_lshlrev_b32_e32 v7, 2, v1
	v_subb_co_u32_e64 v76, s[4:5], v19, v2, s[4:5]
	v_mad_u64_u32 v[2:3], s[4:5], s20, v7, 0
	v_mov_b32_e32 v4, s31
	v_subrev_co_u32_e64 v8, s[4:5], s30, v22
	v_subb_co_u32_e64 v9, s[4:5], v23, v4, s[4:5]
	v_mad_u64_u32 v[3:4], s[4:5], s21, v7, v[3:4]
	v_sub_co_u32_e64 v4, s[4:5], v8, v20
	v_lshlrev_b64 v[2:3], 3, v[2:3]
	v_subb_co_u32_e64 v7, s[4:5], v9, v21, s[4:5]
	v_add_co_u32_e64 v2, s[4:5], v4, v2
	v_addc_co_u32_e64 v3, s[4:5], v7, v3, s[4:5]
	s_ashr_i32 s25, s24, 31
	s_lshl_b64 s[4:5], s[24:25], 3
	v_mov_b32_e32 v4, s5
	v_add_co_u32_e64 v7, s[4:5], s4, v2
	v_addc_co_u32_e64 v4, s[4:5], v3, v4, s[4:5]
	s_movk_i32 s4, 0xfef8
	v_add_co_u32_e64 v7, s[4:5], s4, v7
	v_addc_co_u32_e64 v4, s[4:5], -1, v4, s[4:5]
	v_add_co_u32_e64 v2, s[4:5], v2, v74
	v_addc_co_u32_e64 v3, s[4:5], 0, v3, s[4:5]
	s_movk_i32 s4, 0xff00
	v_add_co_u32_e64 v2, s[4:5], s4, v2
	v_addc_co_u32_e64 v3, s[4:5], -1, v3, s[4:5]
	v_cndmask_b32_e32 v41, v3, v4, vcc
	v_and_b32_e32 v3, 48, v0
	v_lshrrev_b32_e32 v5, 4, v24
	v_and_b32_e32 v6, 15, v0
	v_cndmask_b32_e32 v40, v2, v7, vcc
	v_mov_b32_e32 v2, 0x2180
	s_movk_i32 s8, 0x218
	v_lshlrev_b32_e32 v3, 3, v3
	v_lshl_add_u32 v78, v1, 5, v2
	v_lshlrev_b32_e32 v2, 5, v5
	v_mad_u32_u24 v82, v6, s8, v3
	v_or_b32_e32 v3, 0x78, v74
	v_mad_u32_u24 v81, v6, s8, v2
	v_mad_u32_u24 v83, v6, s8, v3
	s_mul_i32 s8, s21, 24
	s_mul_hi_u32 s9, s20, 24
	s_add_i32 s8, s9, s8
	s_mul_i32 s9, s21, 0x90
	s_mul_hi_u32 s16, s20, 0x90
	s_add_i32 s9, s16, s9
	;; [unrolled: 3-line block ×10, first 2 shown]
	s_mul_i32 s16, s21, 0x88
	s_mul_hi_u32 s17, s20, 0x88
	s_movk_i32 s4, 0x860
	v_mul_i32_i24_e32 v2, 0xffffffe8, v5
	s_lshl_b64 s[10:11], s[20:21], 3
	s_lshl_b64 s[12:13], s[20:21], 9
	;; [unrolled: 1-line block ×3, first 2 shown]
	s_add_i32 s45, s17, s16
	s_lshl_b64 s[16:17], s[20:21], 7
	v_mov_b32_e32 v39, 0
	v_add_u32_e32 v77, 0x2180, v74
	v_add_u32_e32 v79, 0x2380, v74
	v_mad_u32_u24 v80, v1, s4, v74
	v_cmp_gt_u32_e64 s[4:5], 64, v24
	s_mul_i32 s24, s20, 24
	s_mul_i32 s25, s20, 0x90
	;; [unrolled: 1-line block ×11, first 2 shown]
	s_mov_b32 s20, 0
	v_mov_b32_e32 v84, s11
	v_mov_b32_e32 v85, s15
	;; [unrolled: 1-line block ×15, first 2 shown]
	v_add_u32_e32 v99, v81, v2
	v_mov_b32_e32 v100, s13
	s_branch .LBB118_99
.LBB118_98:                             ;   in Loop: Header=BB118_99 Depth=1
	s_or_b64 exec, exec, s[18:19]
	v_mul_f32_e32 v38, v7, v43
	v_fma_f32 v38, v6, v42, -v38
	v_add_f32_e32 v36, v36, v38
	v_mul_f32_e32 v38, v9, v45
	v_mul_f32_e32 v7, v7, v42
	v_fma_f32 v38, v8, v44, -v38
	v_mul_f32_e32 v9, v9, v44
	v_add_f32_e32 v36, v36, v38
	v_mul_f32_e32 v38, v3, v47
	v_fmac_f32_e32 v7, v6, v43
	v_fma_f32 v38, v2, v46, -v38
	v_mul_f32_e32 v3, v3, v46
	v_add_f32_e32 v6, v37, v7
	v_fmac_f32_e32 v9, v8, v45
	v_add_f32_e32 v36, v36, v38
	v_mul_f32_e32 v38, v5, v49
	v_mul_f32_e32 v5, v5, v48
	v_add_f32_e32 v6, v6, v9
	v_fmac_f32_e32 v3, v2, v47
	v_fma_f32 v38, v4, v48, -v38
	v_add_f32_e32 v2, v6, v3
	v_fmac_f32_e32 v5, v4, v49
	v_mul_f32_e32 v3, v15, v55
	v_add_f32_e32 v36, v36, v38
	v_add_f32_e32 v2, v2, v5
	v_fma_f32 v3, v14, v54, -v3
	v_mul_f32_e32 v5, v17, v53
	v_add_f32_e32 v3, v36, v3
	v_fma_f32 v5, v16, v52, -v5
	v_add_f32_e32 v3, v3, v5
	v_mul_f32_e32 v5, v11, v51
	v_mul_f32_e32 v4, v15, v54
	v_fma_f32 v5, v10, v50, -v5
	v_add_f32_e32 v3, v3, v5
	v_mul_f32_e32 v5, v13, v57
	v_fmac_f32_e32 v4, v14, v55
	v_fma_f32 v5, v12, v56, -v5
	v_add_f32_e32 v2, v2, v4
	v_mul_f32_e32 v4, v23, v63
	v_add_f32_e32 v3, v3, v5
	v_fma_f32 v4, v22, v62, -v4
	v_add_f32_e32 v3, v3, v4
	v_mul_f32_e32 v4, v25, v59
	v_fma_f32 v4, v24, v58, -v4
	v_mul_f32_e32 v6, v17, v52
	v_add_f32_e32 v3, v3, v4
	v_mul_f32_e32 v4, v19, v61
	v_mul_f32_e32 v7, v11, v50
	v_fmac_f32_e32 v6, v16, v53
	v_fma_f32 v4, v18, v60, -v4
	v_mul_f32_e32 v8, v13, v56
	v_add_f32_e32 v2, v2, v6
	v_fmac_f32_e32 v7, v10, v51
	v_add_f32_e32 v3, v3, v4
	v_mul_f32_e32 v4, v21, v65
	v_add_f32_e32 v2, v2, v7
	v_fmac_f32_e32 v8, v12, v57
	v_mul_f32_e32 v5, v23, v62
	v_fma_f32 v4, v20, v64, -v4
	v_add_f32_e32 v2, v2, v8
	v_mul_f32_e32 v6, v25, v58
	v_add_f32_e32 v3, v3, v4
	v_fmac_f32_e32 v5, v22, v63
	v_mul_f32_e32 v4, v31, v71
	v_mul_f32_e32 v7, v19, v60
	v_add_f32_e32 v2, v2, v5
	v_fmac_f32_e32 v6, v24, v59
	v_fma_f32 v4, v30, v70, -v4
	v_mul_f32_e32 v8, v21, v64
	v_add_f32_e32 v2, v2, v6
	v_fmac_f32_e32 v7, v18, v61
	v_add_f32_e32 v3, v3, v4
	v_mul_f32_e32 v4, v33, v69
	v_add_f32_e32 v2, v2, v7
	v_fmac_f32_e32 v8, v20, v65
	v_mul_f32_e32 v5, v31, v70
	v_fma_f32 v4, v32, v68, -v4
	v_add_f32_e32 v2, v2, v8
	v_mul_f32_e32 v6, v33, v68
	v_add_f32_e32 v3, v3, v4
	v_mul_f32_e32 v4, v27, v67
	v_fmac_f32_e32 v5, v30, v71
	v_fma_f32 v4, v26, v66, -v4
	v_mul_f32_e32 v7, v27, v66
	v_fmac_f32_e32 v6, v32, v69
	v_add_f32_e32 v2, v2, v5
	v_add_f32_e32 v3, v3, v4
	v_mul_f32_e32 v4, v29, v73
	v_mul_f32_e32 v8, v29, v72
	v_fmac_f32_e32 v7, v26, v67
	v_add_f32_e32 v2, v2, v6
	v_fma_f32 v4, v28, v72, -v4
	v_fmac_f32_e32 v8, v28, v73
	v_add_f32_e32 v2, v2, v7
	s_add_i32 s20, s20, 64
	s_add_i32 s6, s6, -1
	v_add_co_u32_e64 v40, s[8:9], s12, v40
	v_add_f32_e32 v36, v3, v4
	v_add_f32_e32 v37, v2, v8
	s_cmp_eq_u32 s6, 0
	v_addc_co_u32_e64 v41, s[8:9], v41, v100, s[8:9]
	s_waitcnt vmcnt(0)
	s_barrier
	s_cbranch_scc1 .LBB118_103
.LBB118_99:                             ; =>This Inner Loop Header: Depth=1
	s_and_saveexec_b64 s[18:19], s[2:3]
	s_cbranch_execz .LBB118_101
; %bb.100:                              ;   in Loop: Header=BB118_99 Depth=1
	s_mul_i32 s8, s37, s20
	s_mul_hi_u32 s9, s36, s20
	s_add_i32 s9, s9, s8
	s_mul_i32 s8, s36, s20
	s_lshl_b64 s[8:9], s[8:9], 3
	v_mov_b32_e32 v3, s9
	v_add_co_u32_e64 v2, s[8:9], s8, v75
	v_addc_co_u32_e64 v3, s[8:9], v76, v3, s[8:9]
	global_load_dwordx2 v[2:3], v[2:3], off
	s_waitcnt vmcnt(0)
	ds_write_b64 v77, v[2:3]
.LBB118_101:                            ;   in Loop: Header=BB118_99 Depth=1
	s_or_b64 exec, exec, s[18:19]
	v_add_co_u32_e64 v2, s[8:9], s10, v40
	v_addc_co_u32_e64 v3, s[8:9], v41, v84, s[8:9]
	v_add_co_u32_e64 v4, s[8:9], s14, v40
	v_addc_co_u32_e64 v5, s[8:9], v41, v85, s[8:9]
	s_waitcnt lgkmcnt(0)
	s_barrier
	global_load_dwordx2 v[42:43], v[40:41], off
	global_load_dwordx2 v[44:45], v[2:3], off
	;; [unrolled: 1-line block ×3, first 2 shown]
	v_add_co_u32_e64 v2, s[8:9], s24, v40
	v_addc_co_u32_e64 v3, s[8:9], v41, v86, s[8:9]
	global_load_dwordx2 v[48:49], v[2:3], off
	v_add_co_u32_e64 v12, s[8:9], s16, v40
	v_addc_co_u32_e64 v13, s[8:9], v41, v87, s[8:9]
	ds_read_b64 v[10:11], v79
	ds_read_b128 v[6:9], v78
	ds_read_b128 v[2:5], v78 offset:16
	v_add_co_u32_e64 v14, s[8:9], s38, v40
	v_addc_co_u32_e64 v15, s[8:9], v41, v88, s[8:9]
	v_add_co_u32_e64 v16, s[8:9], s25, v40
	v_addc_co_u32_e64 v17, s[8:9], v41, v89, s[8:9]
	s_waitcnt vmcnt(3) lgkmcnt(2)
	v_mul_f32_e32 v18, v11, v43
	v_mul_f32_e32 v19, v11, v42
	s_waitcnt vmcnt(2)
	v_mul_f32_e32 v20, v11, v45
	v_mul_f32_e32 v21, v11, v44
	s_waitcnt vmcnt(1)
	;; [unrolled: 3-line block ×3, first 2 shown]
	v_mul_f32_e32 v24, v11, v49
	v_fma_f32 v18, v10, v42, -v18
	v_fmac_f32_e32 v19, v10, v43
	v_mul_f32_e32 v25, v10, v49
	v_fma_f32 v20, v10, v44, -v20
	v_fmac_f32_e32 v21, v10, v45
	v_fma_f32 v22, v10, v46, -v22
	v_fma_f32 v24, v10, v48, -v24
	v_fmac_f32_e32 v23, v10, v47
	v_add_co_u32_e64 v10, s[8:9], s26, v40
	v_fmac_f32_e32 v25, v11, v48
	ds_write2_b64 v80, v[18:19], v[20:21] offset1:67
	ds_write2_b64 v80, v[22:23], v[24:25] offset0:134 offset1:201
	s_waitcnt lgkmcnt(0)
	s_barrier
	ds_read2_b64 v[26:29], v81 offset1:1
	ds_read2_b64 v[30:33], v81 offset0:2 offset1:3
	s_waitcnt lgkmcnt(0)
	s_barrier
	global_load_dwordx2 v[54:55], v[12:13], off
	global_load_dwordx2 v[52:53], v[14:15], off
	;; [unrolled: 1-line block ×3, first 2 shown]
	v_addc_co_u32_e64 v11, s[8:9], v41, v90, s[8:9]
	global_load_dwordx2 v[56:57], v[10:11], off
	ds_read_b64 v[22:23], v79
	v_add_co_u32_e64 v18, s[8:9], s22, v40
	v_addc_co_u32_e64 v19, s[8:9], v41, v91, s[8:9]
	v_add_co_u32_e64 v20, s[8:9], s35, v40
	v_addc_co_u32_e64 v21, s[8:9], v41, v92, s[8:9]
	;; [unrolled: 2-line block ×3, first 2 shown]
	ds_read_b128 v[14:17], v78 offset:128
	ds_read_b128 v[10:13], v78 offset:144
	v_add_f32_e32 v26, 0, v26
	v_add_f32_e32 v27, 0, v27
	;; [unrolled: 1-line block ×6, first 2 shown]
	s_waitcnt vmcnt(3) lgkmcnt(2)
	v_mul_f32_e32 v38, v23, v55
	v_mul_f32_e32 v59, v23, v54
	s_waitcnt vmcnt(2)
	v_mul_f32_e32 v60, v23, v53
	v_mul_f32_e32 v61, v23, v52
	s_waitcnt vmcnt(1)
	;; [unrolled: 3-line block ×3, first 2 shown]
	v_mul_f32_e32 v64, v23, v57
	v_mul_f32_e32 v65, v22, v57
	v_fma_f32 v58, v22, v54, -v38
	v_fma_f32 v60, v22, v52, -v60
	;; [unrolled: 1-line block ×3, first 2 shown]
	v_fmac_f32_e32 v59, v22, v55
	v_fmac_f32_e32 v61, v22, v53
	;; [unrolled: 1-line block ×3, first 2 shown]
	v_fma_f32 v64, v22, v56, -v64
	v_fmac_f32_e32 v65, v23, v56
	ds_write2_b64 v80, v[58:59], v[60:61] offset1:67
	ds_write2_b64 v80, v[62:63], v[64:65] offset0:134 offset1:201
	s_waitcnt lgkmcnt(0)
	s_barrier
	ds_read2_b64 v[101:104], v81 offset1:1
	ds_read2_b64 v[105:108], v81 offset0:2 offset1:3
	s_waitcnt lgkmcnt(0)
	s_barrier
	global_load_dwordx2 v[62:63], v[18:19], off
	global_load_dwordx2 v[58:59], v[20:21], off
	;; [unrolled: 1-line block ×3, first 2 shown]
	v_add_co_u32_e64 v18, s[8:9], s29, v40
	v_addc_co_u32_e64 v19, s[8:9], v41, v94, s[8:9]
	global_load_dwordx2 v[64:65], v[18:19], off
	ds_read_b64 v[66:67], v79
	v_add_co_u32_e64 v72, s[8:9], s34, v40
	v_addc_co_u32_e64 v73, s[8:9], v41, v95, s[8:9]
	v_add_co_u32_e64 v117, s[8:9], s33, v40
	v_addc_co_u32_e64 v118, s[8:9], v41, v96, s[8:9]
	;; [unrolled: 2-line block ×3, first 2 shown]
	ds_read_b128 v[22:25], v78 offset:256
	ds_read_b128 v[18:21], v78 offset:272
	s_waitcnt vmcnt(3) lgkmcnt(2)
	v_mul_f32_e32 v38, v67, v63
	v_mul_f32_e32 v69, v67, v62
	s_waitcnt vmcnt(2)
	v_mul_f32_e32 v70, v67, v59
	v_mul_f32_e32 v71, v67, v58
	s_waitcnt vmcnt(1)
	v_mul_f32_e32 v109, v67, v61
	v_mul_f32_e32 v110, v67, v60
	v_fma_f32 v68, v66, v62, -v38
	s_waitcnt vmcnt(0)
	v_mul_f32_e32 v111, v67, v65
	v_mul_f32_e32 v112, v66, v65
	v_fma_f32 v70, v66, v58, -v70
	v_fmac_f32_e32 v69, v66, v63
	v_fmac_f32_e32 v71, v66, v59
	v_fma_f32 v109, v66, v60, -v109
	v_fma_f32 v111, v66, v64, -v111
	v_fmac_f32_e32 v110, v66, v61
	v_fmac_f32_e32 v112, v67, v64
	ds_write2_b64 v80, v[68:69], v[70:71] offset1:67
	ds_write2_b64 v80, v[109:110], v[111:112] offset0:134 offset1:201
	s_waitcnt lgkmcnt(0)
	s_barrier
	ds_read2_b64 v[109:112], v81 offset1:1
	ds_read2_b64 v[113:116], v81 offset0:2 offset1:3
	s_waitcnt lgkmcnt(0)
	s_barrier
	global_load_dwordx2 v[70:71], v[72:73], off
	global_load_dwordx2 v[68:69], v[117:118], off
	;; [unrolled: 1-line block ×3, first 2 shown]
	v_add_co_u32_e64 v72, s[8:9], s31, v40
	v_addc_co_u32_e64 v73, s[8:9], v41, v98, s[8:9]
	global_load_dwordx2 v[72:73], v[72:73], off
	v_add_f32_e32 v117, v26, v32
	v_add_f32_e32 v118, v27, v33
	;; [unrolled: 1-line block ×10, first 2 shown]
	ds_read_b64 v[101:102], v79
	ds_read_b128 v[30:33], v78 offset:384
	ds_read_b128 v[26:29], v78 offset:400
	v_add_f32_e32 v38, 0, v109
	v_add_f32_e32 v103, 0, v110
	;; [unrolled: 1-line block ×8, first 2 shown]
	s_waitcnt vmcnt(3) lgkmcnt(2)
	v_mul_f32_e32 v38, v102, v71
	v_mul_f32_e32 v104, v102, v70
	s_waitcnt vmcnt(2)
	v_mul_f32_e32 v105, v102, v69
	v_mul_f32_e32 v106, v102, v68
	s_waitcnt vmcnt(1)
	v_mul_f32_e32 v107, v102, v67
	v_mul_f32_e32 v108, v102, v66
	v_fma_f32 v103, v101, v70, -v38
	s_waitcnt vmcnt(0)
	v_mul_f32_e32 v111, v102, v73
	v_mul_f32_e32 v112, v101, v73
	v_fma_f32 v105, v101, v68, -v105
	v_fmac_f32_e32 v104, v101, v71
	v_fmac_f32_e32 v106, v101, v69
	v_fma_f32 v107, v101, v66, -v107
	v_fmac_f32_e32 v108, v101, v67
	v_fma_f32 v111, v101, v72, -v111
	v_fmac_f32_e32 v112, v102, v72
	ds_write2_b64 v80, v[103:104], v[105:106] offset1:67
	ds_write2_b64 v80, v[107:108], v[111:112] offset0:134 offset1:201
	s_waitcnt lgkmcnt(0)
	s_barrier
	ds_read2_b64 v[101:104], v81 offset1:1
	ds_read2_b64 v[105:108], v81 offset0:2 offset1:3
	s_waitcnt lgkmcnt(0)
	s_barrier
	v_add_f32_e32 v38, 0, v101
	v_add_f32_e32 v101, 0, v102
	;; [unrolled: 1-line block ×8, first 2 shown]
	ds_write2_b64 v99, v[117:118], v[119:120] offset1:16
	ds_write2_b64 v99, v[109:110], v[101:102] offset0:32 offset1:48
	s_waitcnt lgkmcnt(0)
	s_barrier
	s_and_saveexec_b64 s[18:19], s[4:5]
	s_cbranch_execz .LBB118_98
; %bb.102:                              ;   in Loop: Header=BB118_99 Depth=1
	ds_read_b64 v[109:110], v82
	ds_read2_b64 v[101:104], v82 offset0:1 offset1:2
	ds_read2_b64 v[105:108], v82 offset0:3 offset1:4
	s_waitcnt lgkmcnt(1)
	v_add_f32_e32 v38, v101, v109
	v_add_f32_e32 v101, v102, v110
	v_add_f32_e32 v38, v103, v38
	v_add_f32_e32 v109, v104, v101
	ds_read2_b64 v[101:104], v82 offset0:5 offset1:6
	s_waitcnt lgkmcnt(1)
	v_add_f32_e32 v38, v38, v105
	v_add_f32_e32 v105, v109, v106
	v_add_f32_e32 v38, v38, v107
	v_add_f32_e32 v109, v105, v108
	;; [unrolled: 6-line block ×6, first 2 shown]
	ds_read_b64 v[105:106], v83
	s_waitcnt lgkmcnt(1)
	v_add_f32_e32 v38, v38, v101
	v_add_f32_e32 v101, v107, v102
	;; [unrolled: 1-line block ×4, first 2 shown]
	s_waitcnt lgkmcnt(0)
	v_add_f32_e32 v101, v38, v105
	v_add_u32_e32 v38, s20, v0
	v_lshlrev_b64 v[103:104], 3, v[38:39]
	v_mov_b32_e32 v38, s28
	v_add_co_u32_e64 v103, s[8:9], s7, v103
	v_add_f32_e32 v102, v102, v106
	v_addc_co_u32_e64 v104, s[8:9], v38, v104, s[8:9]
	global_store_dwordx2 v[103:104], v[101:102], off
	s_branch .LBB118_98
.LBB118_103:
	s_movk_i32 s2, 0x218
	v_mad_u32_u24 v0, v1, s2, v74
	s_nor_b64 s[0:1], s[0:1], vcc
	ds_write_b64 v0, v[36:37]
	s_waitcnt lgkmcnt(0)
	s_barrier
	s_and_saveexec_b64 s[2:3], s[0:1]
	s_cbranch_execz .LBB118_105
; %bb.104:
	ds_read2_b64 v[0:3], v74 offset1:67
	ds_read2_b64 v[4:7], v74 offset0:134 offset1:201
	s_waitcnt lgkmcnt(1)
	v_add_f32_e32 v0, v2, v0
	v_add_f32_e32 v1, v3, v1
	v_lshlrev_b64 v[2:3], 3, v[34:35]
	s_waitcnt lgkmcnt(0)
	v_add_f32_e32 v0, v4, v0
	v_add_f32_e32 v1, v5, v1
	v_mov_b32_e32 v4, s28
	v_add_co_u32_e32 v2, vcc, s7, v2
	v_add_f32_e32 v0, v0, v6
	v_add_f32_e32 v1, v1, v7
	v_addc_co_u32_e32 v3, vcc, v4, v3, vcc
	global_store_dwordx2 v[2:3], v[0:1], off
.LBB118_105:
	s_endpgm
	.section	.rodata,"a",@progbits
	.p2align	6, 0x0
	.amdhsa_kernel _ZL26rocblas_hemvn_kernel_lowerILb0ELi64ELi4ELi33ELi32ELi16ElPK19rocblas_complex_numIfES3_PS1_EviT6_lT7_lT5_lS6_lS7_lS5_lT8_i
		.amdhsa_group_segment_fixed_size 9600
		.amdhsa_private_segment_fixed_size 0
		.amdhsa_kernarg_size 376
		.amdhsa_user_sgpr_count 6
		.amdhsa_user_sgpr_private_segment_buffer 1
		.amdhsa_user_sgpr_dispatch_ptr 0
		.amdhsa_user_sgpr_queue_ptr 0
		.amdhsa_user_sgpr_kernarg_segment_ptr 1
		.amdhsa_user_sgpr_dispatch_id 0
		.amdhsa_user_sgpr_flat_scratch_init 0
		.amdhsa_user_sgpr_private_segment_size 0
		.amdhsa_uses_dynamic_stack 0
		.amdhsa_system_sgpr_private_segment_wavefront_offset 0
		.amdhsa_system_sgpr_workgroup_id_x 1
		.amdhsa_system_sgpr_workgroup_id_y 0
		.amdhsa_system_sgpr_workgroup_id_z 1
		.amdhsa_system_sgpr_workgroup_info 0
		.amdhsa_system_vgpr_workitem_id 1
		.amdhsa_next_free_vgpr 121
		.amdhsa_next_free_sgpr 93
		.amdhsa_reserve_vcc 1
		.amdhsa_reserve_flat_scratch 0
		.amdhsa_float_round_mode_32 0
		.amdhsa_float_round_mode_16_64 0
		.amdhsa_float_denorm_mode_32 3
		.amdhsa_float_denorm_mode_16_64 3
		.amdhsa_dx10_clamp 1
		.amdhsa_ieee_mode 1
		.amdhsa_fp16_overflow 0
		.amdhsa_exception_fp_ieee_invalid_op 0
		.amdhsa_exception_fp_denorm_src 0
		.amdhsa_exception_fp_ieee_div_zero 0
		.amdhsa_exception_fp_ieee_overflow 0
		.amdhsa_exception_fp_ieee_underflow 0
		.amdhsa_exception_fp_ieee_inexact 0
		.amdhsa_exception_int_div_zero 0
	.end_amdhsa_kernel
	.section	.text._ZL26rocblas_hemvn_kernel_lowerILb0ELi64ELi4ELi33ELi32ELi16ElPK19rocblas_complex_numIfES3_PS1_EviT6_lT7_lT5_lS6_lS7_lS5_lT8_i,"axG",@progbits,_ZL26rocblas_hemvn_kernel_lowerILb0ELi64ELi4ELi33ELi32ELi16ElPK19rocblas_complex_numIfES3_PS1_EviT6_lT7_lT5_lS6_lS7_lS5_lT8_i,comdat
.Lfunc_end118:
	.size	_ZL26rocblas_hemvn_kernel_lowerILb0ELi64ELi4ELi33ELi32ELi16ElPK19rocblas_complex_numIfES3_PS1_EviT6_lT7_lT5_lS6_lS7_lS5_lT8_i, .Lfunc_end118-_ZL26rocblas_hemvn_kernel_lowerILb0ELi64ELi4ELi33ELi32ELi16ElPK19rocblas_complex_numIfES3_PS1_EviT6_lT7_lT5_lS6_lS7_lS5_lT8_i
                                        ; -- End function
	.set _ZL26rocblas_hemvn_kernel_lowerILb0ELi64ELi4ELi33ELi32ELi16ElPK19rocblas_complex_numIfES3_PS1_EviT6_lT7_lT5_lS6_lS7_lS5_lT8_i.num_vgpr, 121
	.set _ZL26rocblas_hemvn_kernel_lowerILb0ELi64ELi4ELi33ELi32ELi16ElPK19rocblas_complex_numIfES3_PS1_EviT6_lT7_lT5_lS6_lS7_lS5_lT8_i.num_agpr, 0
	.set _ZL26rocblas_hemvn_kernel_lowerILb0ELi64ELi4ELi33ELi32ELi16ElPK19rocblas_complex_numIfES3_PS1_EviT6_lT7_lT5_lS6_lS7_lS5_lT8_i.numbered_sgpr, 46
	.set _ZL26rocblas_hemvn_kernel_lowerILb0ELi64ELi4ELi33ELi32ELi16ElPK19rocblas_complex_numIfES3_PS1_EviT6_lT7_lT5_lS6_lS7_lS5_lT8_i.num_named_barrier, 0
	.set _ZL26rocblas_hemvn_kernel_lowerILb0ELi64ELi4ELi33ELi32ELi16ElPK19rocblas_complex_numIfES3_PS1_EviT6_lT7_lT5_lS6_lS7_lS5_lT8_i.private_seg_size, 0
	.set _ZL26rocblas_hemvn_kernel_lowerILb0ELi64ELi4ELi33ELi32ELi16ElPK19rocblas_complex_numIfES3_PS1_EviT6_lT7_lT5_lS6_lS7_lS5_lT8_i.uses_vcc, 1
	.set _ZL26rocblas_hemvn_kernel_lowerILb0ELi64ELi4ELi33ELi32ELi16ElPK19rocblas_complex_numIfES3_PS1_EviT6_lT7_lT5_lS6_lS7_lS5_lT8_i.uses_flat_scratch, 0
	.set _ZL26rocblas_hemvn_kernel_lowerILb0ELi64ELi4ELi33ELi32ELi16ElPK19rocblas_complex_numIfES3_PS1_EviT6_lT7_lT5_lS6_lS7_lS5_lT8_i.has_dyn_sized_stack, 0
	.set _ZL26rocblas_hemvn_kernel_lowerILb0ELi64ELi4ELi33ELi32ELi16ElPK19rocblas_complex_numIfES3_PS1_EviT6_lT7_lT5_lS6_lS7_lS5_lT8_i.has_recursion, 0
	.set _ZL26rocblas_hemvn_kernel_lowerILb0ELi64ELi4ELi33ELi32ELi16ElPK19rocblas_complex_numIfES3_PS1_EviT6_lT7_lT5_lS6_lS7_lS5_lT8_i.has_indirect_call, 0
	.section	.AMDGPU.csdata,"",@progbits
; Kernel info:
; codeLenInByte = 7620
; TotalNumSgprs: 50
; NumVgprs: 121
; ScratchSize: 0
; MemoryBound: 1
; FloatMode: 240
; IeeeMode: 1
; LDSByteSize: 9600 bytes/workgroup (compile time only)
; SGPRBlocks: 12
; VGPRBlocks: 30
; NumSGPRsForWavesPerEU: 97
; NumVGPRsForWavesPerEU: 121
; Occupancy: 2
; WaveLimiterHint : 0
; COMPUTE_PGM_RSRC2:SCRATCH_EN: 0
; COMPUTE_PGM_RSRC2:USER_SGPR: 6
; COMPUTE_PGM_RSRC2:TRAP_HANDLER: 0
; COMPUTE_PGM_RSRC2:TGID_X_EN: 1
; COMPUTE_PGM_RSRC2:TGID_Y_EN: 0
; COMPUTE_PGM_RSRC2:TGID_Z_EN: 1
; COMPUTE_PGM_RSRC2:TIDIG_COMP_CNT: 1
	.section	.text._ZL26rocblas_hemvn_kernel_lowerILb0ELi64ELi4ELi33ELi32ELi16EiPK19rocblas_complex_numIfES3_PS1_EviT6_lT7_lT5_lS6_lS7_lS5_lT8_i,"axG",@progbits,_ZL26rocblas_hemvn_kernel_lowerILb0ELi64ELi4ELi33ELi32ELi16EiPK19rocblas_complex_numIfES3_PS1_EviT6_lT7_lT5_lS6_lS7_lS5_lT8_i,comdat
	.globl	_ZL26rocblas_hemvn_kernel_lowerILb0ELi64ELi4ELi33ELi32ELi16EiPK19rocblas_complex_numIfES3_PS1_EviT6_lT7_lT5_lS6_lS7_lS5_lT8_i ; -- Begin function _ZL26rocblas_hemvn_kernel_lowerILb0ELi64ELi4ELi33ELi32ELi16EiPK19rocblas_complex_numIfES3_PS1_EviT6_lT7_lT5_lS6_lS7_lS5_lT8_i
	.p2align	8
	.type	_ZL26rocblas_hemvn_kernel_lowerILb0ELi64ELi4ELi33ELi32ELi16EiPK19rocblas_complex_numIfES3_PS1_EviT6_lT7_lT5_lS6_lS7_lS5_lT8_i,@function
_ZL26rocblas_hemvn_kernel_lowerILb0ELi64ELi4ELi33ELi32ELi16EiPK19rocblas_complex_numIfES3_PS1_EviT6_lT7_lT5_lS6_lS7_lS5_lT8_i: ; @_ZL26rocblas_hemvn_kernel_lowerILb0ELi64ELi4ELi33ELi32ELi16EiPK19rocblas_complex_numIfES3_PS1_EviT6_lT7_lT5_lS6_lS7_lS5_lT8_i
; %bb.0:
	s_load_dwordx2 s[2:3], s[4:5], 0x84
	s_add_u32 s0, s4, 0x78
	s_addc_u32 s1, s5, 0
	s_waitcnt lgkmcnt(0)
	s_lshr_b32 s8, s2, 16
	s_and_b32 s2, s2, 0xffff
	s_and_b32 s3, s3, 0xffff
	s_mul_i32 s2, s8, s2
	s_mul_i32 s2, s2, s3
	s_cmpk_lg_i32 s2, 0x100
	s_cbranch_scc1 .LBB119_105
; %bb.1:
	s_load_dwordx8 s[8:15], s[4:5], 0x8
	v_mov_b32_e32 v2, v1
	s_waitcnt lgkmcnt(0)
	s_mul_i32 s3, s11, s7
	s_mul_hi_u32 s11, s10, s7
	s_mul_i32 s2, s10, s7
	s_add_i32 s3, s11, s3
	s_lshl_b64 s[2:3], s[2:3], 3
	s_add_u32 s2, s8, s2
	s_addc_u32 s3, s9, s3
	s_load_dwordx2 s[8:9], s[2:3], 0x0
	s_load_dwordx8 s[16:23], s[4:5], 0x50
	s_waitcnt lgkmcnt(0)
	s_or_b32 s2, s8, s9
	s_bitset0_b32 s2, 31
	s_cmp_lg_u32 s2, 0
	s_cselect_b64 s[2:3], -1, 0
	s_mov_b64 s[8:9], -1
	s_and_b64 vcc, exec, s[2:3]
	s_cbranch_vccnz .LBB119_3
; %bb.2:
	s_mul_i32 s8, s21, s7
	s_mul_hi_u32 s9, s20, s7
	s_add_i32 s9, s9, s8
	s_mul_i32 s8, s20, s7
	s_lshl_b64 s[8:9], s[8:9], 3
	s_add_u32 s8, s18, s8
	s_addc_u32 s9, s19, s9
	s_load_dwordx2 s[10:11], s[8:9], 0x0
	s_waitcnt lgkmcnt(0)
	v_cmp_neq_f32_e64 s[8:9], s10, 1.0
	v_cmp_neq_f32_e64 s[10:11], s11, 0
	s_or_b64 s[8:9], s[8:9], s[10:11]
.LBB119_3:
	s_andn2_b64 vcc, exec, s[8:9]
	s_cbranch_vccnz .LBB119_105
; %bb.4:
	s_andn2_b64 vcc, exec, s[2:3]
	s_cbranch_vccnz .LBB119_105
; %bb.5:
	s_load_dword s41, s[0:1], 0x0
	s_load_dword s40, s[4:5], 0x0
	s_load_dwordx4 s[8:11], s[4:5], 0x30
	s_load_dwordx2 s[2:3], s[4:5], 0x40
	s_load_dword s33, s[4:5], 0x48
	s_mul_i32 s0, s17, s7
	s_mul_hi_u32 s1, s16, s7
	s_add_i32 s1, s1, s0
	s_mul_i32 s0, s16, s7
	s_lshl_b64 s[0:1], s[0:1], 3
	s_waitcnt lgkmcnt(0)
	s_add_u32 s10, s10, s0
	s_addc_u32 s11, s11, s1
	s_lshl_b64 s[0:1], s[2:3], 3
	s_add_u32 s0, s10, s0
	s_addc_u32 s1, s11, s1
	s_lshl_b32 s26, s6, 6
	v_add_u32_e32 v35, s26, v0
	v_mul_lo_u32 v3, s33, v35
	s_ashr_i32 s42, s40, 31
	s_lshr_b32 s3, s42, 26
	s_add_i32 s3, s40, s3
	v_ashrrev_i32_e32 v4, 31, v3
	s_andn2_b32 s3, s3, 63
	v_lshlrev_b64 v[3:4], 3, v[3:4]
	s_add_i32 s2, s41, -1
	s_sub_i32 s3, s40, s3
	s_cmp_eq_u32 s6, s2
	v_mov_b32_e32 v1, s1
	v_add_co_u32_e32 v19, vcc, s0, v3
	s_cselect_b32 s24, s3, 0
	v_addc_co_u32_e32 v20, vcc, v1, v4, vcc
	v_cmp_ne_u32_e64 s[0:1], 0, v2
	v_cmp_eq_u32_e64 s[2:3], 0, v2
	s_and_saveexec_b64 s[10:11], s[2:3]
	s_cbranch_execz .LBB119_10
; %bb.6:
	s_cmp_lg_u32 s24, 0
	s_cselect_b64 s[16:17], -1, 0
	v_cmp_le_i32_e32 vcc, s24, v0
	v_mov_b32_e32 v1, 0x2380
	s_and_b64 s[16:17], s[16:17], vcc
	v_lshl_add_u32 v1, v0, 3, v1
	s_and_saveexec_b64 s[18:19], s[16:17]
	s_xor_b64 s[16:17], exec, s[18:19]
; %bb.7:
	v_mov_b32_e32 v3, 0
	v_mov_b32_e32 v4, v3
	ds_write_b64 v1, v[3:4]
                                        ; implicit-def: $vgpr1
; %bb.8:
	s_andn2_saveexec_b64 s[16:17], s[16:17]
	s_cbranch_execz .LBB119_10
; %bb.9:
	global_load_dwordx2 v[3:4], v[19:20], off
	s_waitcnt vmcnt(0)
	ds_write_b64 v1, v[3:4]
.LBB119_10:
	s_or_b64 exec, exec, s[10:11]
	s_load_dword s20, s[4:5], 0x28
	v_lshl_add_u32 v25, v2, 6, v0
	s_mul_i32 s9, s9, s7
	s_mul_hi_u32 s10, s8, s7
	v_and_b32_e32 v1, 31, v0
	v_lshrrev_b32_e32 v7, 5, v25
	s_add_i32 s9, s10, s9
	s_mul_i32 s8, s8, s7
	s_lshl_b64 s[8:9], s[8:9], 3
	s_waitcnt lgkmcnt(0)
	v_mad_u64_u32 v[3:4], s[4:5], s20, v7, v[1:2]
	s_add_u32 s10, s12, s8
	s_addc_u32 s11, s13, s9
	s_lshl_b64 s[8:9], s[14:15], 3
	s_add_u32 s8, s10, s8
	s_addc_u32 s9, s11, s9
	s_ashr_i32 s27, s26, 31
	v_ashrrev_i32_e32 v4, 31, v3
	s_lshl_b64 s[4:5], s[26:27], 3
	v_lshlrev_b64 v[21:22], 3, v[3:4]
	s_add_u32 s4, s8, s4
	s_addc_u32 s5, s9, s5
	v_add_co_u32_e32 v4, vcc, s4, v21
	s_mul_i32 s4, s20, s26
	v_mov_b32_e32 v3, s5
	s_ashr_i32 s5, s4, 31
	v_addc_co_u32_e32 v5, vcc, v3, v22, vcc
	s_lshl_b64 s[28:29], s[4:5], 3
	v_mov_b32_e32 v6, s29
	v_add_co_u32_e32 v3, vcc, s28, v4
	s_cmp_lg_u32 s24, 0
	v_addc_co_u32_e32 v4, vcc, v5, v6, vcc
	s_cselect_b64 s[30:31], -1, 0
	s_cmp_eq_u32 s24, 0
	s_cselect_b64 s[16:17], -1, 0
	s_mov_b64 s[4:5], -1
	s_and_b64 vcc, exec, s[30:31]
	s_cbranch_vccnz .LBB119_12
; %bb.11:
	s_lshl_b32 s4, s20, 3
	s_ashr_i32 s5, s4, 31
	s_lshl_b64 s[4:5], s[4:5], 3
	v_mov_b32_e32 v6, s5
	v_add_co_u32_e32 v5, vcc, s4, v3
	s_ashr_i32 s21, s20, 31
	v_addc_co_u32_e32 v6, vcc, v4, v6, vcc
	s_lshl_b64 s[4:5], s[20:21], 6
	v_mov_b32_e32 v11, s5
	v_add_co_u32_e32 v8, vcc, s4, v5
	v_addc_co_u32_e32 v9, vcc, v6, v11, vcc
	v_add_co_u32_e32 v10, vcc, s4, v8
	v_addc_co_u32_e32 v11, vcc, v9, v11, vcc
	global_load_dwordx2 v[12:13], v[3:4], off
	global_load_dwordx2 v[14:15], v[5:6], off
	global_load_dwordx2 v[16:17], v[8:9], off
	global_load_dwordx2 v[23:24], v[10:11], off
	v_mul_u32_u24_e32 v5, 0x108, v7
	v_lshl_add_u32 v5, v1, 3, v5
	s_mov_b64 s[4:5], 0
	s_waitcnt vmcnt(3)
	ds_write_b64 v5, v[12:13]
	s_waitcnt vmcnt(2)
	ds_write_b64 v5, v[14:15] offset:2112
	s_waitcnt vmcnt(1)
	ds_write_b64 v5, v[16:17] offset:4224
	;; [unrolled: 2-line block ×3, first 2 shown]
.LBB119_12:
	s_andn2_b64 vcc, exec, s[4:5]
	v_lshlrev_b32_e32 v8, 3, v1
	s_cbranch_vccnz .LBB119_30
; %bb.13:
	v_sub_co_u32_e32 v5, vcc, v3, v8
	s_ashr_i32 s25, s24, 31
	v_subbrev_co_u32_e32 v6, vcc, 0, v4, vcc
	s_lshl_b64 s[8:9], s[24:25], 3
	v_mov_b32_e32 v9, s9
	v_add_co_u32_e32 v5, vcc, s8, v5
	v_addc_co_u32_e32 v6, vcc, v6, v9, vcc
	v_add_co_u32_e32 v5, vcc, -8, v5
	v_addc_co_u32_e32 v6, vcc, -1, v6, vcc
	v_cmp_gt_i32_e32 vcc, s24, v1
	v_cndmask_b32_e32 v6, v6, v4, vcc
	v_cndmask_b32_e32 v5, v5, v3, vcc
	v_cmp_le_i32_e64 s[4:5], s24, v7
	v_mul_u32_u24_e32 v9, 0x108, v7
	s_and_saveexec_b64 s[10:11], s[4:5]
	s_xor_b64 s[4:5], exec, s[10:11]
; %bb.14:
	v_mov_b32_e32 v10, 0
	v_add_u32_e32 v12, v8, v9
	v_mov_b32_e32 v11, v10
	ds_write_b64 v12, v[10:11]
; %bb.15:
	s_andn2_saveexec_b64 s[4:5], s[4:5]
	s_cbranch_execz .LBB119_17
; %bb.16:
	global_load_dwordx2 v[10:11], v[5:6], off
	v_add_u32_e32 v12, v8, v9
	s_waitcnt vmcnt(0)
	ds_write_b64 v12, v[10:11]
.LBB119_17:
	s_or_b64 exec, exec, s[4:5]
	v_add_u32_e32 v10, 8, v7
	v_cmp_le_i32_e64 s[4:5], s24, v10
	s_and_saveexec_b64 s[10:11], s[4:5]
	s_xor_b64 s[4:5], exec, s[10:11]
; %bb.18:
	v_mov_b32_e32 v10, 0
	v_add_u32_e32 v12, v9, v8
	v_mov_b32_e32 v11, v10
	ds_write_b64 v12, v[10:11] offset:2112
; %bb.19:
	s_andn2_saveexec_b64 s[10:11], s[4:5]
	s_cbranch_execz .LBB119_21
; %bb.20:
	s_lshl_b32 s4, s20, 3
	s_ashr_i32 s5, s4, 31
	s_lshl_b64 s[4:5], s[4:5], 3
	v_mov_b32_e32 v11, s5
	v_add_co_u32_e64 v10, s[4:5], s4, v5
	v_addc_co_u32_e64 v11, s[4:5], v6, v11, s[4:5]
	global_load_dwordx2 v[10:11], v[10:11], off
	v_add_u32_e32 v12, v9, v8
	s_waitcnt vmcnt(0)
	ds_write_b64 v12, v[10:11] offset:2112
.LBB119_21:
	s_or_b64 exec, exec, s[10:11]
	v_add_u32_e32 v10, 16, v7
	v_cmp_le_i32_e64 s[4:5], s24, v10
	s_and_saveexec_b64 s[10:11], s[4:5]
	s_xor_b64 s[4:5], exec, s[10:11]
; %bb.22:
	v_mov_b32_e32 v10, 0
	v_add_u32_e32 v12, v9, v8
	v_mov_b32_e32 v11, v10
	ds_write_b64 v12, v[10:11] offset:4224
; %bb.23:
	s_andn2_saveexec_b64 s[10:11], s[4:5]
	s_cbranch_execz .LBB119_25
; %bb.24:
	s_lshl_b32 s4, s20, 4
	s_ashr_i32 s5, s4, 31
	s_lshl_b64 s[4:5], s[4:5], 3
	v_mov_b32_e32 v11, s5
	v_add_co_u32_e64 v10, s[4:5], s4, v5
	v_addc_co_u32_e64 v11, s[4:5], v6, v11, s[4:5]
	global_load_dwordx2 v[10:11], v[10:11], off
	v_add_u32_e32 v12, v9, v8
	s_waitcnt vmcnt(0)
	ds_write_b64 v12, v[10:11] offset:4224
.LBB119_25:
	s_or_b64 exec, exec, s[10:11]
	v_add_u32_e32 v10, 24, v7
	v_cmp_le_i32_e64 s[4:5], s24, v10
	s_and_saveexec_b64 s[10:11], s[4:5]
	s_xor_b64 s[4:5], exec, s[10:11]
; %bb.26:
	v_add_u32_e32 v11, v9, v8
	v_mov_b32_e32 v9, 0
	v_mov_b32_e32 v10, v9
	ds_write_b64 v11, v[9:10] offset:6336
                                        ; implicit-def: $vgpr9
; %bb.27:
	s_andn2_saveexec_b64 s[10:11], s[4:5]
	s_cbranch_execz .LBB119_29
; %bb.28:
	s_mul_i32 s4, s20, 24
	s_ashr_i32 s5, s4, 31
	s_lshl_b64 s[4:5], s[4:5], 3
	v_mov_b32_e32 v11, s5
	v_add_co_u32_e64 v10, s[4:5], s4, v5
	v_addc_co_u32_e64 v11, s[4:5], v6, v11, s[4:5]
	global_load_dwordx2 v[10:11], v[10:11], off
	v_add_u32_e32 v9, v9, v8
	s_waitcnt vmcnt(0)
	ds_write_b64 v9, v[10:11] offset:6336
.LBB119_29:
	s_or_b64 exec, exec, s[10:11]
	v_add_co_u32_e64 v5, s[4:5], v5, v8
	v_addc_co_u32_e64 v6, s[4:5], 0, v6, s[4:5]
	v_mov_b32_e32 v9, s9
	v_subrev_co_u32_e64 v5, s[4:5], s8, v5
	v_subb_co_u32_e64 v6, s[4:5], v6, v9, s[4:5]
	v_add_co_u32_e64 v5, s[4:5], 8, v5
	v_addc_co_u32_e64 v6, s[4:5], 0, v6, s[4:5]
	v_cndmask_b32_e32 v4, v6, v4, vcc
	v_cndmask_b32_e32 v3, v5, v3, vcc
.LBB119_30:
	v_lshlrev_b32_e32 v5, 2, v7
	v_lshl_or_b32 v6, v1, 8, v8
	v_cmp_lt_u32_e64 s[18:19], v5, v1
	s_waitcnt lgkmcnt(0)
	s_barrier
	s_and_saveexec_b64 s[4:5], s[18:19]
	s_cbranch_execz .LBB119_32
; %bb.31:
	s_movk_i32 s8, 0x420
	v_mad_u32_u24 v9, v7, s8, v8
	ds_read_b64 v[9:10], v9
	v_lshl_add_u32 v11, v5, 3, v6
	s_waitcnt lgkmcnt(0)
	ds_write_b64 v11, v[9:10]
.LBB119_32:
	s_or_b64 exec, exec, s[4:5]
	v_or_b32_e32 v9, 1, v5
	v_cmp_lt_u32_e64 s[8:9], v9, v1
	s_and_saveexec_b64 s[4:5], s[8:9]
	s_cbranch_execz .LBB119_34
; %bb.33:
	s_movk_i32 s10, 0x108
	v_mad_u32_u24 v10, v9, s10, v8
	ds_read_b64 v[10:11], v10
	v_lshl_add_u32 v12, v5, 3, v6
	s_waitcnt lgkmcnt(0)
	ds_write_b64 v12, v[10:11] offset:8
.LBB119_34:
	s_or_b64 exec, exec, s[4:5]
	v_or_b32_e32 v10, 2, v5
	v_cmp_lt_u32_e64 s[10:11], v10, v1
	s_and_saveexec_b64 s[4:5], s[10:11]
	s_cbranch_execz .LBB119_36
; %bb.35:
	s_movk_i32 s12, 0x108
	v_mad_u32_u24 v10, v10, s12, v8
	ds_read_b64 v[10:11], v10
	v_lshl_add_u32 v12, v5, 3, v6
	s_waitcnt lgkmcnt(0)
	ds_write_b64 v12, v[10:11] offset:16
.LBB119_36:
	s_or_b64 exec, exec, s[4:5]
	v_or_b32_e32 v11, 3, v5
	v_cmp_lt_u32_e64 s[12:13], v11, v1
	v_cmp_ge_u32_e32 vcc, v11, v1
                                        ; implicit-def: $vgpr10
	s_and_saveexec_b64 s[4:5], vcc
	s_xor_b64 s[4:5], exec, s[4:5]
; %bb.37:
	v_mul_u32_u24_e32 v10, 0x108, v11
                                        ; implicit-def: $vgpr6
                                        ; implicit-def: $vgpr11
; %bb.38:
	s_andn2_saveexec_b64 s[4:5], s[4:5]
	s_cbranch_execz .LBB119_40
; %bb.39:
	s_movk_i32 s14, 0x108
	v_mad_u32_u24 v10, v11, s14, v8
	ds_read_b64 v[12:13], v10
	v_lshl_add_u32 v6, v5, 3, v6
	v_mul_u32_u24_e32 v10, 0x108, v11
	s_waitcnt lgkmcnt(0)
	ds_write_b64 v6, v[12:13] offset:24
.LBB119_40:
	s_or_b64 exec, exec, s[4:5]
	s_movk_i32 s4, 0x420
	v_mad_u32_u24 v11, v7, s4, v8
	s_waitcnt lgkmcnt(0)
	s_barrier
	v_lshlrev_b32_e32 v6, 3, v5
	ds_read_b64 v[23:24], v11
	ds_read_b128 v[11:14], v6 offset:9088
	ds_read_b128 v[15:18], v6 offset:9104
	s_movk_i32 s4, 0x108
	v_mov_b32_e32 v36, 0
	v_mov_b32_e32 v37, 0
	s_waitcnt lgkmcnt(1)
	v_mul_f32_e32 v26, v12, v24
	v_fma_f32 v30, v11, v23, -v26
	v_mul_f32_e32 v11, v11, v24
	v_mad_u32_u24 v24, v9, s4, v8
	ds_read2_b64 v[26:29], v24 offset1:33
	v_fmac_f32_e32 v11, v12, v23
	v_add_f32_e32 v12, 0, v30
	v_add_f32_e32 v11, 0, v11
	v_cmp_gt_u32_e64 s[4:5], 32, v25
	s_waitcnt lgkmcnt(0)
	v_mul_f32_e32 v23, v14, v27
	v_fma_f32 v23, v13, v26, -v23
	v_mul_f32_e32 v13, v13, v27
	v_fmac_f32_e32 v13, v14, v26
	v_add_f32_e32 v14, v12, v23
	v_add_u32_e32 v12, v8, v10
	v_add_f32_e32 v13, v11, v13
	ds_read_b64 v[10:11], v12
	v_mul_f32_e32 v23, v16, v29
	v_fma_f32 v23, v15, v28, -v23
	v_mul_f32_e32 v15, v15, v29
	v_fmac_f32_e32 v15, v16, v28
	v_add_f32_e32 v13, v13, v15
	s_waitcnt lgkmcnt(0)
	v_mul_f32_e32 v15, v18, v11
	v_mul_f32_e32 v11, v17, v11
	v_fmac_f32_e32 v11, v18, v10
	v_add_f32_e32 v11, v13, v11
	v_mul_u32_u24_e32 v13, 33, v1
	v_add_f32_e32 v14, v14, v23
	v_fma_f32 v15, v17, v10, -v15
	v_lshlrev_b32_e32 v26, 3, v13
	v_add_f32_e32 v10, v14, v15
	v_lshl_add_u32 v27, v7, 3, v26
	s_barrier
	ds_write_b64 v27, v[10:11]
	s_waitcnt lgkmcnt(0)
	s_barrier
	s_and_saveexec_b64 s[14:15], s[4:5]
	s_cbranch_execz .LBB119_42
; %bb.41:
	ds_read2_b64 v[13:16], v26 offset1:7
	ds_read2_b64 v[28:31], v26 offset0:1 offset1:2
	ds_read2_b64 v[36:39], v26 offset0:3 offset1:4
	s_waitcnt lgkmcnt(1)
	v_add_f32_e32 v10, v28, v13
	v_add_f32_e32 v11, v29, v14
	v_add_f32_e32 v10, v30, v10
	v_add_f32_e32 v11, v31, v11
	ds_read2_b64 v[28:31], v26 offset0:5 offset1:6
	s_waitcnt lgkmcnt(1)
	v_add_f32_e32 v10, v10, v36
	v_add_f32_e32 v11, v11, v37
	;; [unrolled: 1-line block ×4, first 2 shown]
	s_waitcnt lgkmcnt(0)
	v_add_f32_e32 v10, v10, v28
	v_add_f32_e32 v11, v11, v29
	v_add_f32_e32 v10, v10, v30
	v_add_f32_e32 v11, v11, v31
	v_add_f32_e32 v36, v10, v15
	v_add_f32_e32 v37, v11, v16
.LBB119_42:
	s_or_b64 exec, exec, s[14:15]
	s_lshl_b32 s14, s20, 5
	s_ashr_i32 s15, s14, 31
	s_lshl_b64 s[34:35], s[14:15], 3
	v_mov_b32_e32 v10, s35
	v_add_co_u32_e32 v3, vcc, s34, v3
	v_addc_co_u32_e32 v4, vcc, v4, v10, vcc
	v_add_co_u32_e32 v10, vcc, 0x100, v3
	v_addc_co_u32_e32 v11, vcc, 0, v4, vcc
	v_cndmask_b32_e64 v13, 0, 1, s[16:17]
	v_cmp_ne_u32_e64 s[14:15], 1, v13
	s_andn2_b64 vcc, exec, s[16:17]
	s_mov_b64 s[16:17], -1
	s_barrier
	s_cbranch_vccnz .LBB119_44
; %bb.43:
	s_lshl_b32 s16, s20, 3
	s_ashr_i32 s17, s16, 31
	s_lshl_b64 s[16:17], s[16:17], 3
	v_mov_b32_e32 v14, s17
	v_add_co_u32_e32 v13, vcc, s16, v3
	s_ashr_i32 s21, s20, 31
	v_addc_co_u32_e32 v14, vcc, v4, v14, vcc
	s_lshl_b64 s[16:17], s[20:21], 6
	v_mov_b32_e32 v18, s17
	v_add_co_u32_e32 v15, vcc, s16, v13
	v_addc_co_u32_e32 v16, vcc, v14, v18, vcc
	v_add_co_u32_e32 v17, vcc, s16, v15
	v_addc_co_u32_e32 v18, vcc, v16, v18, vcc
	global_load_dwordx2 v[23:24], v[3:4], off offset:256
	global_load_dwordx2 v[28:29], v[13:14], off offset:256
	global_load_dwordx2 v[30:31], v[15:16], off offset:256
	global_load_dwordx2 v[32:33], v[17:18], off offset:256
	s_movk_i32 s16, 0x108
	v_mad_u32_u24 v13, v7, s16, v8
	s_mov_b64 s[16:17], 0
	s_waitcnt vmcnt(3)
	ds_write_b64 v13, v[23:24]
	s_waitcnt vmcnt(2)
	ds_write_b64 v13, v[28:29] offset:2112
	s_waitcnt vmcnt(1)
	ds_write_b64 v13, v[30:31] offset:4224
	s_waitcnt vmcnt(0)
	ds_write_b64 v13, v[32:33] offset:6336
.LBB119_44:
	s_andn2_b64 vcc, exec, s[16:17]
	s_cbranch_vccnz .LBB119_62
; %bb.45:
	v_sub_co_u32_e32 v3, vcc, v3, v8
	s_ashr_i32 s25, s24, 31
	v_subbrev_co_u32_e32 v4, vcc, 0, v4, vcc
	s_lshl_b64 s[36:37], s[24:25], 3
	v_mov_b32_e32 v14, s37
	v_add_co_u32_e32 v3, vcc, s36, v3
	v_addc_co_u32_e32 v4, vcc, v4, v14, vcc
	v_or_b32_e32 v13, 32, v1
	v_add_co_u32_e32 v3, vcc, -8, v3
	v_addc_co_u32_e32 v4, vcc, -1, v4, vcc
	v_cmp_gt_i32_e64 s[16:17], s24, v13
	s_sub_i32 s21, s24, 32
	v_cndmask_b32_e64 v4, v4, v11, s[16:17]
	v_cndmask_b32_e64 v3, v3, v10, s[16:17]
	v_cmp_le_i32_e32 vcc, s21, v7
	v_mul_u32_u24_e32 v13, 0x108, v7
	s_and_saveexec_b64 s[38:39], vcc
	s_xor_b64 s[38:39], exec, s[38:39]
; %bb.46:
	v_mov_b32_e32 v14, 0
	v_add_u32_e32 v16, v8, v13
	v_mov_b32_e32 v15, v14
	ds_write_b64 v16, v[14:15]
; %bb.47:
	s_andn2_saveexec_b64 s[38:39], s[38:39]
	s_cbranch_execz .LBB119_49
; %bb.48:
	global_load_dwordx2 v[14:15], v[3:4], off
	v_add_u32_e32 v16, v8, v13
	s_waitcnt vmcnt(0)
	ds_write_b64 v16, v[14:15]
.LBB119_49:
	s_or_b64 exec, exec, s[38:39]
	v_add_u32_e32 v14, 8, v7
	v_cmp_le_i32_e32 vcc, s21, v14
	s_and_saveexec_b64 s[38:39], vcc
	s_xor_b64 s[38:39], exec, s[38:39]
; %bb.50:
	v_mov_b32_e32 v14, 0
	v_add_u32_e32 v16, v13, v8
	v_mov_b32_e32 v15, v14
	ds_write_b64 v16, v[14:15] offset:2112
; %bb.51:
	s_andn2_saveexec_b64 s[38:39], s[38:39]
	s_cbranch_execz .LBB119_53
; %bb.52:
	s_lshl_b32 s44, s20, 3
	s_ashr_i32 s45, s44, 31
	s_lshl_b64 s[44:45], s[44:45], 3
	v_mov_b32_e32 v15, s45
	v_add_co_u32_e32 v14, vcc, s44, v3
	v_addc_co_u32_e32 v15, vcc, v4, v15, vcc
	global_load_dwordx2 v[14:15], v[14:15], off
	v_add_u32_e32 v16, v13, v8
	s_waitcnt vmcnt(0)
	ds_write_b64 v16, v[14:15] offset:2112
.LBB119_53:
	s_or_b64 exec, exec, s[38:39]
	v_add_u32_e32 v14, 16, v7
	v_cmp_le_i32_e32 vcc, s21, v14
	s_and_saveexec_b64 s[38:39], vcc
	s_xor_b64 s[38:39], exec, s[38:39]
; %bb.54:
	v_mov_b32_e32 v14, 0
	v_add_u32_e32 v16, v13, v8
	v_mov_b32_e32 v15, v14
	ds_write_b64 v16, v[14:15] offset:4224
; %bb.55:
	s_andn2_saveexec_b64 s[38:39], s[38:39]
	s_cbranch_execz .LBB119_57
; %bb.56:
	s_lshl_b32 s44, s20, 4
	s_ashr_i32 s45, s44, 31
	s_lshl_b64 s[44:45], s[44:45], 3
	v_mov_b32_e32 v15, s45
	v_add_co_u32_e32 v14, vcc, s44, v3
	v_addc_co_u32_e32 v15, vcc, v4, v15, vcc
	global_load_dwordx2 v[14:15], v[14:15], off
	v_add_u32_e32 v16, v13, v8
	s_waitcnt vmcnt(0)
	ds_write_b64 v16, v[14:15] offset:4224
.LBB119_57:
	s_or_b64 exec, exec, s[38:39]
	v_add_u32_e32 v14, 24, v7
	v_cmp_le_i32_e32 vcc, s21, v14
	s_and_saveexec_b64 s[38:39], vcc
	s_xor_b64 s[38:39], exec, s[38:39]
; %bb.58:
	v_add_u32_e32 v15, v13, v8
	v_mov_b32_e32 v13, 0
	v_mov_b32_e32 v14, v13
	ds_write_b64 v15, v[13:14] offset:6336
                                        ; implicit-def: $vgpr13
; %bb.59:
	s_andn2_saveexec_b64 s[38:39], s[38:39]
	s_cbranch_execz .LBB119_61
; %bb.60:
	s_mul_i32 s44, s20, 24
	s_ashr_i32 s45, s44, 31
	s_lshl_b64 s[44:45], s[44:45], 3
	v_mov_b32_e32 v15, s45
	v_add_co_u32_e32 v14, vcc, s44, v3
	v_addc_co_u32_e32 v15, vcc, v4, v15, vcc
	global_load_dwordx2 v[14:15], v[14:15], off
	v_add_u32_e32 v13, v13, v8
	s_waitcnt vmcnt(0)
	ds_write_b64 v13, v[14:15] offset:6336
.LBB119_61:
	s_or_b64 exec, exec, s[38:39]
	v_add_co_u32_e32 v3, vcc, v3, v8
	v_addc_co_u32_e32 v4, vcc, 0, v4, vcc
	v_mov_b32_e32 v13, s37
	v_subrev_co_u32_e32 v3, vcc, s36, v3
	v_subb_co_u32_e32 v4, vcc, v4, v13, vcc
	v_add_co_u32_e32 v3, vcc, 0x108, v3
	v_addc_co_u32_e32 v4, vcc, 0, v4, vcc
	v_cndmask_b32_e64 v11, v4, v11, s[16:17]
	v_cndmask_b32_e64 v10, v3, v10, s[16:17]
.LBB119_62:
	v_mul_u32_u24_e32 v4, 0x420, v7
	v_add_u32_e32 v6, 0x2380, v6
	v_mul_u32_u24_e32 v3, 0x108, v9
	v_add_u32_e32 v4, v8, v4
	s_waitcnt lgkmcnt(0)
	s_barrier
	s_and_saveexec_b64 s[16:17], s[18:19]
	s_cbranch_execnz .LBB119_71
; %bb.63:
	s_or_b64 exec, exec, s[16:17]
	v_add_u32_e32 v3, v8, v3
	s_and_saveexec_b64 s[16:17], s[8:9]
	s_cbranch_execnz .LBB119_72
.LBB119_64:
	s_or_b64 exec, exec, s[16:17]
	s_and_saveexec_b64 s[8:9], s[10:11]
	s_cbranch_execnz .LBB119_73
.LBB119_65:
	s_or_b64 exec, exec, s[8:9]
	s_and_saveexec_b64 s[8:9], s[12:13]
	s_cbranch_execz .LBB119_67
.LBB119_66:
	ds_read_b64 v[13:14], v12
	v_lshl_add_u32 v9, v5, 3, v26
	s_waitcnt lgkmcnt(0)
	ds_write_b64 v9, v[13:14] offset:24
.LBB119_67:
	s_or_b64 exec, exec, s[8:9]
	s_waitcnt lgkmcnt(0)
	s_barrier
	ds_read_b64 v[17:18], v4
	ds_read_b128 v[13:16], v6 offset:256
	ds_read_b128 v[28:31], v6 offset:272
	ds_read_b64 v[23:24], v12
	ds_read2_b64 v[38:41], v3 offset1:33
	v_cmp_eq_u32_e64 s[10:11], 1, v7
	s_waitcnt lgkmcnt(3)
	v_mul_f32_e32 v4, v14, v18
	v_mul_f32_e32 v3, v13, v18
	v_fma_f32 v4, v13, v17, -v4
	v_fmac_f32_e32 v3, v14, v17
	s_waitcnt lgkmcnt(0)
	v_mul_f32_e32 v9, v16, v39
	v_mul_f32_e32 v12, v15, v39
	v_add_f32_e32 v4, 0, v4
	v_add_f32_e32 v3, 0, v3
	v_fma_f32 v9, v15, v38, -v9
	v_fmac_f32_e32 v12, v16, v38
	v_add_f32_e32 v4, v4, v9
	v_add_f32_e32 v3, v3, v12
	v_mul_f32_e32 v9, v29, v41
	v_mul_f32_e32 v12, v28, v41
	v_fma_f32 v9, v28, v40, -v9
	v_fmac_f32_e32 v12, v29, v40
	v_add_f32_e32 v4, v4, v9
	v_add_f32_e32 v9, v3, v12
	v_mul_f32_e32 v3, v31, v24
	v_mul_f32_e32 v12, v30, v24
	v_fma_f32 v3, v30, v23, -v3
	v_fmac_f32_e32 v12, v31, v23
	v_add_f32_e32 v3, v4, v3
	v_add_f32_e32 v4, v9, v12
	s_barrier
	ds_write_b64 v27, v[3:4]
	s_waitcnt lgkmcnt(0)
	s_barrier
	s_and_saveexec_b64 s[8:9], s[10:11]
	s_cbranch_execz .LBB119_69
; %bb.68:
	ds_read2_b64 v[12:15], v26 offset1:7
	ds_read2_b64 v[28:31], v26 offset0:1 offset1:2
	ds_read2_b64 v[36:39], v26 offset0:3 offset1:4
	s_waitcnt lgkmcnt(1)
	v_add_f32_e32 v3, v28, v12
	v_add_f32_e32 v4, v29, v13
	;; [unrolled: 1-line block ×4, first 2 shown]
	ds_read2_b64 v[28:31], v26 offset0:5 offset1:6
	s_waitcnt lgkmcnt(1)
	v_add_f32_e32 v3, v3, v36
	v_add_f32_e32 v4, v4, v37
	;; [unrolled: 1-line block ×4, first 2 shown]
	s_waitcnt lgkmcnt(0)
	v_add_f32_e32 v3, v3, v28
	v_add_f32_e32 v4, v4, v29
	;; [unrolled: 1-line block ×6, first 2 shown]
.LBB119_69:
	s_or_b64 exec, exec, s[8:9]
	v_mov_b32_e32 v3, s35
	v_subrev_co_u32_e64 v23, s[8:9], s34, v10
	s_and_b64 vcc, exec, s[14:15]
	v_subb_co_u32_e64 v24, s[8:9], v11, v3, s[8:9]
	s_barrier
	s_cbranch_vccnz .LBB119_74
; %bb.70:
	s_lshl_b32 s8, s20, 3
	s_ashr_i32 s9, s8, 31
	s_lshl_b64 s[8:9], s[8:9], 3
	v_mov_b32_e32 v4, s9
	v_add_co_u32_e32 v3, vcc, s8, v23
	s_ashr_i32 s21, s20, 31
	v_addc_co_u32_e32 v4, vcc, v24, v4, vcc
	s_lshl_b64 s[8:9], s[20:21], 6
	v_mov_b32_e32 v12, s9
	v_add_co_u32_e32 v9, vcc, s8, v3
	v_addc_co_u32_e32 v10, vcc, v4, v12, vcc
	v_add_co_u32_e32 v11, vcc, s8, v9
	v_addc_co_u32_e32 v12, vcc, v10, v12, vcc
	global_load_dwordx2 v[14:15], v[23:24], off
	global_load_dwordx2 v[16:17], v[3:4], off
	;; [unrolled: 1-line block ×4, first 2 shown]
	s_movk_i32 s8, 0x108
	v_mov_b32_e32 v3, 0x840
	v_mov_b32_e32 v13, 0x1080
	;; [unrolled: 1-line block ×3, first 2 shown]
	v_mul_u32_u24_e32 v9, 0x108, v7
	v_add_u32_e32 v10, 8, v7
	v_add_u32_e32 v11, 16, v7
	;; [unrolled: 1-line block ×3, first 2 shown]
	v_mad_u32_u24 v32, v7, s8, v8
	v_mad_u32_u24 v4, v7, s8, v3
	;; [unrolled: 1-line block ×4, first 2 shown]
	v_add_u32_e32 v18, v8, v4
	v_add_u32_e32 v33, v8, v3
	;; [unrolled: 1-line block ×3, first 2 shown]
	s_waitcnt vmcnt(3)
	ds_write_b64 v32, v[14:15]
	s_waitcnt vmcnt(2)
	ds_write_b64 v18, v[16:17]
	;; [unrolled: 2-line block ×4, first 2 shown]
	s_cbranch_execz .LBB119_75
	s_branch .LBB119_92
.LBB119_71:
	ds_read_b64 v[13:14], v4
	v_lshl_add_u32 v9, v5, 3, v26
	s_waitcnt lgkmcnt(0)
	ds_write_b64 v9, v[13:14]
	s_or_b64 exec, exec, s[16:17]
	v_add_u32_e32 v3, v8, v3
	s_and_saveexec_b64 s[16:17], s[8:9]
	s_cbranch_execz .LBB119_64
.LBB119_72:
	ds_read_b64 v[13:14], v3
	v_lshl_add_u32 v9, v5, 3, v26
	s_waitcnt lgkmcnt(0)
	ds_write_b64 v9, v[13:14] offset:8
	s_or_b64 exec, exec, s[16:17]
	s_and_saveexec_b64 s[8:9], s[10:11]
	s_cbranch_execz .LBB119_65
.LBB119_73:
	ds_read_b64 v[13:14], v3 offset:264
	v_lshl_add_u32 v9, v5, 3, v26
	s_waitcnt lgkmcnt(0)
	ds_write_b64 v9, v[13:14] offset:16
	s_or_b64 exec, exec, s[8:9]
	s_and_saveexec_b64 s[8:9], s[12:13]
	s_cbranch_execnz .LBB119_66
	s_branch .LBB119_67
.LBB119_74:
                                        ; implicit-def: $vgpr9
                                        ; implicit-def: $vgpr10
                                        ; implicit-def: $vgpr4
                                        ; implicit-def: $vgpr11
                                        ; implicit-def: $vgpr3
                                        ; implicit-def: $vgpr12
                                        ; implicit-def: $vgpr13
.LBB119_75:
	v_sub_co_u32_e32 v3, vcc, v23, v8
	s_ashr_i32 s25, s24, 31
	v_subbrev_co_u32_e32 v4, vcc, 0, v24, vcc
	s_lshl_b64 s[12:13], s[24:25], 3
	v_mov_b32_e32 v9, s13
	v_add_co_u32_e32 v3, vcc, s12, v3
	v_addc_co_u32_e32 v4, vcc, v4, v9, vcc
	v_or_b32_e32 v1, 32, v1
	v_add_co_u32_e32 v3, vcc, 0xfffffef8, v3
	v_addc_co_u32_e32 v4, vcc, -1, v4, vcc
	v_cmp_gt_i32_e64 s[8:9], s24, v1
	v_cndmask_b32_e64 v4, v4, v24, s[8:9]
	v_cndmask_b32_e64 v3, v3, v23, s[8:9]
	v_cmp_le_i32_e32 vcc, s24, v7
	v_mul_u32_u24_e32 v9, 0x108, v7
	s_and_saveexec_b64 s[14:15], vcc
	s_xor_b64 s[14:15], exec, s[14:15]
; %bb.76:
	v_mov_b32_e32 v10, 0
	v_add_u32_e32 v1, v8, v9
	v_mov_b32_e32 v11, v10
	ds_write_b64 v1, v[10:11]
; %bb.77:
	s_andn2_saveexec_b64 s[14:15], s[14:15]
	s_cbranch_execz .LBB119_79
; %bb.78:
	global_load_dwordx2 v[10:11], v[3:4], off
	v_add_u32_e32 v1, v8, v9
	s_waitcnt vmcnt(0)
	ds_write_b64 v1, v[10:11]
.LBB119_79:
	s_or_b64 exec, exec, s[14:15]
	v_add_u32_e32 v10, 8, v7
	v_cmp_le_i32_e32 vcc, s24, v10
	s_and_saveexec_b64 s[14:15], vcc
	s_xor_b64 s[14:15], exec, s[14:15]
; %bb.80:
	v_mov_b32_e32 v11, 0
	v_add_u32_e32 v1, v9, v8
	v_mov_b32_e32 v12, v11
	ds_write_b64 v1, v[11:12] offset:2112
; %bb.81:
	s_andn2_saveexec_b64 s[14:15], s[14:15]
	s_cbranch_execz .LBB119_83
; %bb.82:
	s_lshl_b32 s16, s20, 3
	s_ashr_i32 s17, s16, 31
	s_lshl_b64 s[16:17], s[16:17], 3
	v_mov_b32_e32 v1, s17
	v_add_co_u32_e32 v11, vcc, s16, v3
	v_addc_co_u32_e32 v12, vcc, v4, v1, vcc
	global_load_dwordx2 v[11:12], v[11:12], off
	v_add_u32_e32 v1, v9, v8
	s_waitcnt vmcnt(0)
	ds_write_b64 v1, v[11:12] offset:2112
.LBB119_83:
	s_or_b64 exec, exec, s[14:15]
	v_add_u32_e32 v11, 16, v7
	v_cmp_le_i32_e32 vcc, s24, v11
	s_and_saveexec_b64 s[14:15], vcc
	s_xor_b64 s[14:15], exec, s[14:15]
; %bb.84:
	v_mov_b32_e32 v12, 0
	v_add_u32_e32 v1, v9, v8
	v_mov_b32_e32 v13, v12
	ds_write_b64 v1, v[12:13] offset:4224
; %bb.85:
	s_andn2_saveexec_b64 s[14:15], s[14:15]
	s_cbranch_execz .LBB119_87
; %bb.86:
	s_lshl_b32 s16, s20, 4
	s_ashr_i32 s17, s16, 31
	s_lshl_b64 s[16:17], s[16:17], 3
	v_mov_b32_e32 v1, s17
	v_add_co_u32_e32 v12, vcc, s16, v3
	v_addc_co_u32_e32 v13, vcc, v4, v1, vcc
	global_load_dwordx2 v[12:13], v[12:13], off
	v_add_u32_e32 v1, v9, v8
	s_waitcnt vmcnt(0)
	ds_write_b64 v1, v[12:13] offset:4224
.LBB119_87:
	s_or_b64 exec, exec, s[14:15]
	v_add_u32_e32 v12, 24, v7
	v_cmp_le_i32_e32 vcc, s24, v12
                                        ; implicit-def: $vgpr13
	s_and_saveexec_b64 s[14:15], vcc
	s_xor_b64 s[14:15], exec, s[14:15]
; %bb.88:
	v_add_u32_e32 v13, 0x18c0, v9
	v_mov_b32_e32 v14, 0
	v_add_u32_e32 v1, v8, v13
	v_mov_b32_e32 v15, v14
	ds_write_b64 v1, v[14:15]
; %bb.89:
	s_andn2_saveexec_b64 s[14:15], s[14:15]
	s_cbranch_execz .LBB119_91
; %bb.90:
	s_mul_i32 s16, s20, 24
	s_ashr_i32 s17, s16, 31
	s_lshl_b64 s[16:17], s[16:17], 3
	v_mov_b32_e32 v1, s17
	v_add_co_u32_e32 v13, vcc, s16, v3
	v_addc_co_u32_e32 v14, vcc, v4, v1, vcc
	global_load_dwordx2 v[14:15], v[13:14], off
	v_add_u32_e32 v13, 0x18c0, v9
	v_add_u32_e32 v1, v8, v13
	s_waitcnt vmcnt(0)
	ds_write_b64 v1, v[14:15]
.LBB119_91:
	s_or_b64 exec, exec, s[14:15]
	v_add_co_u32_e32 v1, vcc, v3, v8
	v_addc_co_u32_e32 v3, vcc, 0, v4, vcc
	v_mov_b32_e32 v4, s13
	v_subrev_co_u32_e32 v1, vcc, s12, v1
	v_subb_co_u32_e32 v3, vcc, v3, v4, vcc
	v_add_co_u32_e32 v1, vcc, 0x108, v1
	v_addc_co_u32_e32 v3, vcc, 0, v3, vcc
	v_cndmask_b32_e64 v24, v3, v24, s[8:9]
	v_cndmask_b32_e64 v23, v1, v23, s[8:9]
	v_add_u32_e32 v4, 0x840, v9
	v_add_u32_e32 v3, 0x1080, v9
.LBB119_92:
	v_add_u32_e32 v1, v8, v9
	s_waitcnt lgkmcnt(0)
	s_barrier
	v_lshlrev_b32_e32 v7, 3, v7
	ds_read_b64 v[15:16], v1
	ds_read_b64 v[17:18], v7 offset:9088
	v_add_u32_e32 v1, v8, v4
	v_lshlrev_b32_e32 v4, 3, v10
	ds_read_b64 v[28:29], v1
	ds_read_b64 v[30:31], v4 offset:9088
	v_add_u32_e32 v3, v8, v3
	;; [unrolled: 4-line block ×3, first 2 shown]
	v_lshlrev_b32_e32 v7, 3, v12
	ds_read2_b32 v[40:41], v3 offset1:1
	ds_read_b64 v[42:43], v7 offset:9088
	s_waitcnt lgkmcnt(6)
	v_mul_f32_e32 v1, v18, v16
	v_fma_f32 v1, v17, v15, -v1
	s_waitcnt lgkmcnt(4)
	v_mul_f32_e32 v4, v31, v29
	v_add_f32_e32 v1, 0, v1
	v_fma_f32 v4, v30, v28, -v4
	s_waitcnt lgkmcnt(2)
	v_mul_f32_e32 v3, v39, v33
	v_add_f32_e32 v1, v1, v4
	v_fma_f32 v3, v38, v32, -v3
	v_add_f32_e32 v1, v1, v3
	s_waitcnt lgkmcnt(0)
	v_mul_f32_e32 v3, v43, v41
	v_fma_f32 v3, v42, v40, -v3
	v_mul_f32_e32 v34, v17, v16
	v_add_f32_e32 v44, v1, v3
	v_lshl_add_u32 v1, v5, 3, v26
	v_fmac_f32_e32 v34, v18, v15
	v_mul_f32_e32 v29, v30, v29
	ds_read_b128 v[11:14], v6 offset:256
	ds_read_b128 v[3:6], v6 offset:272
	ds_read2_b64 v[15:18], v1 offset1:1
	ds_read2_b64 v[7:10], v1 offset0:2 offset1:3
	v_add_f32_e32 v1, 0, v34
	v_fmac_f32_e32 v29, v31, v28
	v_mul_f32_e32 v28, v38, v33
	v_add_f32_e32 v1, v1, v29
	v_fmac_f32_e32 v28, v39, v32
	v_add_f32_e32 v1, v1, v28
	v_mul_f32_e32 v28, v42, v41
	v_fmac_f32_e32 v28, v43, v40
	v_add_f32_e32 v45, v1, v28
	s_waitcnt lgkmcnt(0)
	s_barrier
	ds_write_b64 v27, v[44:45]
	s_waitcnt lgkmcnt(0)
	s_barrier
	s_and_saveexec_b64 s[8:9], s[10:11]
	s_cbranch_execz .LBB119_94
; %bb.93:
	ds_read2_b64 v[28:31], v26 offset1:1
	ds_read2_b64 v[38:41], v26 offset0:2 offset1:3
	ds_read2_b64 v[42:45], v26 offset0:4 offset1:5
	s_waitcnt lgkmcnt(2)
	v_add_f32_e32 v1, v36, v28
	v_add_f32_e32 v28, v37, v29
	v_add_f32_e32 v28, v28, v31
	s_waitcnt lgkmcnt(1)
	v_add_f32_e32 v28, v28, v39
	v_add_f32_e32 v1, v1, v30
	;; [unrolled: 1-line block ×3, first 2 shown]
	ds_read2_b64 v[28:31], v26 offset0:6 offset1:7
	v_add_f32_e32 v1, v1, v38
	v_add_f32_e32 v1, v1, v40
	s_waitcnt lgkmcnt(1)
	v_add_f32_e32 v1, v1, v42
	v_add_f32_e32 v32, v32, v43
	;; [unrolled: 1-line block ×4, first 2 shown]
	s_waitcnt lgkmcnt(0)
	v_add_f32_e32 v1, v1, v28
	v_add_f32_e32 v28, v32, v29
	;; [unrolled: 1-line block ×4, first 2 shown]
.LBB119_94:
	s_or_b64 exec, exec, s[8:9]
	v_mul_f32_e32 v1, v12, v16
	v_fma_f32 v1, v11, v15, -v1
	v_mul_f32_e32 v11, v11, v16
	v_fmac_f32_e32 v11, v12, v15
	v_mul_f32_e32 v12, v14, v18
	v_add_f32_e32 v1, 0, v1
	v_fma_f32 v12, v13, v17, -v12
	v_mul_f32_e32 v13, v13, v18
	v_add_f32_e32 v1, v1, v12
	v_mul_f32_e32 v12, v4, v8
	v_add_f32_e32 v11, 0, v11
	v_fmac_f32_e32 v13, v14, v17
	v_fma_f32 v12, v3, v7, -v12
	v_mul_f32_e32 v3, v3, v8
	v_add_f32_e32 v11, v11, v13
	v_fmac_f32_e32 v3, v4, v7
	v_add_f32_e32 v4, v11, v3
	v_mul_f32_e32 v3, v6, v10
	v_fma_f32 v3, v5, v9, -v3
	v_mul_f32_e32 v5, v5, v10
	v_add_f32_e32 v1, v1, v12
	v_fmac_f32_e32 v5, v6, v9
	v_add_f32_e32 v3, v1, v3
	v_add_f32_e32 v4, v4, v5
	s_barrier
	ds_write_b64 v27, v[3:4]
	s_waitcnt lgkmcnt(0)
	s_barrier
	s_and_saveexec_b64 s[8:9], s[4:5]
	s_cbranch_execz .LBB119_96
; %bb.95:
	ds_read2_b64 v[3:6], v26 offset1:1
	ds_read2_b64 v[7:10], v26 offset0:2 offset1:3
	ds_read2_b64 v[11:14], v26 offset0:4 offset1:5
	s_waitcnt lgkmcnt(2)
	v_add_f32_e32 v1, v36, v3
	v_add_f32_e32 v3, v37, v4
	;; [unrolled: 1-line block ×4, first 2 shown]
	s_waitcnt lgkmcnt(1)
	v_add_f32_e32 v3, v3, v8
	v_add_f32_e32 v1, v1, v7
	;; [unrolled: 1-line block ×3, first 2 shown]
	ds_read2_b64 v[3:6], v26 offset0:6 offset1:7
	v_add_f32_e32 v1, v1, v9
	s_waitcnt lgkmcnt(1)
	v_add_f32_e32 v1, v1, v11
	v_add_f32_e32 v7, v7, v12
	;; [unrolled: 1-line block ×4, first 2 shown]
	s_waitcnt lgkmcnt(0)
	v_add_f32_e32 v1, v1, v3
	v_add_f32_e32 v3, v7, v4
	;; [unrolled: 1-line block ×4, first 2 shown]
.LBB119_96:
	s_or_b64 exec, exec, s[8:9]
	s_mul_hi_u32 s4, s40, s7
	s_mul_i32 s42, s42, s7
	s_add_i32 s4, s4, s42
	s_mul_i32 s7, s40, s7
	s_mul_i32 s4, s4, s41
	s_mul_hi_u32 s5, s7, s41
	s_add_i32 s5, s5, s4
	s_mul_i32 s4, s7, s41
	s_lshl_b64 s[4:5], s[4:5], 3
	s_add_u32 s7, s22, s4
	s_mul_i32 s4, s40, s6
	s_addc_u32 s8, s23, s5
	s_ashr_i32 s5, s4, 31
	s_lshl_b64 s[4:5], s[4:5], 3
	s_add_u32 s7, s7, s4
	v_cmp_le_i32_e32 vcc, s24, v0
	s_addc_u32 s27, s8, s5
	s_and_b64 vcc, s[30:31], vcc
	s_cmp_lt_i32 s6, 1
	v_lshlrev_b32_e32 v72, 3, v0
	s_barrier
	s_cbranch_scc1 .LBB119_103
; %bb.97:
	s_mul_i32 s4, s33, s26
	s_ashr_i32 s5, s4, 31
	s_lshl_b64 s[4:5], s[4:5], 3
	v_mov_b32_e32 v1, s5
	v_subrev_co_u32_e64 v73, s[4:5], s4, v19
	v_mul_lo_u32 v4, v2, s20
	v_subb_co_u32_e64 v74, s[4:5], v20, v1, s[4:5]
	v_mov_b32_e32 v1, s29
	v_subrev_co_u32_e64 v3, s[4:5], s28, v23
	v_subb_co_u32_e64 v1, s[4:5], v24, v1, s[4:5]
	v_sub_co_u32_e64 v7, s[4:5], v3, v21
	v_lshl_add_u32 v3, v4, 2, v0
	v_ashrrev_i32_e32 v4, 31, v3
	v_lshlrev_b64 v[3:4], 3, v[3:4]
	v_subb_co_u32_e64 v1, s[4:5], v1, v22, s[4:5]
	v_add_co_u32_e64 v3, s[4:5], v7, v3
	v_addc_co_u32_e64 v4, s[4:5], v1, v4, s[4:5]
	s_movk_i32 s4, 0xff00
	v_add_co_u32_e64 v7, s[4:5], s4, v3
	v_addc_co_u32_e64 v8, s[4:5], -1, v4, s[4:5]
	v_sub_co_u32_e64 v3, s[4:5], v3, v72
	v_subbrev_co_u32_e64 v4, s[4:5], 0, v4, s[4:5]
	s_ashr_i32 s25, s24, 31
	s_lshl_b64 s[4:5], s[24:25], 3
	v_mov_b32_e32 v9, s5
	v_add_co_u32_e64 v3, s[4:5], s4, v3
	v_addc_co_u32_e64 v4, s[4:5], v4, v9, s[4:5]
	s_movk_i32 s4, 0xfef8
	v_add_co_u32_e64 v3, s[4:5], s4, v3
	v_addc_co_u32_e64 v4, s[4:5], -1, v4, s[4:5]
	v_cndmask_b32_e32 v39, v8, v4, vcc
	v_and_b32_e32 v4, 48, v0
	v_lshrrev_b32_e32 v5, 4, v25
	v_and_b32_e32 v6, 15, v0
	v_cndmask_b32_e32 v38, v7, v3, vcc
	v_mov_b32_e32 v3, 0x2180
	s_movk_i32 s8, 0x218
	v_lshlrev_b32_e32 v4, 3, v4
	v_lshl_add_u32 v76, v2, 5, v3
	v_lshlrev_b32_e32 v3, 5, v5
	v_mad_u32_u24 v80, v6, s8, v4
	v_or_b32_e32 v4, 0x78, v72
	s_ashr_i32 s21, s20, 31
	s_movk_i32 s4, 0x860
	v_mad_u32_u24 v79, v6, s8, v3
	v_mul_i32_i24_e32 v3, 0xffffffe8, v5
	v_mad_u32_u24 v81, v6, s8, v4
	s_lshl_b64 s[10:11], s[20:21], 3
	s_lshl_b64 s[12:13], s[20:21], 9
	;; [unrolled: 1-line block ×3, first 2 shown]
	s_mul_hi_i32 s8, s20, 24
	s_mul_hi_i32 s9, s20, 0x90
	;; [unrolled: 1-line block ×10, first 2 shown]
	s_lshl_b64 s[16:17], s[20:21], 8
	s_mul_hi_i32 s44, s20, 0x88
	s_lshl_b64 s[18:19], s[20:21], 7
	v_mov_b32_e32 v1, 0
	s_lshl_b32 s24, s33, 6
	v_add_u32_e32 v75, 0x2180, v72
	v_add_u32_e32 v77, 0x2380, v72
	v_mad_u32_u24 v78, v2, s4, v72
	v_cmp_gt_u32_e64 s[4:5], 64, v25
	s_mul_i32 s25, s20, 24
	s_mul_i32 s26, s20, 0x90
	;; [unrolled: 1-line block ×11, first 2 shown]
	s_mov_b32 s20, 0
	v_mov_b32_e32 v82, s11
	v_mov_b32_e32 v83, s15
	v_mov_b32_e32 v84, s8
	v_mov_b32_e32 v85, s19
	v_mov_b32_e32 v86, s44
	v_mov_b32_e32 v87, s9
	v_mov_b32_e32 v88, s22
	v_mov_b32_e32 v89, s17
	v_mov_b32_e32 v90, s43
	v_mov_b32_e32 v91, s23
	v_mov_b32_e32 v92, s38
	v_mov_b32_e32 v93, s42
	v_mov_b32_e32 v94, s41
	v_mov_b32_e32 v95, s39
	v_mov_b32_e32 v96, s40
	v_add_u32_e32 v97, v79, v3
	v_mov_b32_e32 v98, s13
	s_branch .LBB119_99
.LBB119_98:                             ;   in Loop: Header=BB119_99 Depth=1
	s_or_b64 exec, exec, s[22:23]
	v_mul_f32_e32 v99, v8, v41
	v_fma_f32 v99, v7, v40, -v99
	v_mul_f32_e32 v8, v8, v40
	v_mul_f32_e32 v40, v10, v43
	v_add_f32_e32 v36, v36, v99
	v_fma_f32 v40, v9, v42, -v40
	v_mul_f32_e32 v10, v10, v42
	v_add_f32_e32 v36, v36, v40
	v_mul_f32_e32 v40, v4, v45
	v_fmac_f32_e32 v8, v7, v41
	v_fma_f32 v40, v3, v44, -v40
	v_mul_f32_e32 v4, v4, v44
	v_add_f32_e32 v7, v37, v8
	v_fmac_f32_e32 v10, v9, v43
	v_add_f32_e32 v36, v36, v40
	v_mul_f32_e32 v40, v6, v47
	v_mul_f32_e32 v6, v6, v46
	v_add_f32_e32 v7, v7, v10
	v_fmac_f32_e32 v4, v3, v45
	v_fma_f32 v40, v5, v46, -v40
	v_add_f32_e32 v3, v7, v4
	v_fmac_f32_e32 v6, v5, v47
	v_mul_f32_e32 v4, v16, v53
	v_add_f32_e32 v36, v36, v40
	v_add_f32_e32 v3, v3, v6
	v_fma_f32 v4, v15, v52, -v4
	v_mul_f32_e32 v6, v18, v51
	v_add_f32_e32 v4, v36, v4
	v_fma_f32 v6, v17, v50, -v6
	v_add_f32_e32 v4, v4, v6
	v_mul_f32_e32 v6, v12, v49
	v_mul_f32_e32 v5, v16, v52
	v_fma_f32 v6, v11, v48, -v6
	v_add_f32_e32 v4, v4, v6
	v_mul_f32_e32 v6, v14, v55
	v_fmac_f32_e32 v5, v15, v53
	v_fma_f32 v6, v13, v54, -v6
	v_add_f32_e32 v3, v3, v5
	v_mul_f32_e32 v5, v24, v61
	v_add_f32_e32 v4, v4, v6
	v_fma_f32 v5, v23, v60, -v5
	v_add_f32_e32 v4, v4, v5
	v_mul_f32_e32 v5, v26, v57
	v_fma_f32 v5, v25, v56, -v5
	v_mul_f32_e32 v7, v18, v50
	v_add_f32_e32 v4, v4, v5
	v_mul_f32_e32 v5, v20, v59
	v_mul_f32_e32 v8, v12, v48
	v_fmac_f32_e32 v7, v17, v51
	v_fma_f32 v5, v19, v58, -v5
	v_mul_f32_e32 v9, v14, v54
	v_add_f32_e32 v3, v3, v7
	v_fmac_f32_e32 v8, v11, v49
	v_add_f32_e32 v4, v4, v5
	v_mul_f32_e32 v5, v22, v63
	v_add_f32_e32 v3, v3, v8
	v_fmac_f32_e32 v9, v13, v55
	v_mul_f32_e32 v6, v24, v60
	v_fma_f32 v5, v21, v62, -v5
	v_add_f32_e32 v3, v3, v9
	v_mul_f32_e32 v7, v26, v56
	v_add_f32_e32 v4, v4, v5
	v_fmac_f32_e32 v6, v23, v61
	v_mul_f32_e32 v5, v32, v69
	v_mul_f32_e32 v8, v20, v58
	v_add_f32_e32 v3, v3, v6
	v_fmac_f32_e32 v7, v25, v57
	v_fma_f32 v5, v31, v68, -v5
	v_mul_f32_e32 v9, v22, v62
	v_add_f32_e32 v3, v3, v7
	v_fmac_f32_e32 v8, v19, v59
	v_add_f32_e32 v4, v4, v5
	v_mul_f32_e32 v5, v34, v67
	v_add_f32_e32 v3, v3, v8
	v_fmac_f32_e32 v9, v21, v63
	v_mul_f32_e32 v6, v32, v68
	v_fma_f32 v5, v33, v66, -v5
	v_add_f32_e32 v3, v3, v9
	v_mul_f32_e32 v7, v34, v66
	v_add_f32_e32 v4, v4, v5
	v_mul_f32_e32 v5, v28, v65
	v_fmac_f32_e32 v6, v31, v69
	v_fma_f32 v5, v27, v64, -v5
	v_mul_f32_e32 v8, v28, v64
	v_fmac_f32_e32 v7, v33, v67
	v_add_f32_e32 v3, v3, v6
	v_add_f32_e32 v4, v4, v5
	v_mul_f32_e32 v5, v30, v71
	v_mul_f32_e32 v9, v30, v70
	v_fmac_f32_e32 v8, v27, v65
	v_add_f32_e32 v3, v3, v7
	v_fma_f32 v5, v29, v70, -v5
	v_fmac_f32_e32 v9, v29, v71
	v_add_f32_e32 v3, v3, v8
	v_add_co_u32_e64 v38, s[8:9], s12, v38
	s_add_i32 s6, s6, -1
	s_add_i32 s20, s20, s24
	v_add_f32_e32 v36, v4, v5
	v_add_f32_e32 v37, v3, v9
	v_addc_co_u32_e64 v39, s[8:9], v39, v98, s[8:9]
	s_cmp_eq_u32 s6, 0
	v_add_u32_e32 v0, 64, v0
	s_waitcnt vmcnt(0)
	s_barrier
	s_cbranch_scc1 .LBB119_103
.LBB119_99:                             ; =>This Inner Loop Header: Depth=1
	s_and_saveexec_b64 s[22:23], s[2:3]
	s_cbranch_execz .LBB119_101
; %bb.100:                              ;   in Loop: Header=BB119_99 Depth=1
	s_ashr_i32 s21, s20, 31
	s_lshl_b64 s[8:9], s[20:21], 3
	v_mov_b32_e32 v4, s9
	v_add_co_u32_e64 v3, s[8:9], s8, v73
	v_addc_co_u32_e64 v4, s[8:9], v74, v4, s[8:9]
	global_load_dwordx2 v[3:4], v[3:4], off
	s_waitcnt vmcnt(0)
	ds_write_b64 v75, v[3:4]
.LBB119_101:                            ;   in Loop: Header=BB119_99 Depth=1
	s_or_b64 exec, exec, s[22:23]
	v_add_co_u32_e64 v3, s[8:9], s10, v38
	v_addc_co_u32_e64 v4, s[8:9], v39, v82, s[8:9]
	v_add_co_u32_e64 v5, s[8:9], s14, v38
	v_addc_co_u32_e64 v6, s[8:9], v39, v83, s[8:9]
	s_waitcnt lgkmcnt(0)
	s_barrier
	global_load_dwordx2 v[40:41], v[38:39], off
	global_load_dwordx2 v[42:43], v[3:4], off
	;; [unrolled: 1-line block ×3, first 2 shown]
	v_add_co_u32_e64 v3, s[8:9], s25, v38
	v_addc_co_u32_e64 v4, s[8:9], v39, v84, s[8:9]
	global_load_dwordx2 v[46:47], v[3:4], off
	v_add_co_u32_e64 v13, s[8:9], s18, v38
	v_addc_co_u32_e64 v14, s[8:9], v39, v85, s[8:9]
	ds_read_b64 v[11:12], v77
	ds_read_b128 v[7:10], v76
	ds_read_b128 v[3:6], v76 offset:16
	v_add_co_u32_e64 v15, s[8:9], s37, v38
	v_addc_co_u32_e64 v16, s[8:9], v39, v86, s[8:9]
	v_add_co_u32_e64 v17, s[8:9], s26, v38
	v_addc_co_u32_e64 v18, s[8:9], v39, v87, s[8:9]
	s_waitcnt vmcnt(3) lgkmcnt(2)
	v_mul_f32_e32 v19, v12, v41
	v_mul_f32_e32 v20, v12, v40
	s_waitcnt vmcnt(2)
	v_mul_f32_e32 v21, v12, v43
	v_mul_f32_e32 v22, v12, v42
	s_waitcnt vmcnt(1)
	;; [unrolled: 3-line block ×3, first 2 shown]
	v_mul_f32_e32 v25, v12, v47
	v_fma_f32 v19, v11, v40, -v19
	v_fmac_f32_e32 v20, v11, v41
	v_mul_f32_e32 v26, v11, v47
	v_fma_f32 v21, v11, v42, -v21
	v_fmac_f32_e32 v22, v11, v43
	v_fma_f32 v23, v11, v44, -v23
	v_fma_f32 v25, v11, v46, -v25
	v_fmac_f32_e32 v24, v11, v45
	v_add_co_u32_e64 v11, s[8:9], s28, v38
	v_fmac_f32_e32 v26, v12, v46
	ds_write2_b64 v78, v[19:20], v[21:22] offset1:67
	ds_write2_b64 v78, v[23:24], v[25:26] offset0:134 offset1:201
	s_waitcnt lgkmcnt(0)
	s_barrier
	ds_read2_b64 v[27:30], v79 offset1:1
	ds_read2_b64 v[31:34], v79 offset0:2 offset1:3
	s_waitcnt lgkmcnt(0)
	s_barrier
	global_load_dwordx2 v[52:53], v[13:14], off
	global_load_dwordx2 v[50:51], v[15:16], off
	;; [unrolled: 1-line block ×3, first 2 shown]
	v_addc_co_u32_e64 v12, s[8:9], v39, v88, s[8:9]
	global_load_dwordx2 v[54:55], v[11:12], off
	ds_read_b64 v[23:24], v77
	v_add_co_u32_e64 v19, s[8:9], s16, v38
	v_addc_co_u32_e64 v20, s[8:9], v39, v89, s[8:9]
	v_add_co_u32_e64 v21, s[8:9], s36, v38
	v_addc_co_u32_e64 v22, s[8:9], v39, v90, s[8:9]
	;; [unrolled: 2-line block ×3, first 2 shown]
	ds_read_b128 v[15:18], v76 offset:128
	ds_read_b128 v[11:14], v76 offset:144
	v_add_f32_e32 v27, 0, v27
	v_add_f32_e32 v28, 0, v28
	;; [unrolled: 1-line block ×6, first 2 shown]
	s_waitcnt vmcnt(3) lgkmcnt(2)
	v_mul_f32_e32 v56, v24, v53
	v_mul_f32_e32 v57, v24, v52
	s_waitcnt vmcnt(2)
	v_mul_f32_e32 v58, v24, v51
	v_mul_f32_e32 v59, v24, v50
	s_waitcnt vmcnt(1)
	;; [unrolled: 3-line block ×3, first 2 shown]
	v_mul_f32_e32 v62, v24, v55
	v_mul_f32_e32 v63, v23, v55
	v_fma_f32 v56, v23, v52, -v56
	v_fma_f32 v58, v23, v50, -v58
	;; [unrolled: 1-line block ×3, first 2 shown]
	v_fmac_f32_e32 v57, v23, v53
	v_fmac_f32_e32 v59, v23, v51
	v_fmac_f32_e32 v61, v23, v49
	v_fma_f32 v62, v23, v54, -v62
	v_fmac_f32_e32 v63, v24, v54
	ds_write2_b64 v78, v[56:57], v[58:59] offset1:67
	ds_write2_b64 v78, v[60:61], v[62:63] offset0:134 offset1:201
	s_waitcnt lgkmcnt(0)
	s_barrier
	ds_read2_b64 v[99:102], v79 offset1:1
	ds_read2_b64 v[103:106], v79 offset0:2 offset1:3
	s_waitcnt lgkmcnt(0)
	s_barrier
	global_load_dwordx2 v[60:61], v[19:20], off
	global_load_dwordx2 v[56:57], v[21:22], off
	;; [unrolled: 1-line block ×3, first 2 shown]
	v_add_co_u32_e64 v19, s[8:9], s30, v38
	v_addc_co_u32_e64 v20, s[8:9], v39, v92, s[8:9]
	global_load_dwordx2 v[62:63], v[19:20], off
	ds_read_b64 v[64:65], v77
	v_add_co_u32_e64 v70, s[8:9], s35, v38
	v_addc_co_u32_e64 v71, s[8:9], v39, v93, s[8:9]
	v_add_co_u32_e64 v115, s[8:9], s34, v38
	v_addc_co_u32_e64 v116, s[8:9], v39, v94, s[8:9]
	;; [unrolled: 2-line block ×3, first 2 shown]
	ds_read_b128 v[23:26], v76 offset:256
	ds_read_b128 v[19:22], v76 offset:272
	s_waitcnt vmcnt(3) lgkmcnt(2)
	v_mul_f32_e32 v66, v65, v61
	v_mul_f32_e32 v67, v65, v60
	s_waitcnt vmcnt(2)
	v_mul_f32_e32 v68, v65, v57
	v_mul_f32_e32 v69, v65, v56
	s_waitcnt vmcnt(1)
	v_mul_f32_e32 v107, v65, v59
	v_mul_f32_e32 v108, v65, v58
	v_fma_f32 v66, v64, v60, -v66
	s_waitcnt vmcnt(0)
	v_mul_f32_e32 v109, v65, v63
	v_mul_f32_e32 v110, v64, v63
	v_fma_f32 v68, v64, v56, -v68
	v_fmac_f32_e32 v67, v64, v61
	v_fmac_f32_e32 v69, v64, v57
	v_fma_f32 v107, v64, v58, -v107
	v_fma_f32 v109, v64, v62, -v109
	v_fmac_f32_e32 v108, v64, v59
	v_fmac_f32_e32 v110, v65, v62
	ds_write2_b64 v78, v[66:67], v[68:69] offset1:67
	ds_write2_b64 v78, v[107:108], v[109:110] offset0:134 offset1:201
	s_waitcnt lgkmcnt(0)
	s_barrier
	ds_read2_b64 v[107:110], v79 offset1:1
	ds_read2_b64 v[111:114], v79 offset0:2 offset1:3
	s_waitcnt lgkmcnt(0)
	s_barrier
	global_load_dwordx2 v[68:69], v[70:71], off
	global_load_dwordx2 v[66:67], v[115:116], off
	;; [unrolled: 1-line block ×3, first 2 shown]
	v_add_co_u32_e64 v70, s[8:9], s33, v38
	v_addc_co_u32_e64 v71, s[8:9], v39, v96, s[8:9]
	global_load_dwordx2 v[70:71], v[70:71], off
	v_add_f32_e32 v115, v27, v33
	v_add_f32_e32 v116, v28, v34
	;; [unrolled: 1-line block ×10, first 2 shown]
	ds_read_b64 v[99:100], v77
	ds_read_b128 v[31:34], v76 offset:384
	ds_read_b128 v[27:30], v76 offset:400
	v_add_f32_e32 v101, 0, v107
	v_add_f32_e32 v102, 0, v108
	;; [unrolled: 1-line block ×8, first 2 shown]
	s_waitcnt vmcnt(3) lgkmcnt(2)
	v_mul_f32_e32 v101, v100, v69
	v_mul_f32_e32 v102, v100, v68
	s_waitcnt vmcnt(2)
	v_mul_f32_e32 v103, v100, v67
	v_mul_f32_e32 v104, v100, v66
	s_waitcnt vmcnt(1)
	v_mul_f32_e32 v105, v100, v65
	v_mul_f32_e32 v106, v100, v64
	v_fma_f32 v101, v99, v68, -v101
	s_waitcnt vmcnt(0)
	v_mul_f32_e32 v109, v100, v71
	v_mul_f32_e32 v110, v99, v71
	v_fma_f32 v103, v99, v66, -v103
	v_fmac_f32_e32 v102, v99, v69
	v_fmac_f32_e32 v104, v99, v67
	v_fma_f32 v105, v99, v64, -v105
	v_fmac_f32_e32 v106, v99, v65
	v_fma_f32 v109, v99, v70, -v109
	v_fmac_f32_e32 v110, v100, v70
	ds_write2_b64 v78, v[101:102], v[103:104] offset1:67
	ds_write2_b64 v78, v[105:106], v[109:110] offset0:134 offset1:201
	s_waitcnt lgkmcnt(0)
	s_barrier
	ds_read2_b64 v[99:102], v79 offset1:1
	ds_read2_b64 v[103:106], v79 offset0:2 offset1:3
	s_waitcnt lgkmcnt(0)
	s_barrier
	v_add_f32_e32 v99, 0, v99
	v_add_f32_e32 v100, 0, v100
	;; [unrolled: 1-line block ×8, first 2 shown]
	ds_write2_b64 v97, v[115:116], v[117:118] offset1:16
	ds_write2_b64 v97, v[107:108], v[99:100] offset0:32 offset1:48
	s_waitcnt lgkmcnt(0)
	s_barrier
	s_and_saveexec_b64 s[22:23], s[4:5]
	s_cbranch_execz .LBB119_98
; %bb.102:                              ;   in Loop: Header=BB119_99 Depth=1
	ds_read_b64 v[107:108], v80
	ds_read2_b64 v[99:102], v80 offset0:1 offset1:2
	ds_read2_b64 v[103:106], v80 offset0:3 offset1:4
	s_waitcnt lgkmcnt(1)
	v_add_f32_e32 v99, v99, v107
	v_add_f32_e32 v100, v100, v108
	;; [unrolled: 1-line block ×4, first 2 shown]
	ds_read2_b64 v[99:102], v80 offset0:5 offset1:6
	s_waitcnt lgkmcnt(1)
	v_add_f32_e32 v103, v107, v103
	v_add_f32_e32 v104, v108, v104
	;; [unrolled: 1-line block ×4, first 2 shown]
	s_waitcnt lgkmcnt(0)
	v_add_f32_e32 v99, v103, v99
	ds_read2_b64 v[103:106], v80 offset0:7 offset1:8
	v_add_f32_e32 v100, v107, v100
	v_add_f32_e32 v107, v99, v101
	;; [unrolled: 1-line block ×3, first 2 shown]
	ds_read2_b64 v[99:102], v80 offset0:9 offset1:10
	s_waitcnt lgkmcnt(1)
	v_add_f32_e32 v103, v107, v103
	v_add_f32_e32 v104, v108, v104
	;; [unrolled: 1-line block ×4, first 2 shown]
	s_waitcnt lgkmcnt(0)
	v_add_f32_e32 v99, v103, v99
	ds_read2_b64 v[103:106], v80 offset0:11 offset1:12
	v_add_f32_e32 v100, v107, v100
	v_add_f32_e32 v107, v99, v101
	;; [unrolled: 1-line block ×3, first 2 shown]
	ds_read2_b64 v[99:102], v80 offset0:13 offset1:14
	s_waitcnt lgkmcnt(1)
	v_add_f32_e32 v103, v107, v103
	v_add_f32_e32 v104, v108, v104
	;; [unrolled: 1-line block ×4, first 2 shown]
	ds_read_b64 v[103:104], v81
	s_waitcnt lgkmcnt(1)
	v_add_f32_e32 v99, v105, v99
	v_add_f32_e32 v100, v106, v100
	;; [unrolled: 1-line block ×4, first 2 shown]
	v_lshlrev_b64 v[101:102], 3, v[0:1]
	s_waitcnt lgkmcnt(0)
	v_add_f32_e32 v99, v99, v103
	v_mov_b32_e32 v103, s27
	v_add_co_u32_e64 v101, s[8:9], s7, v101
	v_add_f32_e32 v100, v100, v104
	v_addc_co_u32_e64 v102, s[8:9], v103, v102, s[8:9]
	global_store_dwordx2 v[101:102], v[99:100], off
	s_branch .LBB119_98
.LBB119_103:
	s_movk_i32 s2, 0x218
	v_mad_u32_u24 v0, v2, s2, v72
	s_nor_b64 s[0:1], s[0:1], vcc
	ds_write_b64 v0, v[36:37]
	s_waitcnt lgkmcnt(0)
	s_barrier
	s_and_saveexec_b64 s[2:3], s[0:1]
	s_cbranch_execz .LBB119_105
; %bb.104:
	ds_read2_b64 v[0:3], v72 offset1:67
	ds_read2_b64 v[4:7], v72 offset0:134 offset1:201
	v_ashrrev_i32_e32 v36, 31, v35
	s_waitcnt lgkmcnt(1)
	v_add_f32_e32 v0, v2, v0
	v_add_f32_e32 v1, v3, v1
	v_lshlrev_b64 v[2:3], 3, v[35:36]
	s_waitcnt lgkmcnt(0)
	v_add_f32_e32 v0, v4, v0
	v_add_f32_e32 v1, v5, v1
	v_mov_b32_e32 v4, s27
	v_add_co_u32_e32 v2, vcc, s7, v2
	v_add_f32_e32 v0, v0, v6
	v_add_f32_e32 v1, v1, v7
	v_addc_co_u32_e32 v3, vcc, v4, v3, vcc
	global_store_dwordx2 v[2:3], v[0:1], off
.LBB119_105:
	s_endpgm
	.section	.rodata,"a",@progbits
	.p2align	6, 0x0
	.amdhsa_kernel _ZL26rocblas_hemvn_kernel_lowerILb0ELi64ELi4ELi33ELi32ELi16EiPK19rocblas_complex_numIfES3_PS1_EviT6_lT7_lT5_lS6_lS7_lS5_lT8_i
		.amdhsa_group_segment_fixed_size 9600
		.amdhsa_private_segment_fixed_size 0
		.amdhsa_kernarg_size 376
		.amdhsa_user_sgpr_count 6
		.amdhsa_user_sgpr_private_segment_buffer 1
		.amdhsa_user_sgpr_dispatch_ptr 0
		.amdhsa_user_sgpr_queue_ptr 0
		.amdhsa_user_sgpr_kernarg_segment_ptr 1
		.amdhsa_user_sgpr_dispatch_id 0
		.amdhsa_user_sgpr_flat_scratch_init 0
		.amdhsa_user_sgpr_private_segment_size 0
		.amdhsa_uses_dynamic_stack 0
		.amdhsa_system_sgpr_private_segment_wavefront_offset 0
		.amdhsa_system_sgpr_workgroup_id_x 1
		.amdhsa_system_sgpr_workgroup_id_y 0
		.amdhsa_system_sgpr_workgroup_id_z 1
		.amdhsa_system_sgpr_workgroup_info 0
		.amdhsa_system_vgpr_workitem_id 1
		.amdhsa_next_free_vgpr 119
		.amdhsa_next_free_sgpr 93
		.amdhsa_reserve_vcc 1
		.amdhsa_reserve_flat_scratch 0
		.amdhsa_float_round_mode_32 0
		.amdhsa_float_round_mode_16_64 0
		.amdhsa_float_denorm_mode_32 3
		.amdhsa_float_denorm_mode_16_64 3
		.amdhsa_dx10_clamp 1
		.amdhsa_ieee_mode 1
		.amdhsa_fp16_overflow 0
		.amdhsa_exception_fp_ieee_invalid_op 0
		.amdhsa_exception_fp_denorm_src 0
		.amdhsa_exception_fp_ieee_div_zero 0
		.amdhsa_exception_fp_ieee_overflow 0
		.amdhsa_exception_fp_ieee_underflow 0
		.amdhsa_exception_fp_ieee_inexact 0
		.amdhsa_exception_int_div_zero 0
	.end_amdhsa_kernel
	.section	.text._ZL26rocblas_hemvn_kernel_lowerILb0ELi64ELi4ELi33ELi32ELi16EiPK19rocblas_complex_numIfES3_PS1_EviT6_lT7_lT5_lS6_lS7_lS5_lT8_i,"axG",@progbits,_ZL26rocblas_hemvn_kernel_lowerILb0ELi64ELi4ELi33ELi32ELi16EiPK19rocblas_complex_numIfES3_PS1_EviT6_lT7_lT5_lS6_lS7_lS5_lT8_i,comdat
.Lfunc_end119:
	.size	_ZL26rocblas_hemvn_kernel_lowerILb0ELi64ELi4ELi33ELi32ELi16EiPK19rocblas_complex_numIfES3_PS1_EviT6_lT7_lT5_lS6_lS7_lS5_lT8_i, .Lfunc_end119-_ZL26rocblas_hemvn_kernel_lowerILb0ELi64ELi4ELi33ELi32ELi16EiPK19rocblas_complex_numIfES3_PS1_EviT6_lT7_lT5_lS6_lS7_lS5_lT8_i
                                        ; -- End function
	.set _ZL26rocblas_hemvn_kernel_lowerILb0ELi64ELi4ELi33ELi32ELi16EiPK19rocblas_complex_numIfES3_PS1_EviT6_lT7_lT5_lS6_lS7_lS5_lT8_i.num_vgpr, 119
	.set _ZL26rocblas_hemvn_kernel_lowerILb0ELi64ELi4ELi33ELi32ELi16EiPK19rocblas_complex_numIfES3_PS1_EviT6_lT7_lT5_lS6_lS7_lS5_lT8_i.num_agpr, 0
	.set _ZL26rocblas_hemvn_kernel_lowerILb0ELi64ELi4ELi33ELi32ELi16EiPK19rocblas_complex_numIfES3_PS1_EviT6_lT7_lT5_lS6_lS7_lS5_lT8_i.numbered_sgpr, 46
	.set _ZL26rocblas_hemvn_kernel_lowerILb0ELi64ELi4ELi33ELi32ELi16EiPK19rocblas_complex_numIfES3_PS1_EviT6_lT7_lT5_lS6_lS7_lS5_lT8_i.num_named_barrier, 0
	.set _ZL26rocblas_hemvn_kernel_lowerILb0ELi64ELi4ELi33ELi32ELi16EiPK19rocblas_complex_numIfES3_PS1_EviT6_lT7_lT5_lS6_lS7_lS5_lT8_i.private_seg_size, 0
	.set _ZL26rocblas_hemvn_kernel_lowerILb0ELi64ELi4ELi33ELi32ELi16EiPK19rocblas_complex_numIfES3_PS1_EviT6_lT7_lT5_lS6_lS7_lS5_lT8_i.uses_vcc, 1
	.set _ZL26rocblas_hemvn_kernel_lowerILb0ELi64ELi4ELi33ELi32ELi16EiPK19rocblas_complex_numIfES3_PS1_EviT6_lT7_lT5_lS6_lS7_lS5_lT8_i.uses_flat_scratch, 0
	.set _ZL26rocblas_hemvn_kernel_lowerILb0ELi64ELi4ELi33ELi32ELi16EiPK19rocblas_complex_numIfES3_PS1_EviT6_lT7_lT5_lS6_lS7_lS5_lT8_i.has_dyn_sized_stack, 0
	.set _ZL26rocblas_hemvn_kernel_lowerILb0ELi64ELi4ELi33ELi32ELi16EiPK19rocblas_complex_numIfES3_PS1_EviT6_lT7_lT5_lS6_lS7_lS5_lT8_i.has_recursion, 0
	.set _ZL26rocblas_hemvn_kernel_lowerILb0ELi64ELi4ELi33ELi32ELi16EiPK19rocblas_complex_numIfES3_PS1_EviT6_lT7_lT5_lS6_lS7_lS5_lT8_i.has_indirect_call, 0
	.section	.AMDGPU.csdata,"",@progbits
; Kernel info:
; codeLenInByte = 7552
; TotalNumSgprs: 50
; NumVgprs: 119
; ScratchSize: 0
; MemoryBound: 1
; FloatMode: 240
; IeeeMode: 1
; LDSByteSize: 9600 bytes/workgroup (compile time only)
; SGPRBlocks: 12
; VGPRBlocks: 29
; NumSGPRsForWavesPerEU: 97
; NumVGPRsForWavesPerEU: 119
; Occupancy: 2
; WaveLimiterHint : 1
; COMPUTE_PGM_RSRC2:SCRATCH_EN: 0
; COMPUTE_PGM_RSRC2:USER_SGPR: 6
; COMPUTE_PGM_RSRC2:TRAP_HANDLER: 0
; COMPUTE_PGM_RSRC2:TGID_X_EN: 1
; COMPUTE_PGM_RSRC2:TGID_Y_EN: 0
; COMPUTE_PGM_RSRC2:TGID_Z_EN: 1
; COMPUTE_PGM_RSRC2:TIDIG_COMP_CNT: 1
	.section	.text._ZL26rocblas_hemvn_kernel_lowerILb0ELi64ELi4ELi33ELi32ELi16El19rocblas_complex_numIfEPKS1_PS1_EviT6_lT7_lT5_lS6_lS7_lS5_lT8_i,"axG",@progbits,_ZL26rocblas_hemvn_kernel_lowerILb0ELi64ELi4ELi33ELi32ELi16El19rocblas_complex_numIfEPKS1_PS1_EviT6_lT7_lT5_lS6_lS7_lS5_lT8_i,comdat
	.globl	_ZL26rocblas_hemvn_kernel_lowerILb0ELi64ELi4ELi33ELi32ELi16El19rocblas_complex_numIfEPKS1_PS1_EviT6_lT7_lT5_lS6_lS7_lS5_lT8_i ; -- Begin function _ZL26rocblas_hemvn_kernel_lowerILb0ELi64ELi4ELi33ELi32ELi16El19rocblas_complex_numIfEPKS1_PS1_EviT6_lT7_lT5_lS6_lS7_lS5_lT8_i
	.p2align	8
	.type	_ZL26rocblas_hemvn_kernel_lowerILb0ELi64ELi4ELi33ELi32ELi16El19rocblas_complex_numIfEPKS1_PS1_EviT6_lT7_lT5_lS6_lS7_lS5_lT8_i,@function
_ZL26rocblas_hemvn_kernel_lowerILb0ELi64ELi4ELi33ELi32ELi16El19rocblas_complex_numIfEPKS1_PS1_EviT6_lT7_lT5_lS6_lS7_lS5_lT8_i: ; @_ZL26rocblas_hemvn_kernel_lowerILb0ELi64ELi4ELi33ELi32ELi16El19rocblas_complex_numIfEPKS1_PS1_EviT6_lT7_lT5_lS6_lS7_lS5_lT8_i
; %bb.0:
	s_load_dwordx2 s[2:3], s[4:5], 0x84
	s_add_u32 s0, s4, 0x78
	s_addc_u32 s1, s5, 0
	s_waitcnt lgkmcnt(0)
	s_lshr_b32 s8, s2, 16
	s_and_b32 s2, s2, 0xffff
	s_and_b32 s3, s3, 0xffff
	s_mul_i32 s2, s8, s2
	s_mul_i32 s2, s2, s3
	s_cmpk_lg_i32 s2, 0x100
	s_cbranch_scc1 .LBB120_105
; %bb.1:
	s_load_dwordx2 s[2:3], s[4:5], 0x4
	s_mov_b64 s[8:9], -1
	s_waitcnt lgkmcnt(0)
	s_or_b32 s2, s2, s3
	s_bitset0_b32 s2, 31
	s_cmp_lg_u32 s2, 0
	s_cselect_b64 s[2:3], -1, 0
	s_and_b64 vcc, exec, s[2:3]
	s_cbranch_vccnz .LBB120_3
; %bb.2:
	s_load_dwordx2 s[8:9], s[4:5], 0x58
	s_waitcnt lgkmcnt(0)
	v_cmp_neq_f32_e64 s[10:11], s8, 1.0
	v_cmp_neq_f32_e64 s[8:9], s9, 0
	s_or_b64 s[8:9], s[10:11], s[8:9]
.LBB120_3:
	s_andn2_b64 vcc, exec, s[8:9]
	s_cbranch_vccnz .LBB120_105
; %bb.4:
	s_andn2_b64 vcc, exec, s[2:3]
	s_cbranch_vccnz .LBB120_105
; %bb.5:
	s_load_dwordx16 s[36:51], s[4:5], 0x18
	s_load_dword s52, s[0:1], 0x0
	s_load_dword s33, s[4:5], 0x0
	s_waitcnt lgkmcnt(0)
	s_mul_i32 s1, s51, s7
	s_mul_hi_u32 s2, s50, s7
	s_mul_i32 s0, s50, s7
	s_add_i32 s1, s2, s1
	s_lshl_b64 s[0:1], s[0:1], 3
	s_add_u32 s2, s44, s0
	s_addc_u32 s3, s45, s1
	s_lshl_b64 s[0:1], s[46:47], 3
	s_add_u32 s2, s2, s0
	s_addc_u32 s3, s3, s1
	s_lshl_b32 s26, s6, 6
	s_ashr_i32 s44, s33, 31
	s_lshr_b32 s0, s44, 26
	v_add_u32_e32 v34, s26, v0
	s_add_i32 s0, s33, s0
	v_ashrrev_i32_e32 v35, 31, v34
	s_and_b32 s9, s0, 0xffffffc0
	v_mul_lo_u32 v4, s48, v35
	v_mul_lo_u32 v5, s49, v34
	v_mad_u64_u32 v[2:3], s[0:1], s48, v34, 0
	s_add_i32 s8, s52, -1
	s_sub_i32 s0, s33, s9
	v_add3_u32 v3, v3, v4, v5
	v_lshlrev_b64 v[2:3], 3, v[2:3]
	s_cmp_eq_u32 s6, s8
	v_mov_b32_e32 v4, s3
	v_add_co_u32_e32 v18, vcc, s2, v2
	s_cselect_b32 s24, s0, 0
	v_addc_co_u32_e32 v19, vcc, v4, v3, vcc
	v_cmp_ne_u32_e64 s[0:1], 0, v1
	v_cmp_eq_u32_e64 s[2:3], 0, v1
	s_and_saveexec_b64 s[8:9], s[2:3]
	s_cbranch_execz .LBB120_10
; %bb.6:
	s_cmp_lg_u32 s24, 0
	s_cselect_b64 s[10:11], -1, 0
	v_cmp_le_i32_e32 vcc, s24, v0
	v_mov_b32_e32 v2, 0x2380
	s_and_b64 s[10:11], s[10:11], vcc
	v_lshl_add_u32 v2, v0, 3, v2
	s_and_saveexec_b64 s[12:13], s[10:11]
	s_xor_b64 s[10:11], exec, s[12:13]
; %bb.7:
	v_mov_b32_e32 v3, 0
	v_mov_b32_e32 v4, v3
	ds_write_b64 v2, v[3:4]
                                        ; implicit-def: $vgpr2
; %bb.8:
	s_andn2_saveexec_b64 s[10:11], s[10:11]
	s_cbranch_execz .LBB120_10
; %bb.9:
	global_load_dwordx2 v[3:4], v[18:19], off
	s_waitcnt vmcnt(0)
	ds_write_b64 v2, v[3:4]
.LBB120_10:
	s_or_b64 exec, exec, s[8:9]
	v_lshl_add_u32 v24, v1, 6, v0
	s_mul_i32 s8, s43, s7
	s_mul_hi_u32 s9, s42, s7
	v_and_b32_e32 v2, 31, v0
	v_lshrrev_b32_e32 v7, 5, v24
	s_add_i32 s9, s9, s8
	s_mul_i32 s8, s42, s7
	v_mov_b32_e32 v3, 0
	s_lshl_b64 s[8:9], s[8:9], 3
	v_mad_u64_u32 v[3:4], s[10:11], s40, v7, v[2:3]
	s_add_u32 s12, s36, s8
	s_addc_u32 s13, s37, s9
	s_lshl_b64 s[8:9], s[38:39], 3
	s_add_u32 s10, s12, s8
	s_addc_u32 s11, s13, s9
	v_mad_u64_u32 v[4:5], s[8:9], s41, v7, v[4:5]
	s_ashr_i32 s27, s26, 31
	s_lshl_b64 s[8:9], s[26:27], 3
	s_add_u32 s8, s10, s8
	v_lshlrev_b64 v[20:21], 3, v[3:4]
	s_addc_u32 s9, s11, s9
	v_mov_b32_e32 v3, s9
	v_add_co_u32_e32 v4, vcc, s8, v20
	s_mul_hi_u32 s8, s40, s26
	s_mul_i32 s9, s40, s27
	s_add_i32 s8, s8, s9
	s_mul_i32 s9, s41, s26
	s_add_i32 s9, s8, s9
	s_mul_i32 s8, s40, s26
	v_addc_co_u32_e32 v5, vcc, v3, v21, vcc
	s_lshl_b64 s[28:29], s[8:9], 3
	v_mov_b32_e32 v6, s29
	v_add_co_u32_e32 v3, vcc, s28, v4
	s_cmp_lg_u32 s24, 0
	v_addc_co_u32_e32 v4, vcc, v5, v6, vcc
	s_cselect_b64 s[30:31], -1, 0
	s_cmp_eq_u32 s24, 0
	s_cselect_b64 s[18:19], -1, 0
	s_mov_b64 s[8:9], -1
	s_and_b64 vcc, exec, s[30:31]
	s_cbranch_vccnz .LBB120_12
; %bb.11:
	s_lshl_b64 s[8:9], s[40:41], 6
	v_mov_b32_e32 v11, s9
	v_add_co_u32_e32 v5, vcc, s8, v3
	v_addc_co_u32_e32 v6, vcc, v4, v11, vcc
	v_add_co_u32_e32 v8, vcc, s8, v5
	v_addc_co_u32_e32 v9, vcc, v6, v11, vcc
	;; [unrolled: 2-line block ×3, first 2 shown]
	global_load_dwordx2 v[12:13], v[3:4], off
	global_load_dwordx2 v[14:15], v[5:6], off
	;; [unrolled: 1-line block ×4, first 2 shown]
	v_mul_u32_u24_e32 v5, 0x108, v7
	v_lshl_add_u32 v5, v2, 3, v5
	s_mov_b64 s[8:9], 0
	s_waitcnt vmcnt(3)
	ds_write_b64 v5, v[12:13]
	s_waitcnt vmcnt(2)
	ds_write_b64 v5, v[14:15] offset:2112
	s_waitcnt vmcnt(1)
	ds_write_b64 v5, v[16:17] offset:4224
	;; [unrolled: 2-line block ×3, first 2 shown]
.LBB120_12:
	s_andn2_b64 vcc, exec, s[8:9]
	v_lshlrev_b32_e32 v8, 3, v2
	s_cbranch_vccnz .LBB120_30
; %bb.13:
	v_lshlrev_b32_e32 v9, 3, v2
	v_sub_co_u32_e32 v5, vcc, v3, v9
	s_ashr_i32 s25, s24, 31
	v_subbrev_co_u32_e32 v6, vcc, 0, v4, vcc
	s_lshl_b64 s[10:11], s[24:25], 3
	v_mov_b32_e32 v10, s11
	v_add_co_u32_e32 v5, vcc, s10, v5
	v_addc_co_u32_e32 v6, vcc, v6, v10, vcc
	v_add_co_u32_e32 v5, vcc, -8, v5
	v_addc_co_u32_e32 v6, vcc, -1, v6, vcc
	v_cmp_gt_i32_e32 vcc, s24, v2
	v_cndmask_b32_e32 v6, v6, v4, vcc
	v_cndmask_b32_e32 v5, v5, v3, vcc
	v_cmp_le_i32_e64 s[8:9], s24, v7
	v_mul_u32_u24_e32 v10, 0x108, v7
	s_and_saveexec_b64 s[12:13], s[8:9]
	s_xor_b64 s[8:9], exec, s[12:13]
; %bb.14:
	v_mov_b32_e32 v11, 0
	v_add_u32_e32 v13, v8, v10
	v_mov_b32_e32 v12, v11
	ds_write_b64 v13, v[11:12]
; %bb.15:
	s_andn2_saveexec_b64 s[8:9], s[8:9]
	s_cbranch_execz .LBB120_17
; %bb.16:
	global_load_dwordx2 v[11:12], v[5:6], off
	v_add_u32_e32 v13, v8, v10
	s_waitcnt vmcnt(0)
	ds_write_b64 v13, v[11:12]
.LBB120_17:
	s_or_b64 exec, exec, s[8:9]
	v_add_u32_e32 v11, 8, v7
	v_cmp_le_i32_e64 s[8:9], s24, v11
	s_and_saveexec_b64 s[12:13], s[8:9]
	s_xor_b64 s[8:9], exec, s[12:13]
; %bb.18:
	v_mov_b32_e32 v11, 0
	v_add_u32_e32 v13, v10, v8
	v_mov_b32_e32 v12, v11
	ds_write_b64 v13, v[11:12] offset:2112
; %bb.19:
	s_andn2_saveexec_b64 s[12:13], s[8:9]
	s_cbranch_execz .LBB120_21
; %bb.20:
	s_lshl_b64 s[8:9], s[40:41], 6
	v_mov_b32_e32 v12, s9
	v_add_co_u32_e64 v11, s[8:9], s8, v5
	v_addc_co_u32_e64 v12, s[8:9], v6, v12, s[8:9]
	global_load_dwordx2 v[11:12], v[11:12], off
	v_add_u32_e32 v13, v10, v8
	s_waitcnt vmcnt(0)
	ds_write_b64 v13, v[11:12] offset:2112
.LBB120_21:
	s_or_b64 exec, exec, s[12:13]
	v_add_u32_e32 v11, 16, v7
	v_cmp_le_i32_e64 s[8:9], s24, v11
	s_and_saveexec_b64 s[12:13], s[8:9]
	s_xor_b64 s[8:9], exec, s[12:13]
; %bb.22:
	v_mov_b32_e32 v11, 0
	v_add_u32_e32 v13, v10, v8
	v_mov_b32_e32 v12, v11
	ds_write_b64 v13, v[11:12] offset:4224
; %bb.23:
	s_andn2_saveexec_b64 s[12:13], s[8:9]
	s_cbranch_execz .LBB120_25
; %bb.24:
	s_lshl_b64 s[8:9], s[40:41], 7
	v_mov_b32_e32 v12, s9
	v_add_co_u32_e64 v11, s[8:9], s8, v5
	v_addc_co_u32_e64 v12, s[8:9], v6, v12, s[8:9]
	global_load_dwordx2 v[11:12], v[11:12], off
	v_add_u32_e32 v13, v10, v8
	s_waitcnt vmcnt(0)
	ds_write_b64 v13, v[11:12] offset:4224
.LBB120_25:
	s_or_b64 exec, exec, s[12:13]
	v_add_u32_e32 v11, 24, v7
	v_cmp_le_i32_e64 s[8:9], s24, v11
	s_and_saveexec_b64 s[12:13], s[8:9]
	s_xor_b64 s[8:9], exec, s[12:13]
; %bb.26:
	v_add_u32_e32 v12, v10, v8
	v_mov_b32_e32 v10, 0
	v_mov_b32_e32 v11, v10
	ds_write_b64 v12, v[10:11] offset:6336
                                        ; implicit-def: $vgpr10
; %bb.27:
	s_andn2_saveexec_b64 s[8:9], s[8:9]
	s_cbranch_execz .LBB120_29
; %bb.28:
	v_mov_b32_e32 v11, 0xc0
	v_mad_u64_u32 v[11:12], s[12:13], s40, v11, v[5:6]
	s_mul_i32 s12, s41, 0xc0
	v_add_u32_e32 v10, v10, v8
	v_add_u32_e32 v12, s12, v12
	global_load_dwordx2 v[11:12], v[11:12], off
	s_waitcnt vmcnt(0)
	ds_write_b64 v10, v[11:12] offset:6336
.LBB120_29:
	s_or_b64 exec, exec, s[8:9]
	v_add_co_u32_e64 v5, s[8:9], v5, v9
	v_addc_co_u32_e64 v6, s[8:9], 0, v6, s[8:9]
	v_mov_b32_e32 v9, s11
	v_subrev_co_u32_e64 v5, s[8:9], s10, v5
	v_subb_co_u32_e64 v6, s[8:9], v6, v9, s[8:9]
	v_add_co_u32_e64 v5, s[8:9], 8, v5
	v_addc_co_u32_e64 v6, s[8:9], 0, v6, s[8:9]
	v_cndmask_b32_e32 v4, v6, v4, vcc
	v_cndmask_b32_e32 v3, v5, v3, vcc
.LBB120_30:
	v_lshlrev_b32_e32 v5, 2, v7
	v_lshl_or_b32 v9, v2, 8, v8
	v_cmp_lt_u32_e64 s[8:9], v5, v2
	s_waitcnt lgkmcnt(0)
	s_barrier
	s_and_saveexec_b64 s[10:11], s[8:9]
	s_cbranch_execz .LBB120_32
; %bb.31:
	s_movk_i32 s12, 0x420
	v_mad_u32_u24 v6, v7, s12, v8
	ds_read_b64 v[10:11], v6
	v_lshl_add_u32 v6, v5, 3, v9
	s_waitcnt lgkmcnt(0)
	ds_write_b64 v6, v[10:11]
.LBB120_32:
	s_or_b64 exec, exec, s[10:11]
	v_or_b32_e32 v6, 1, v5
	v_cmp_lt_u32_e64 s[10:11], v6, v2
	s_and_saveexec_b64 s[12:13], s[10:11]
	s_cbranch_execz .LBB120_34
; %bb.33:
	s_movk_i32 s14, 0x108
	v_mad_u32_u24 v10, v6, s14, v8
	ds_read_b64 v[10:11], v10
	v_lshl_add_u32 v12, v5, 3, v9
	s_waitcnt lgkmcnt(0)
	ds_write_b64 v12, v[10:11] offset:8
.LBB120_34:
	s_or_b64 exec, exec, s[12:13]
	v_or_b32_e32 v10, 2, v5
	v_cmp_lt_u32_e64 s[12:13], v10, v2
	s_and_saveexec_b64 s[14:15], s[12:13]
	s_cbranch_execz .LBB120_36
; %bb.35:
	s_movk_i32 s16, 0x108
	v_mad_u32_u24 v10, v10, s16, v8
	ds_read_b64 v[10:11], v10
	v_lshl_add_u32 v12, v5, 3, v9
	s_waitcnt lgkmcnt(0)
	ds_write_b64 v12, v[10:11] offset:16
.LBB120_36:
	s_or_b64 exec, exec, s[14:15]
	v_or_b32_e32 v11, 3, v5
	v_cmp_lt_u32_e64 s[14:15], v11, v2
	v_cmp_ge_u32_e32 vcc, v11, v2
                                        ; implicit-def: $vgpr10
	s_and_saveexec_b64 s[16:17], vcc
	s_xor_b64 s[16:17], exec, s[16:17]
; %bb.37:
	v_mul_u32_u24_e32 v10, 0x108, v11
                                        ; implicit-def: $vgpr9
                                        ; implicit-def: $vgpr11
; %bb.38:
	s_andn2_saveexec_b64 s[16:17], s[16:17]
	s_cbranch_execz .LBB120_40
; %bb.39:
	s_movk_i32 s20, 0x108
	v_mad_u32_u24 v10, v11, s20, v8
	ds_read_b64 v[12:13], v10
	v_lshl_add_u32 v9, v5, 3, v9
	v_mul_u32_u24_e32 v10, 0x108, v11
	s_waitcnt lgkmcnt(0)
	ds_write_b64 v9, v[12:13] offset:24
.LBB120_40:
	s_or_b64 exec, exec, s[16:17]
	s_movk_i32 s16, 0x420
	v_mad_u32_u24 v9, v7, s16, v8
	s_waitcnt lgkmcnt(0)
	s_barrier
	v_lshlrev_b32_e32 v12, 3, v5
	ds_read_b64 v[22:23], v9
	ds_read_b128 v[13:16], v12 offset:9088
	ds_read_b128 v[25:28], v12 offset:9104
	s_movk_i32 s16, 0x108
	v_mov_b32_e32 v36, 0
	v_cmp_gt_u32_e64 s[20:21], 32, v24
	s_waitcnt lgkmcnt(1)
	v_mul_f32_e32 v9, v14, v23
	v_fma_f32 v9, v13, v22, -v9
	v_mul_f32_e32 v11, v13, v23
	v_mad_u32_u24 v13, v6, s16, v8
	ds_read2_b64 v[29:32], v13 offset1:33
	v_fmac_f32_e32 v11, v14, v22
	v_add_f32_e32 v11, 0, v11
	v_add_f32_e32 v9, 0, v9
	v_mov_b32_e32 v37, 0
	s_waitcnt lgkmcnt(0)
	v_mul_f32_e32 v14, v15, v30
	v_mul_f32_e32 v13, v16, v30
	v_fmac_f32_e32 v14, v16, v29
	v_fma_f32 v13, v15, v29, -v13
	v_add_f32_e32 v14, v11, v14
	v_add_u32_e32 v11, v8, v10
	v_add_f32_e32 v13, v9, v13
	ds_read_b64 v[9:10], v11
	v_mul_f32_e32 v15, v26, v32
	v_fma_f32 v15, v25, v31, -v15
	v_add_f32_e32 v13, v13, v15
	v_mul_f32_e32 v16, v25, v32
	s_waitcnt lgkmcnt(0)
	v_mul_f32_e32 v15, v28, v10
	v_fma_f32 v15, v27, v9, -v15
	v_mul_f32_e32 v10, v27, v10
	v_fmac_f32_e32 v16, v26, v31
	v_fmac_f32_e32 v10, v28, v9
	v_add_f32_e32 v9, v13, v15
	v_mul_u32_u24_e32 v13, 33, v2
	v_add_f32_e32 v14, v14, v16
	v_lshlrev_b32_e32 v25, 3, v13
	v_add_f32_e32 v10, v14, v10
	v_lshl_add_u32 v26, v7, 3, v25
	s_barrier
	ds_write_b64 v26, v[9:10]
	s_waitcnt lgkmcnt(0)
	s_barrier
	s_and_saveexec_b64 s[16:17], s[20:21]
	s_cbranch_execz .LBB120_42
; %bb.41:
	ds_read2_b64 v[13:16], v25 offset1:7
	ds_read2_b64 v[27:30], v25 offset0:1 offset1:2
	ds_read2_b64 v[36:39], v25 offset0:3 offset1:4
	s_waitcnt lgkmcnt(1)
	v_add_f32_e32 v9, v27, v13
	v_add_f32_e32 v10, v28, v14
	v_add_f32_e32 v9, v29, v9
	v_add_f32_e32 v10, v30, v10
	ds_read2_b64 v[27:30], v25 offset0:5 offset1:6
	s_waitcnt lgkmcnt(1)
	v_add_f32_e32 v9, v9, v36
	v_add_f32_e32 v10, v10, v37
	;; [unrolled: 1-line block ×4, first 2 shown]
	s_waitcnt lgkmcnt(0)
	v_add_f32_e32 v9, v9, v27
	v_add_f32_e32 v10, v10, v28
	;; [unrolled: 1-line block ×6, first 2 shown]
.LBB120_42:
	s_or_b64 exec, exec, s[16:17]
	s_lshl_b64 s[22:23], s[40:41], 8
	v_mov_b32_e32 v9, s23
	v_add_co_u32_e32 v3, vcc, s22, v3
	v_addc_co_u32_e32 v4, vcc, v4, v9, vcc
	v_add_co_u32_e32 v9, vcc, 0x100, v3
	v_addc_co_u32_e32 v10, vcc, 0, v4, vcc
	v_cndmask_b32_e64 v13, 0, 1, s[18:19]
	v_cmp_ne_u32_e64 s[16:17], 1, v13
	s_andn2_b64 vcc, exec, s[18:19]
	s_mov_b64 s[18:19], -1
	s_barrier
	s_cbranch_vccnz .LBB120_44
; %bb.43:
	s_lshl_b64 s[18:19], s[40:41], 6
	v_mov_b32_e32 v17, s19
	v_add_co_u32_e32 v13, vcc, s18, v3
	v_addc_co_u32_e32 v14, vcc, v4, v17, vcc
	v_add_co_u32_e32 v15, vcc, s18, v13
	v_addc_co_u32_e32 v16, vcc, v14, v17, vcc
	;; [unrolled: 2-line block ×3, first 2 shown]
	global_load_dwordx2 v[27:28], v[3:4], off offset:256
	global_load_dwordx2 v[29:30], v[13:14], off offset:256
	;; [unrolled: 1-line block ×4, first 2 shown]
	s_movk_i32 s18, 0x108
	v_mad_u32_u24 v13, v7, s18, v8
	s_mov_b64 s[18:19], 0
	s_waitcnt vmcnt(3)
	ds_write_b64 v13, v[27:28]
	s_waitcnt vmcnt(2)
	ds_write_b64 v13, v[29:30] offset:2112
	s_waitcnt vmcnt(1)
	ds_write_b64 v13, v[31:32] offset:4224
	;; [unrolled: 2-line block ×3, first 2 shown]
.LBB120_44:
	s_andn2_b64 vcc, exec, s[18:19]
	s_cbranch_vccnz .LBB120_62
; %bb.45:
	v_lshlrev_b32_e32 v13, 3, v2
	v_sub_co_u32_e32 v3, vcc, v3, v13
	s_ashr_i32 s25, s24, 31
	v_subbrev_co_u32_e32 v4, vcc, 0, v4, vcc
	s_lshl_b64 s[34:35], s[24:25], 3
	v_mov_b32_e32 v15, s35
	v_add_co_u32_e32 v3, vcc, s34, v3
	v_addc_co_u32_e32 v4, vcc, v4, v15, vcc
	v_or_b32_e32 v14, 32, v2
	v_add_co_u32_e32 v3, vcc, -8, v3
	v_addc_co_u32_e32 v4, vcc, -1, v4, vcc
	v_cmp_gt_i32_e64 s[18:19], s24, v14
	s_sub_i32 s25, s24, 32
	v_cndmask_b32_e64 v4, v4, v10, s[18:19]
	v_cndmask_b32_e64 v3, v3, v9, s[18:19]
	v_cmp_le_i32_e32 vcc, s25, v7
	v_mul_u32_u24_e32 v14, 0x108, v7
	s_and_saveexec_b64 s[36:37], vcc
	s_xor_b64 s[36:37], exec, s[36:37]
; %bb.46:
	v_mov_b32_e32 v15, 0
	v_add_u32_e32 v17, v8, v14
	v_mov_b32_e32 v16, v15
	ds_write_b64 v17, v[15:16]
; %bb.47:
	s_andn2_saveexec_b64 s[36:37], s[36:37]
	s_cbranch_execz .LBB120_49
; %bb.48:
	global_load_dwordx2 v[15:16], v[3:4], off
	v_add_u32_e32 v17, v8, v14
	s_waitcnt vmcnt(0)
	ds_write_b64 v17, v[15:16]
.LBB120_49:
	s_or_b64 exec, exec, s[36:37]
	v_add_u32_e32 v15, 8, v7
	v_cmp_le_i32_e32 vcc, s25, v15
	s_and_saveexec_b64 s[36:37], vcc
	s_xor_b64 s[36:37], exec, s[36:37]
; %bb.50:
	v_mov_b32_e32 v15, 0
	v_add_u32_e32 v17, v14, v8
	v_mov_b32_e32 v16, v15
	ds_write_b64 v17, v[15:16] offset:2112
; %bb.51:
	s_andn2_saveexec_b64 s[36:37], s[36:37]
	s_cbranch_execz .LBB120_53
; %bb.52:
	s_lshl_b64 s[38:39], s[40:41], 6
	v_mov_b32_e32 v16, s39
	v_add_co_u32_e32 v15, vcc, s38, v3
	v_addc_co_u32_e32 v16, vcc, v4, v16, vcc
	global_load_dwordx2 v[15:16], v[15:16], off
	v_add_u32_e32 v17, v14, v8
	s_waitcnt vmcnt(0)
	ds_write_b64 v17, v[15:16] offset:2112
.LBB120_53:
	s_or_b64 exec, exec, s[36:37]
	v_add_u32_e32 v15, 16, v7
	v_cmp_le_i32_e32 vcc, s25, v15
	s_and_saveexec_b64 s[36:37], vcc
	s_xor_b64 s[36:37], exec, s[36:37]
; %bb.54:
	v_mov_b32_e32 v15, 0
	v_add_u32_e32 v17, v14, v8
	v_mov_b32_e32 v16, v15
	ds_write_b64 v17, v[15:16] offset:4224
; %bb.55:
	s_andn2_saveexec_b64 s[36:37], s[36:37]
	s_cbranch_execz .LBB120_57
; %bb.56:
	s_lshl_b64 s[38:39], s[40:41], 7
	v_mov_b32_e32 v16, s39
	v_add_co_u32_e32 v15, vcc, s38, v3
	v_addc_co_u32_e32 v16, vcc, v4, v16, vcc
	global_load_dwordx2 v[15:16], v[15:16], off
	v_add_u32_e32 v17, v14, v8
	s_waitcnt vmcnt(0)
	ds_write_b64 v17, v[15:16] offset:4224
.LBB120_57:
	s_or_b64 exec, exec, s[36:37]
	v_add_u32_e32 v15, 24, v7
	v_cmp_le_i32_e32 vcc, s25, v15
	s_and_saveexec_b64 s[36:37], vcc
	s_xor_b64 s[36:37], exec, s[36:37]
; %bb.58:
	v_add_u32_e32 v16, v14, v8
	v_mov_b32_e32 v14, 0
	v_mov_b32_e32 v15, v14
	ds_write_b64 v16, v[14:15] offset:6336
                                        ; implicit-def: $vgpr14
; %bb.59:
	s_andn2_saveexec_b64 s[36:37], s[36:37]
	s_cbranch_execz .LBB120_61
; %bb.60:
	v_mov_b32_e32 v15, 0xc0
	v_mad_u64_u32 v[15:16], s[38:39], s40, v15, v[3:4]
	s_mul_i32 s25, s41, 0xc0
	v_add_u32_e32 v14, v14, v8
	v_add_u32_e32 v16, s25, v16
	global_load_dwordx2 v[15:16], v[15:16], off
	s_waitcnt vmcnt(0)
	ds_write_b64 v14, v[15:16] offset:6336
.LBB120_61:
	s_or_b64 exec, exec, s[36:37]
	v_add_co_u32_e32 v3, vcc, v3, v13
	v_addc_co_u32_e32 v4, vcc, 0, v4, vcc
	v_mov_b32_e32 v13, s35
	v_subrev_co_u32_e32 v3, vcc, s34, v3
	v_subb_co_u32_e32 v4, vcc, v4, v13, vcc
	v_add_co_u32_e32 v3, vcc, 0x108, v3
	v_addc_co_u32_e32 v4, vcc, 0, v4, vcc
	v_cndmask_b32_e64 v10, v4, v10, s[18:19]
	v_cndmask_b32_e64 v9, v3, v9, s[18:19]
.LBB120_62:
	v_mul_u32_u24_e32 v13, 0x420, v7
	v_add_u32_e32 v4, 0x2380, v12
	v_mul_u32_u24_e32 v3, 0x108, v6
	s_lshl_b64 s[18:19], s[40:41], 5
	v_add_u32_e32 v6, v8, v13
	s_waitcnt lgkmcnt(0)
	s_barrier
	s_and_saveexec_b64 s[34:35], s[8:9]
	s_cbranch_execnz .LBB120_71
; %bb.63:
	s_or_b64 exec, exec, s[34:35]
	v_add_u32_e32 v3, v8, v3
	s_and_saveexec_b64 s[8:9], s[10:11]
	s_cbranch_execnz .LBB120_72
.LBB120_64:
	s_or_b64 exec, exec, s[8:9]
	s_and_saveexec_b64 s[8:9], s[12:13]
	s_cbranch_execnz .LBB120_73
.LBB120_65:
	s_or_b64 exec, exec, s[8:9]
	s_and_saveexec_b64 s[8:9], s[14:15]
	s_cbranch_execz .LBB120_67
.LBB120_66:
	ds_read_b64 v[12:13], v11
	v_lshl_add_u32 v14, v5, 3, v25
	s_waitcnt lgkmcnt(0)
	ds_write_b64 v14, v[12:13] offset:24
.LBB120_67:
	s_or_b64 exec, exec, s[8:9]
	s_waitcnt lgkmcnt(0)
	s_barrier
	ds_read_b64 v[16:17], v6
	ds_read_b128 v[12:15], v4 offset:256
	ds_read_b128 v[27:30], v4 offset:272
	ds_read_b64 v[22:23], v11
	ds_read2_b64 v[38:41], v3 offset1:33
	v_cmp_eq_u32_e64 s[8:9], 1, v7
	s_waitcnt lgkmcnt(3)
	v_mul_f32_e32 v6, v13, v17
	v_mul_f32_e32 v3, v12, v17
	v_fma_f32 v6, v12, v16, -v6
	v_fmac_f32_e32 v3, v13, v16
	s_waitcnt lgkmcnt(0)
	v_mul_f32_e32 v11, v15, v39
	v_mul_f32_e32 v12, v14, v39
	v_add_f32_e32 v6, 0, v6
	v_add_f32_e32 v3, 0, v3
	v_fma_f32 v11, v14, v38, -v11
	v_fmac_f32_e32 v12, v15, v38
	v_add_f32_e32 v6, v6, v11
	v_add_f32_e32 v3, v3, v12
	v_mul_f32_e32 v11, v28, v41
	v_mul_f32_e32 v12, v27, v41
	v_fma_f32 v11, v27, v40, -v11
	v_fmac_f32_e32 v12, v28, v40
	v_add_f32_e32 v6, v6, v11
	v_add_f32_e32 v3, v3, v12
	v_mul_f32_e32 v11, v30, v23
	v_mul_f32_e32 v12, v29, v23
	v_fma_f32 v11, v29, v22, -v11
	v_fmac_f32_e32 v12, v30, v22
	v_add_f32_e32 v11, v6, v11
	v_add_f32_e32 v12, v3, v12
	s_barrier
	ds_write_b64 v26, v[11:12]
	s_waitcnt lgkmcnt(0)
	s_barrier
	s_and_saveexec_b64 s[10:11], s[8:9]
	s_cbranch_execz .LBB120_69
; %bb.68:
	ds_read2_b64 v[11:14], v25 offset1:7
	ds_read2_b64 v[27:30], v25 offset0:1 offset1:2
	ds_read2_b64 v[36:39], v25 offset0:3 offset1:4
	s_waitcnt lgkmcnt(1)
	v_add_f32_e32 v3, v27, v11
	v_add_f32_e32 v6, v28, v12
	;; [unrolled: 1-line block ×4, first 2 shown]
	ds_read2_b64 v[27:30], v25 offset0:5 offset1:6
	s_waitcnt lgkmcnt(1)
	v_add_f32_e32 v3, v3, v36
	v_add_f32_e32 v6, v6, v37
	;; [unrolled: 1-line block ×4, first 2 shown]
	s_waitcnt lgkmcnt(0)
	v_add_f32_e32 v3, v3, v27
	v_add_f32_e32 v6, v6, v28
	;; [unrolled: 1-line block ×6, first 2 shown]
.LBB120_69:
	s_or_b64 exec, exec, s[10:11]
	s_lshl_b64 s[10:11], s[18:19], 3
	v_mov_b32_e32 v3, s11
	v_subrev_co_u32_e64 v22, s[10:11], s10, v9
	s_and_b64 vcc, exec, s[16:17]
	v_subb_co_u32_e64 v23, s[10:11], v10, v3, s[10:11]
	s_barrier
	s_cbranch_vccnz .LBB120_74
; %bb.70:
	s_lshl_b64 s[10:11], s[40:41], 6
	v_mov_b32_e32 v3, s11
	v_add_co_u32_e32 v9, vcc, s10, v22
	v_addc_co_u32_e32 v10, vcc, v23, v3, vcc
	v_add_co_u32_e32 v11, vcc, s10, v9
	v_addc_co_u32_e32 v12, vcc, v10, v3, vcc
	;; [unrolled: 2-line block ×3, first 2 shown]
	global_load_dwordx2 v[15:16], v[22:23], off
	global_load_dwordx2 v[27:28], v[9:10], off
	global_load_dwordx2 v[29:30], v[11:12], off
	global_load_dwordx2 v[31:32], v[13:14], off
	s_movk_i32 s10, 0x108
	v_mov_b32_e32 v3, 0x840
	v_mov_b32_e32 v13, 0x1080
	;; [unrolled: 1-line block ×3, first 2 shown]
	v_mul_u32_u24_e32 v6, 0x108, v7
	v_add_u32_e32 v9, 8, v7
	v_add_u32_e32 v10, 16, v7
	v_add_u32_e32 v12, 24, v7
	v_mad_u32_u24 v17, v7, s10, v8
	v_mad_u32_u24 v11, v7, s10, v3
	;; [unrolled: 1-line block ×4, first 2 shown]
	v_add_u32_e32 v14, v8, v11
	v_add_u32_e32 v33, v8, v3
	;; [unrolled: 1-line block ×3, first 2 shown]
	s_waitcnt vmcnt(3)
	ds_write_b64 v17, v[15:16]
	s_waitcnt vmcnt(2)
	ds_write_b64 v14, v[27:28]
	;; [unrolled: 2-line block ×4, first 2 shown]
	s_cbranch_execz .LBB120_75
	s_branch .LBB120_92
.LBB120_71:
	ds_read_b64 v[12:13], v6
	v_lshl_add_u32 v14, v5, 3, v25
	s_waitcnt lgkmcnt(0)
	ds_write_b64 v14, v[12:13]
	s_or_b64 exec, exec, s[34:35]
	v_add_u32_e32 v3, v8, v3
	s_and_saveexec_b64 s[8:9], s[10:11]
	s_cbranch_execz .LBB120_64
.LBB120_72:
	ds_read_b64 v[12:13], v3
	v_lshl_add_u32 v14, v5, 3, v25
	s_waitcnt lgkmcnt(0)
	ds_write_b64 v14, v[12:13] offset:8
	s_or_b64 exec, exec, s[8:9]
	s_and_saveexec_b64 s[8:9], s[12:13]
	s_cbranch_execz .LBB120_65
.LBB120_73:
	ds_read_b64 v[12:13], v3 offset:264
	v_lshl_add_u32 v14, v5, 3, v25
	s_waitcnt lgkmcnt(0)
	ds_write_b64 v14, v[12:13] offset:16
	s_or_b64 exec, exec, s[8:9]
	s_and_saveexec_b64 s[8:9], s[14:15]
	s_cbranch_execnz .LBB120_66
	s_branch .LBB120_67
.LBB120_74:
                                        ; implicit-def: $vgpr6
                                        ; implicit-def: $vgpr9
                                        ; implicit-def: $vgpr11
                                        ; implicit-def: $vgpr10
                                        ; implicit-def: $vgpr3
                                        ; implicit-def: $vgpr12
                                        ; implicit-def: $vgpr13
.LBB120_75:
	v_lshlrev_b32_e32 v11, 3, v2
	v_or_b32_e32 v3, 32, v2
	v_sub_co_u32_e32 v2, vcc, v22, v11
	s_ashr_i32 s25, s24, 31
	v_subbrev_co_u32_e32 v6, vcc, 0, v23, vcc
	s_lshl_b64 s[12:13], s[24:25], 3
	v_mov_b32_e32 v9, s13
	v_add_co_u32_e32 v2, vcc, s12, v2
	v_addc_co_u32_e32 v6, vcc, v6, v9, vcc
	v_add_co_u32_e32 v2, vcc, 0xfffffef8, v2
	v_addc_co_u32_e32 v6, vcc, -1, v6, vcc
	v_cmp_gt_i32_e64 s[10:11], s24, v3
	v_cndmask_b32_e64 v3, v6, v23, s[10:11]
	v_cndmask_b32_e64 v2, v2, v22, s[10:11]
	v_cmp_le_i32_e32 vcc, s24, v7
	v_mul_u32_u24_e32 v6, 0x108, v7
	s_and_saveexec_b64 s[14:15], vcc
	s_xor_b64 s[14:15], exec, s[14:15]
; %bb.76:
	v_mov_b32_e32 v9, 0
	v_add_u32_e32 v12, v8, v6
	v_mov_b32_e32 v10, v9
	ds_write_b64 v12, v[9:10]
; %bb.77:
	s_andn2_saveexec_b64 s[14:15], s[14:15]
	s_cbranch_execz .LBB120_79
; %bb.78:
	global_load_dwordx2 v[9:10], v[2:3], off
	v_add_u32_e32 v12, v8, v6
	s_waitcnt vmcnt(0)
	ds_write_b64 v12, v[9:10]
.LBB120_79:
	s_or_b64 exec, exec, s[14:15]
	v_add_u32_e32 v9, 8, v7
	v_cmp_le_i32_e32 vcc, s24, v9
	s_and_saveexec_b64 s[14:15], vcc
	s_xor_b64 s[14:15], exec, s[14:15]
; %bb.80:
	v_mov_b32_e32 v12, 0
	v_add_u32_e32 v10, v6, v8
	v_mov_b32_e32 v13, v12
	ds_write_b64 v10, v[12:13] offset:2112
; %bb.81:
	s_andn2_saveexec_b64 s[14:15], s[14:15]
	s_cbranch_execz .LBB120_83
; %bb.82:
	s_lshl_b64 s[16:17], s[40:41], 6
	v_mov_b32_e32 v10, s17
	v_add_co_u32_e32 v12, vcc, s16, v2
	v_addc_co_u32_e32 v13, vcc, v3, v10, vcc
	global_load_dwordx2 v[12:13], v[12:13], off
	v_add_u32_e32 v10, v6, v8
	s_waitcnt vmcnt(0)
	ds_write_b64 v10, v[12:13] offset:2112
.LBB120_83:
	s_or_b64 exec, exec, s[14:15]
	v_add_u32_e32 v10, 16, v7
	v_cmp_le_i32_e32 vcc, s24, v10
	s_and_saveexec_b64 s[14:15], vcc
	s_xor_b64 s[14:15], exec, s[14:15]
; %bb.84:
	v_mov_b32_e32 v12, 0
	v_add_u32_e32 v14, v6, v8
	v_mov_b32_e32 v13, v12
	ds_write_b64 v14, v[12:13] offset:4224
; %bb.85:
	s_andn2_saveexec_b64 s[14:15], s[14:15]
	s_cbranch_execz .LBB120_87
; %bb.86:
	s_lshl_b64 s[16:17], s[40:41], 7
	v_mov_b32_e32 v13, s17
	v_add_co_u32_e32 v12, vcc, s16, v2
	v_addc_co_u32_e32 v13, vcc, v3, v13, vcc
	global_load_dwordx2 v[12:13], v[12:13], off
	v_add_u32_e32 v14, v6, v8
	s_waitcnt vmcnt(0)
	ds_write_b64 v14, v[12:13] offset:4224
.LBB120_87:
	s_or_b64 exec, exec, s[14:15]
	v_add_u32_e32 v12, 24, v7
	v_cmp_le_i32_e32 vcc, s24, v12
                                        ; implicit-def: $vgpr13
	s_and_saveexec_b64 s[14:15], vcc
	s_xor_b64 s[14:15], exec, s[14:15]
; %bb.88:
	v_add_u32_e32 v13, 0x18c0, v6
	v_mov_b32_e32 v14, 0
	v_add_u32_e32 v16, v8, v13
	v_mov_b32_e32 v15, v14
	ds_write_b64 v16, v[14:15]
; %bb.89:
	s_andn2_saveexec_b64 s[14:15], s[14:15]
	s_cbranch_execz .LBB120_91
; %bb.90:
	v_mov_b32_e32 v13, 0xc0
	v_mad_u64_u32 v[13:14], s[16:17], s40, v13, v[2:3]
	s_mul_i32 s16, s41, 0xc0
	v_add_u32_e32 v14, s16, v14
	global_load_dwordx2 v[14:15], v[13:14], off
	v_add_u32_e32 v13, 0x18c0, v6
	v_add_u32_e32 v16, v8, v13
	s_waitcnt vmcnt(0)
	ds_write_b64 v16, v[14:15]
.LBB120_91:
	s_or_b64 exec, exec, s[14:15]
	v_add_co_u32_e32 v2, vcc, v2, v11
	v_addc_co_u32_e32 v3, vcc, 0, v3, vcc
	v_mov_b32_e32 v11, s13
	v_subrev_co_u32_e32 v2, vcc, s12, v2
	v_subb_co_u32_e32 v3, vcc, v3, v11, vcc
	v_add_co_u32_e32 v2, vcc, 0x108, v2
	v_addc_co_u32_e32 v3, vcc, 0, v3, vcc
	v_cndmask_b32_e64 v23, v3, v23, s[10:11]
	v_cndmask_b32_e64 v22, v2, v22, s[10:11]
	v_add_u32_e32 v11, 0x840, v6
	v_add_u32_e32 v3, 0x1080, v6
.LBB120_92:
	v_add_u32_e32 v2, v8, v6
	v_lshlrev_b32_e32 v14, 3, v7
	s_waitcnt lgkmcnt(0)
	s_barrier
	ds_read_b64 v[6:7], v2
	ds_read_b64 v[14:15], v14 offset:9088
	v_add_u32_e32 v2, v8, v11
	v_lshlrev_b32_e32 v9, 3, v9
	ds_read_b64 v[27:28], v2
	ds_read_b64 v[29:30], v9 offset:9088
	v_add_u32_e32 v3, v8, v3
	v_lshlrev_b32_e32 v10, 3, v10
	;; [unrolled: 4-line block ×3, first 2 shown]
	ds_read2_b32 v[40:41], v3 offset1:1
	ds_read_b64 v[42:43], v8 offset:9088
	s_waitcnt lgkmcnt(6)
	v_mul_f32_e32 v2, v15, v7
	v_fma_f32 v2, v14, v6, -v2
	s_waitcnt lgkmcnt(4)
	v_mul_f32_e32 v9, v30, v28
	v_add_f32_e32 v2, 0, v2
	v_fma_f32 v9, v29, v27, -v9
	s_waitcnt lgkmcnt(2)
	v_mul_f32_e32 v3, v39, v32
	v_add_f32_e32 v2, v2, v9
	v_fma_f32 v3, v38, v31, -v3
	v_mul_f32_e32 v33, v14, v7
	v_add_f32_e32 v2, v2, v3
	s_waitcnt lgkmcnt(0)
	v_mul_f32_e32 v3, v43, v41
	v_fmac_f32_e32 v33, v15, v6
	v_mul_f32_e32 v28, v29, v28
	v_fma_f32 v3, v42, v40, -v3
	v_lshl_add_u32 v8, v5, 3, v25
	v_add_f32_e32 v33, 0, v33
	v_fmac_f32_e32 v28, v30, v27
	v_add_f32_e32 v44, v2, v3
	ds_read_b128 v[10:13], v4 offset:256
	ds_read_b128 v[2:5], v4 offset:272
	ds_read2_b64 v[14:17], v8 offset1:1
	ds_read2_b64 v[6:9], v8 offset0:2 offset1:3
	v_add_f32_e32 v27, v33, v28
	v_mul_f32_e32 v28, v38, v32
	v_fmac_f32_e32 v28, v39, v31
	v_add_f32_e32 v27, v27, v28
	v_mul_f32_e32 v28, v42, v41
	v_fmac_f32_e32 v28, v43, v40
	v_add_f32_e32 v45, v27, v28
	s_waitcnt lgkmcnt(0)
	s_barrier
	ds_write_b64 v26, v[44:45]
	s_waitcnt lgkmcnt(0)
	s_barrier
	s_and_saveexec_b64 s[10:11], s[8:9]
	s_cbranch_execz .LBB120_94
; %bb.93:
	ds_read2_b64 v[27:30], v25 offset1:1
	ds_read2_b64 v[38:41], v25 offset0:2 offset1:3
	ds_read2_b64 v[42:45], v25 offset0:4 offset1:5
	s_waitcnt lgkmcnt(2)
	v_add_f32_e32 v27, v36, v27
	v_add_f32_e32 v28, v37, v28
	;; [unrolled: 1-line block ×4, first 2 shown]
	s_waitcnt lgkmcnt(1)
	v_add_f32_e32 v27, v27, v38
	v_add_f32_e32 v28, v28, v39
	;; [unrolled: 1-line block ×4, first 2 shown]
	ds_read2_b64 v[27:30], v25 offset0:6 offset1:7
	s_waitcnt lgkmcnt(1)
	v_add_f32_e32 v31, v31, v42
	v_add_f32_e32 v32, v32, v43
	v_add_f32_e32 v31, v31, v44
	v_add_f32_e32 v32, v32, v45
	s_waitcnt lgkmcnt(0)
	v_add_f32_e32 v27, v31, v27
	v_add_f32_e32 v28, v32, v28
	;; [unrolled: 1-line block ×4, first 2 shown]
.LBB120_94:
	s_or_b64 exec, exec, s[10:11]
	v_mul_f32_e32 v27, v11, v15
	v_fma_f32 v27, v10, v14, -v27
	v_mul_f32_e32 v10, v10, v15
	v_fmac_f32_e32 v10, v11, v14
	v_mul_f32_e32 v14, v13, v17
	v_fma_f32 v14, v12, v16, -v14
	v_mul_f32_e32 v12, v12, v17
	v_add_f32_e32 v10, 0, v10
	v_fmac_f32_e32 v12, v13, v16
	v_add_f32_e32 v10, v10, v12
	v_mul_f32_e32 v12, v3, v7
	v_fma_f32 v12, v2, v6, -v12
	v_mul_f32_e32 v2, v2, v7
	v_fmac_f32_e32 v2, v3, v6
	v_add_f32_e32 v11, 0, v27
	v_add_f32_e32 v6, v10, v2
	v_mul_f32_e32 v2, v5, v9
	v_add_f32_e32 v11, v11, v14
	v_fma_f32 v2, v4, v8, -v2
	v_mul_f32_e32 v4, v4, v9
	v_add_f32_e32 v3, v11, v12
	v_fmac_f32_e32 v4, v5, v8
	v_add_f32_e32 v2, v3, v2
	v_add_f32_e32 v3, v6, v4
	s_barrier
	ds_write_b64 v26, v[2:3]
	s_waitcnt lgkmcnt(0)
	s_barrier
	s_and_saveexec_b64 s[8:9], s[20:21]
	s_cbranch_execz .LBB120_96
; %bb.95:
	ds_read2_b64 v[2:5], v25 offset1:1
	ds_read2_b64 v[6:9], v25 offset0:2 offset1:3
	ds_read2_b64 v[10:13], v25 offset0:4 offset1:5
	s_waitcnt lgkmcnt(2)
	v_add_f32_e32 v2, v36, v2
	v_add_f32_e32 v3, v37, v3
	v_add_f32_e32 v2, v2, v4
	v_add_f32_e32 v3, v3, v5
	s_waitcnt lgkmcnt(1)
	v_add_f32_e32 v2, v2, v6
	v_add_f32_e32 v3, v3, v7
	;; [unrolled: 1-line block ×4, first 2 shown]
	ds_read2_b64 v[2:5], v25 offset0:6 offset1:7
	s_waitcnt lgkmcnt(1)
	v_add_f32_e32 v6, v6, v10
	v_add_f32_e32 v7, v7, v11
	;; [unrolled: 1-line block ×4, first 2 shown]
	s_waitcnt lgkmcnt(0)
	v_add_f32_e32 v2, v6, v2
	v_add_f32_e32 v3, v7, v3
	v_add_f32_e32 v36, v2, v4
	v_add_f32_e32 v37, v3, v5
.LBB120_96:
	s_or_b64 exec, exec, s[8:9]
	s_load_dwordx2 s[4:5], s[4:5], 0x68
	s_mul_hi_u32 s8, s33, s7
	s_mul_i32 s44, s44, s7
	s_add_i32 s8, s8, s44
	s_mul_i32 s7, s33, s7
	s_mul_i32 s8, s8, s52
	s_mul_hi_u32 s9, s7, s52
	s_add_i32 s9, s9, s8
	s_mul_i32 s8, s7, s52
	s_lshl_b64 s[8:9], s[8:9], 3
	s_waitcnt lgkmcnt(0)
	s_add_u32 s7, s4, s8
	s_mul_i32 s4, s33, s6
	s_addc_u32 s8, s5, s9
	s_ashr_i32 s5, s4, 31
	s_lshl_b64 s[4:5], s[4:5], 3
	s_add_u32 s7, s7, s4
	v_cmp_le_i32_e32 vcc, s24, v0
	s_addc_u32 s20, s8, s5
	s_and_b64 vcc, s[30:31], vcc
	s_cmp_lt_i32 s6, 1
	v_lshlrev_b32_e32 v74, 3, v0
	s_barrier
	s_cbranch_scc1 .LBB120_103
; %bb.97:
	s_mul_i32 s4, s48, s27
	s_mul_hi_u32 s5, s48, s26
	s_add_i32 s4, s5, s4
	s_mul_i32 s5, s49, s26
	s_add_i32 s5, s4, s5
	s_mul_i32 s4, s48, s26
	s_lshl_b64 s[4:5], s[4:5], 3
	v_mov_b32_e32 v2, s5
	v_subrev_co_u32_e64 v75, s[4:5], s4, v18
	v_lshlrev_b32_e32 v7, 2, v1
	v_subb_co_u32_e64 v76, s[4:5], v19, v2, s[4:5]
	v_mad_u64_u32 v[2:3], s[4:5], s40, v7, 0
	v_mov_b32_e32 v4, s29
	v_subrev_co_u32_e64 v8, s[4:5], s28, v22
	v_subb_co_u32_e64 v9, s[4:5], v23, v4, s[4:5]
	v_mad_u64_u32 v[3:4], s[4:5], s41, v7, v[3:4]
	v_sub_co_u32_e64 v4, s[4:5], v8, v20
	v_lshlrev_b64 v[2:3], 3, v[2:3]
	v_subb_co_u32_e64 v7, s[4:5], v9, v21, s[4:5]
	v_add_co_u32_e64 v2, s[4:5], v4, v2
	v_addc_co_u32_e64 v3, s[4:5], v7, v3, s[4:5]
	s_ashr_i32 s25, s24, 31
	s_lshl_b64 s[4:5], s[24:25], 3
	v_mov_b32_e32 v4, s5
	v_add_co_u32_e64 v7, s[4:5], s4, v2
	v_addc_co_u32_e64 v4, s[4:5], v3, v4, s[4:5]
	s_movk_i32 s4, 0xfef8
	v_add_co_u32_e64 v7, s[4:5], s4, v7
	v_addc_co_u32_e64 v4, s[4:5], -1, v4, s[4:5]
	v_add_co_u32_e64 v2, s[4:5], v2, v74
	v_addc_co_u32_e64 v3, s[4:5], 0, v3, s[4:5]
	s_movk_i32 s4, 0xff00
	v_add_co_u32_e64 v2, s[4:5], s4, v2
	v_addc_co_u32_e64 v3, s[4:5], -1, v3, s[4:5]
	v_cndmask_b32_e32 v41, v3, v4, vcc
	v_and_b32_e32 v3, 48, v0
	v_lshrrev_b32_e32 v5, 4, v24
	v_and_b32_e32 v6, 15, v0
	v_cndmask_b32_e32 v40, v2, v7, vcc
	v_mov_b32_e32 v2, 0x2180
	s_movk_i32 s8, 0x218
	v_lshlrev_b32_e32 v3, 3, v3
	v_lshl_add_u32 v78, v1, 5, v2
	v_lshlrev_b32_e32 v2, 5, v5
	v_mad_u32_u24 v82, v6, s8, v3
	v_or_b32_e32 v3, 0x78, v74
	v_mad_u32_u24 v81, v6, s8, v2
	v_mad_u32_u24 v83, v6, s8, v3
	s_mul_i32 s8, s41, 24
	s_mul_hi_u32 s9, s40, 24
	s_add_i32 s8, s9, s8
	s_mul_i32 s9, s41, 0x90
	s_mul_hi_u32 s16, s40, 0x90
	s_add_i32 s9, s16, s9
	;; [unrolled: 3-line block ×10, first 2 shown]
	s_mul_i32 s16, s41, 0x88
	s_mul_hi_u32 s17, s40, 0x88
	s_movk_i32 s4, 0x860
	v_mul_i32_i24_e32 v2, 0xffffffe8, v5
	s_lshl_b64 s[10:11], s[40:41], 3
	s_lshl_b64 s[12:13], s[40:41], 9
	s_lshl_b64 s[14:15], s[40:41], 4
	s_add_i32 s44, s17, s16
	s_lshl_b64 s[16:17], s[40:41], 7
	v_mov_b32_e32 v39, 0
	v_add_u32_e32 v77, 0x2180, v74
	v_add_u32_e32 v79, 0x2380, v74
	v_mad_u32_u24 v80, v1, s4, v74
	v_cmp_gt_u32_e64 s[4:5], 64, v24
	s_mul_i32 s21, s40, 24
	s_mul_i32 s24, s40, 0x90
	;; [unrolled: 1-line block ×11, first 2 shown]
	s_mov_b32 s35, 0
	v_mov_b32_e32 v84, s11
	v_mov_b32_e32 v85, s15
	;; [unrolled: 1-line block ×15, first 2 shown]
	v_add_u32_e32 v99, v81, v2
	v_mov_b32_e32 v100, s13
	s_branch .LBB120_99
.LBB120_98:                             ;   in Loop: Header=BB120_99 Depth=1
	s_or_b64 exec, exec, s[18:19]
	v_mul_f32_e32 v38, v7, v43
	v_fma_f32 v38, v6, v42, -v38
	v_add_f32_e32 v36, v36, v38
	v_mul_f32_e32 v38, v9, v45
	v_mul_f32_e32 v7, v7, v42
	v_fma_f32 v38, v8, v44, -v38
	v_mul_f32_e32 v9, v9, v44
	v_add_f32_e32 v36, v36, v38
	v_mul_f32_e32 v38, v3, v47
	v_fmac_f32_e32 v7, v6, v43
	v_fma_f32 v38, v2, v46, -v38
	v_mul_f32_e32 v3, v3, v46
	v_add_f32_e32 v6, v37, v7
	v_fmac_f32_e32 v9, v8, v45
	v_add_f32_e32 v36, v36, v38
	v_mul_f32_e32 v38, v5, v49
	v_mul_f32_e32 v5, v5, v48
	v_add_f32_e32 v6, v6, v9
	v_fmac_f32_e32 v3, v2, v47
	v_fma_f32 v38, v4, v48, -v38
	v_add_f32_e32 v2, v6, v3
	v_fmac_f32_e32 v5, v4, v49
	v_mul_f32_e32 v3, v15, v55
	v_add_f32_e32 v36, v36, v38
	v_add_f32_e32 v2, v2, v5
	v_fma_f32 v3, v14, v54, -v3
	v_mul_f32_e32 v5, v17, v53
	v_add_f32_e32 v3, v36, v3
	v_fma_f32 v5, v16, v52, -v5
	v_add_f32_e32 v3, v3, v5
	v_mul_f32_e32 v5, v11, v51
	v_mul_f32_e32 v4, v15, v54
	v_fma_f32 v5, v10, v50, -v5
	v_add_f32_e32 v3, v3, v5
	v_mul_f32_e32 v5, v13, v57
	v_fmac_f32_e32 v4, v14, v55
	v_fma_f32 v5, v12, v56, -v5
	v_add_f32_e32 v2, v2, v4
	v_mul_f32_e32 v4, v23, v63
	v_add_f32_e32 v3, v3, v5
	v_fma_f32 v4, v22, v62, -v4
	v_add_f32_e32 v3, v3, v4
	v_mul_f32_e32 v4, v25, v59
	v_fma_f32 v4, v24, v58, -v4
	v_mul_f32_e32 v6, v17, v52
	v_add_f32_e32 v3, v3, v4
	v_mul_f32_e32 v4, v19, v61
	v_mul_f32_e32 v7, v11, v50
	v_fmac_f32_e32 v6, v16, v53
	v_fma_f32 v4, v18, v60, -v4
	v_mul_f32_e32 v8, v13, v56
	v_add_f32_e32 v2, v2, v6
	v_fmac_f32_e32 v7, v10, v51
	v_add_f32_e32 v3, v3, v4
	v_mul_f32_e32 v4, v21, v65
	v_add_f32_e32 v2, v2, v7
	v_fmac_f32_e32 v8, v12, v57
	v_mul_f32_e32 v5, v23, v62
	v_fma_f32 v4, v20, v64, -v4
	v_add_f32_e32 v2, v2, v8
	v_mul_f32_e32 v6, v25, v58
	v_add_f32_e32 v3, v3, v4
	v_fmac_f32_e32 v5, v22, v63
	v_mul_f32_e32 v4, v31, v71
	v_mul_f32_e32 v7, v19, v60
	v_add_f32_e32 v2, v2, v5
	v_fmac_f32_e32 v6, v24, v59
	v_fma_f32 v4, v30, v70, -v4
	v_mul_f32_e32 v8, v21, v64
	v_add_f32_e32 v2, v2, v6
	v_fmac_f32_e32 v7, v18, v61
	v_add_f32_e32 v3, v3, v4
	v_mul_f32_e32 v4, v33, v69
	v_add_f32_e32 v2, v2, v7
	v_fmac_f32_e32 v8, v20, v65
	v_mul_f32_e32 v5, v31, v70
	v_fma_f32 v4, v32, v68, -v4
	v_add_f32_e32 v2, v2, v8
	v_mul_f32_e32 v6, v33, v68
	v_add_f32_e32 v3, v3, v4
	v_mul_f32_e32 v4, v27, v67
	v_fmac_f32_e32 v5, v30, v71
	v_fma_f32 v4, v26, v66, -v4
	v_mul_f32_e32 v7, v27, v66
	v_fmac_f32_e32 v6, v32, v69
	v_add_f32_e32 v2, v2, v5
	v_add_f32_e32 v3, v3, v4
	v_mul_f32_e32 v4, v29, v73
	v_mul_f32_e32 v8, v29, v72
	v_fmac_f32_e32 v7, v26, v67
	v_add_f32_e32 v2, v2, v6
	v_fma_f32 v4, v28, v72, -v4
	v_fmac_f32_e32 v8, v28, v73
	v_add_f32_e32 v2, v2, v7
	s_add_i32 s35, s35, 64
	s_add_i32 s6, s6, -1
	v_add_co_u32_e64 v40, s[8:9], s12, v40
	v_add_f32_e32 v36, v3, v4
	v_add_f32_e32 v37, v2, v8
	s_cmp_eq_u32 s6, 0
	v_addc_co_u32_e64 v41, s[8:9], v41, v100, s[8:9]
	s_waitcnt vmcnt(0)
	s_barrier
	s_cbranch_scc1 .LBB120_103
.LBB120_99:                             ; =>This Inner Loop Header: Depth=1
	s_and_saveexec_b64 s[18:19], s[2:3]
	s_cbranch_execz .LBB120_101
; %bb.100:                              ;   in Loop: Header=BB120_99 Depth=1
	s_mul_i32 s8, s49, s35
	s_mul_hi_u32 s9, s48, s35
	s_add_i32 s9, s9, s8
	s_mul_i32 s8, s48, s35
	s_lshl_b64 s[8:9], s[8:9], 3
	v_mov_b32_e32 v3, s9
	v_add_co_u32_e64 v2, s[8:9], s8, v75
	v_addc_co_u32_e64 v3, s[8:9], v76, v3, s[8:9]
	global_load_dwordx2 v[2:3], v[2:3], off
	s_waitcnt vmcnt(0)
	ds_write_b64 v77, v[2:3]
.LBB120_101:                            ;   in Loop: Header=BB120_99 Depth=1
	s_or_b64 exec, exec, s[18:19]
	v_add_co_u32_e64 v2, s[8:9], s10, v40
	v_addc_co_u32_e64 v3, s[8:9], v41, v84, s[8:9]
	v_add_co_u32_e64 v4, s[8:9], s14, v40
	v_addc_co_u32_e64 v5, s[8:9], v41, v85, s[8:9]
	s_waitcnt lgkmcnt(0)
	s_barrier
	global_load_dwordx2 v[42:43], v[40:41], off
	global_load_dwordx2 v[44:45], v[2:3], off
	;; [unrolled: 1-line block ×3, first 2 shown]
	v_add_co_u32_e64 v2, s[8:9], s21, v40
	v_addc_co_u32_e64 v3, s[8:9], v41, v86, s[8:9]
	global_load_dwordx2 v[48:49], v[2:3], off
	v_add_co_u32_e64 v12, s[8:9], s16, v40
	v_addc_co_u32_e64 v13, s[8:9], v41, v87, s[8:9]
	ds_read_b64 v[10:11], v79
	ds_read_b128 v[6:9], v78
	ds_read_b128 v[2:5], v78 offset:16
	v_add_co_u32_e64 v14, s[8:9], s34, v40
	v_addc_co_u32_e64 v15, s[8:9], v41, v88, s[8:9]
	v_add_co_u32_e64 v16, s[8:9], s24, v40
	v_addc_co_u32_e64 v17, s[8:9], v41, v89, s[8:9]
	s_waitcnt vmcnt(3) lgkmcnt(2)
	v_mul_f32_e32 v18, v11, v43
	v_mul_f32_e32 v19, v11, v42
	s_waitcnt vmcnt(2)
	v_mul_f32_e32 v20, v11, v45
	v_mul_f32_e32 v21, v11, v44
	s_waitcnt vmcnt(1)
	;; [unrolled: 3-line block ×3, first 2 shown]
	v_mul_f32_e32 v24, v11, v49
	v_fma_f32 v18, v10, v42, -v18
	v_fmac_f32_e32 v19, v10, v43
	v_mul_f32_e32 v25, v10, v49
	v_fma_f32 v20, v10, v44, -v20
	v_fmac_f32_e32 v21, v10, v45
	v_fma_f32 v22, v10, v46, -v22
	v_fma_f32 v24, v10, v48, -v24
	v_fmac_f32_e32 v23, v10, v47
	v_add_co_u32_e64 v10, s[8:9], s25, v40
	v_fmac_f32_e32 v25, v11, v48
	ds_write2_b64 v80, v[18:19], v[20:21] offset1:67
	ds_write2_b64 v80, v[22:23], v[24:25] offset0:134 offset1:201
	s_waitcnt lgkmcnt(0)
	s_barrier
	ds_read2_b64 v[26:29], v81 offset1:1
	ds_read2_b64 v[30:33], v81 offset0:2 offset1:3
	s_waitcnt lgkmcnt(0)
	s_barrier
	global_load_dwordx2 v[54:55], v[12:13], off
	global_load_dwordx2 v[52:53], v[14:15], off
	;; [unrolled: 1-line block ×3, first 2 shown]
	v_addc_co_u32_e64 v11, s[8:9], v41, v90, s[8:9]
	global_load_dwordx2 v[56:57], v[10:11], off
	ds_read_b64 v[22:23], v79
	v_add_co_u32_e64 v18, s[8:9], s22, v40
	v_addc_co_u32_e64 v19, s[8:9], v41, v91, s[8:9]
	v_add_co_u32_e64 v20, s[8:9], s33, v40
	v_addc_co_u32_e64 v21, s[8:9], v41, v92, s[8:9]
	;; [unrolled: 2-line block ×3, first 2 shown]
	ds_read_b128 v[14:17], v78 offset:128
	ds_read_b128 v[10:13], v78 offset:144
	v_add_f32_e32 v26, 0, v26
	v_add_f32_e32 v27, 0, v27
	;; [unrolled: 1-line block ×6, first 2 shown]
	s_waitcnt vmcnt(3) lgkmcnt(2)
	v_mul_f32_e32 v38, v23, v55
	v_mul_f32_e32 v59, v23, v54
	s_waitcnt vmcnt(2)
	v_mul_f32_e32 v60, v23, v53
	v_mul_f32_e32 v61, v23, v52
	s_waitcnt vmcnt(1)
	;; [unrolled: 3-line block ×3, first 2 shown]
	v_mul_f32_e32 v64, v23, v57
	v_mul_f32_e32 v65, v22, v57
	v_fma_f32 v58, v22, v54, -v38
	v_fma_f32 v60, v22, v52, -v60
	;; [unrolled: 1-line block ×3, first 2 shown]
	v_fmac_f32_e32 v59, v22, v55
	v_fmac_f32_e32 v61, v22, v53
	;; [unrolled: 1-line block ×3, first 2 shown]
	v_fma_f32 v64, v22, v56, -v64
	v_fmac_f32_e32 v65, v23, v56
	ds_write2_b64 v80, v[58:59], v[60:61] offset1:67
	ds_write2_b64 v80, v[62:63], v[64:65] offset0:134 offset1:201
	s_waitcnt lgkmcnt(0)
	s_barrier
	ds_read2_b64 v[101:104], v81 offset1:1
	ds_read2_b64 v[105:108], v81 offset0:2 offset1:3
	s_waitcnt lgkmcnt(0)
	s_barrier
	global_load_dwordx2 v[62:63], v[18:19], off
	global_load_dwordx2 v[58:59], v[20:21], off
	global_load_dwordx2 v[60:61], v[24:25], off
	v_add_co_u32_e64 v18, s[8:9], s27, v40
	v_addc_co_u32_e64 v19, s[8:9], v41, v94, s[8:9]
	global_load_dwordx2 v[64:65], v[18:19], off
	ds_read_b64 v[66:67], v79
	v_add_co_u32_e64 v72, s[8:9], s31, v40
	v_addc_co_u32_e64 v73, s[8:9], v41, v95, s[8:9]
	v_add_co_u32_e64 v117, s[8:9], s30, v40
	v_addc_co_u32_e64 v118, s[8:9], v41, v96, s[8:9]
	;; [unrolled: 2-line block ×3, first 2 shown]
	ds_read_b128 v[22:25], v78 offset:256
	ds_read_b128 v[18:21], v78 offset:272
	s_waitcnt vmcnt(3) lgkmcnt(2)
	v_mul_f32_e32 v38, v67, v63
	v_mul_f32_e32 v69, v67, v62
	s_waitcnt vmcnt(2)
	v_mul_f32_e32 v70, v67, v59
	v_mul_f32_e32 v71, v67, v58
	s_waitcnt vmcnt(1)
	v_mul_f32_e32 v109, v67, v61
	v_mul_f32_e32 v110, v67, v60
	v_fma_f32 v68, v66, v62, -v38
	s_waitcnt vmcnt(0)
	v_mul_f32_e32 v111, v67, v65
	v_mul_f32_e32 v112, v66, v65
	v_fma_f32 v70, v66, v58, -v70
	v_fmac_f32_e32 v69, v66, v63
	v_fmac_f32_e32 v71, v66, v59
	v_fma_f32 v109, v66, v60, -v109
	v_fma_f32 v111, v66, v64, -v111
	v_fmac_f32_e32 v110, v66, v61
	v_fmac_f32_e32 v112, v67, v64
	ds_write2_b64 v80, v[68:69], v[70:71] offset1:67
	ds_write2_b64 v80, v[109:110], v[111:112] offset0:134 offset1:201
	s_waitcnt lgkmcnt(0)
	s_barrier
	ds_read2_b64 v[109:112], v81 offset1:1
	ds_read2_b64 v[113:116], v81 offset0:2 offset1:3
	s_waitcnt lgkmcnt(0)
	s_barrier
	global_load_dwordx2 v[70:71], v[72:73], off
	global_load_dwordx2 v[68:69], v[117:118], off
	;; [unrolled: 1-line block ×3, first 2 shown]
	v_add_co_u32_e64 v72, s[8:9], s29, v40
	v_addc_co_u32_e64 v73, s[8:9], v41, v98, s[8:9]
	global_load_dwordx2 v[72:73], v[72:73], off
	v_add_f32_e32 v117, v26, v32
	v_add_f32_e32 v118, v27, v33
	;; [unrolled: 1-line block ×10, first 2 shown]
	ds_read_b64 v[101:102], v79
	ds_read_b128 v[30:33], v78 offset:384
	ds_read_b128 v[26:29], v78 offset:400
	v_add_f32_e32 v38, 0, v109
	v_add_f32_e32 v103, 0, v110
	;; [unrolled: 1-line block ×8, first 2 shown]
	s_waitcnt vmcnt(3) lgkmcnt(2)
	v_mul_f32_e32 v38, v102, v71
	v_mul_f32_e32 v104, v102, v70
	s_waitcnt vmcnt(2)
	v_mul_f32_e32 v105, v102, v69
	v_mul_f32_e32 v106, v102, v68
	s_waitcnt vmcnt(1)
	v_mul_f32_e32 v107, v102, v67
	v_mul_f32_e32 v108, v102, v66
	v_fma_f32 v103, v101, v70, -v38
	s_waitcnt vmcnt(0)
	v_mul_f32_e32 v111, v102, v73
	v_mul_f32_e32 v112, v101, v73
	v_fma_f32 v105, v101, v68, -v105
	v_fmac_f32_e32 v104, v101, v71
	v_fmac_f32_e32 v106, v101, v69
	v_fma_f32 v107, v101, v66, -v107
	v_fmac_f32_e32 v108, v101, v67
	v_fma_f32 v111, v101, v72, -v111
	v_fmac_f32_e32 v112, v102, v72
	ds_write2_b64 v80, v[103:104], v[105:106] offset1:67
	ds_write2_b64 v80, v[107:108], v[111:112] offset0:134 offset1:201
	s_waitcnt lgkmcnt(0)
	s_barrier
	ds_read2_b64 v[101:104], v81 offset1:1
	ds_read2_b64 v[105:108], v81 offset0:2 offset1:3
	s_waitcnt lgkmcnt(0)
	s_barrier
	v_add_f32_e32 v38, 0, v101
	v_add_f32_e32 v101, 0, v102
	;; [unrolled: 1-line block ×8, first 2 shown]
	ds_write2_b64 v99, v[117:118], v[119:120] offset1:16
	ds_write2_b64 v99, v[109:110], v[101:102] offset0:32 offset1:48
	s_waitcnt lgkmcnt(0)
	s_barrier
	s_and_saveexec_b64 s[18:19], s[4:5]
	s_cbranch_execz .LBB120_98
; %bb.102:                              ;   in Loop: Header=BB120_99 Depth=1
	ds_read_b64 v[109:110], v82
	ds_read2_b64 v[101:104], v82 offset0:1 offset1:2
	ds_read2_b64 v[105:108], v82 offset0:3 offset1:4
	s_waitcnt lgkmcnt(1)
	v_add_f32_e32 v38, v101, v109
	v_add_f32_e32 v101, v102, v110
	v_add_f32_e32 v38, v103, v38
	v_add_f32_e32 v109, v104, v101
	ds_read2_b64 v[101:104], v82 offset0:5 offset1:6
	s_waitcnt lgkmcnt(1)
	v_add_f32_e32 v38, v38, v105
	v_add_f32_e32 v105, v109, v106
	v_add_f32_e32 v38, v38, v107
	v_add_f32_e32 v109, v105, v108
	;; [unrolled: 6-line block ×6, first 2 shown]
	ds_read_b64 v[105:106], v83
	s_waitcnt lgkmcnt(1)
	v_add_f32_e32 v38, v38, v101
	v_add_f32_e32 v101, v107, v102
	;; [unrolled: 1-line block ×4, first 2 shown]
	s_waitcnt lgkmcnt(0)
	v_add_f32_e32 v101, v38, v105
	v_add_u32_e32 v38, s35, v0
	v_lshlrev_b64 v[103:104], 3, v[38:39]
	v_mov_b32_e32 v38, s20
	v_add_co_u32_e64 v103, s[8:9], s7, v103
	v_add_f32_e32 v102, v102, v106
	v_addc_co_u32_e64 v104, s[8:9], v38, v104, s[8:9]
	global_store_dwordx2 v[103:104], v[101:102], off
	s_branch .LBB120_98
.LBB120_103:
	s_movk_i32 s2, 0x218
	v_mad_u32_u24 v0, v1, s2, v74
	s_nor_b64 s[0:1], s[0:1], vcc
	ds_write_b64 v0, v[36:37]
	s_waitcnt lgkmcnt(0)
	s_barrier
	s_and_saveexec_b64 s[2:3], s[0:1]
	s_cbranch_execz .LBB120_105
; %bb.104:
	ds_read2_b64 v[0:3], v74 offset1:67
	ds_read2_b64 v[4:7], v74 offset0:134 offset1:201
	s_waitcnt lgkmcnt(1)
	v_add_f32_e32 v0, v2, v0
	v_add_f32_e32 v1, v3, v1
	v_lshlrev_b64 v[2:3], 3, v[34:35]
	s_waitcnt lgkmcnt(0)
	v_add_f32_e32 v0, v4, v0
	v_add_f32_e32 v1, v5, v1
	v_mov_b32_e32 v4, s20
	v_add_co_u32_e32 v2, vcc, s7, v2
	v_add_f32_e32 v0, v0, v6
	v_add_f32_e32 v1, v1, v7
	v_addc_co_u32_e32 v3, vcc, v4, v3, vcc
	global_store_dwordx2 v[2:3], v[0:1], off
.LBB120_105:
	s_endpgm
	.section	.rodata,"a",@progbits
	.p2align	6, 0x0
	.amdhsa_kernel _ZL26rocblas_hemvn_kernel_lowerILb0ELi64ELi4ELi33ELi32ELi16El19rocblas_complex_numIfEPKS1_PS1_EviT6_lT7_lT5_lS6_lS7_lS5_lT8_i
		.amdhsa_group_segment_fixed_size 9600
		.amdhsa_private_segment_fixed_size 0
		.amdhsa_kernarg_size 376
		.amdhsa_user_sgpr_count 6
		.amdhsa_user_sgpr_private_segment_buffer 1
		.amdhsa_user_sgpr_dispatch_ptr 0
		.amdhsa_user_sgpr_queue_ptr 0
		.amdhsa_user_sgpr_kernarg_segment_ptr 1
		.amdhsa_user_sgpr_dispatch_id 0
		.amdhsa_user_sgpr_flat_scratch_init 0
		.amdhsa_user_sgpr_private_segment_size 0
		.amdhsa_uses_dynamic_stack 0
		.amdhsa_system_sgpr_private_segment_wavefront_offset 0
		.amdhsa_system_sgpr_workgroup_id_x 1
		.amdhsa_system_sgpr_workgroup_id_y 0
		.amdhsa_system_sgpr_workgroup_id_z 1
		.amdhsa_system_sgpr_workgroup_info 0
		.amdhsa_system_vgpr_workitem_id 1
		.amdhsa_next_free_vgpr 121
		.amdhsa_next_free_sgpr 93
		.amdhsa_reserve_vcc 1
		.amdhsa_reserve_flat_scratch 0
		.amdhsa_float_round_mode_32 0
		.amdhsa_float_round_mode_16_64 0
		.amdhsa_float_denorm_mode_32 3
		.amdhsa_float_denorm_mode_16_64 3
		.amdhsa_dx10_clamp 1
		.amdhsa_ieee_mode 1
		.amdhsa_fp16_overflow 0
		.amdhsa_exception_fp_ieee_invalid_op 0
		.amdhsa_exception_fp_denorm_src 0
		.amdhsa_exception_fp_ieee_div_zero 0
		.amdhsa_exception_fp_ieee_overflow 0
		.amdhsa_exception_fp_ieee_underflow 0
		.amdhsa_exception_fp_ieee_inexact 0
		.amdhsa_exception_int_div_zero 0
	.end_amdhsa_kernel
	.section	.text._ZL26rocblas_hemvn_kernel_lowerILb0ELi64ELi4ELi33ELi32ELi16El19rocblas_complex_numIfEPKS1_PS1_EviT6_lT7_lT5_lS6_lS7_lS5_lT8_i,"axG",@progbits,_ZL26rocblas_hemvn_kernel_lowerILb0ELi64ELi4ELi33ELi32ELi16El19rocblas_complex_numIfEPKS1_PS1_EviT6_lT7_lT5_lS6_lS7_lS5_lT8_i,comdat
.Lfunc_end120:
	.size	_ZL26rocblas_hemvn_kernel_lowerILb0ELi64ELi4ELi33ELi32ELi16El19rocblas_complex_numIfEPKS1_PS1_EviT6_lT7_lT5_lS6_lS7_lS5_lT8_i, .Lfunc_end120-_ZL26rocblas_hemvn_kernel_lowerILb0ELi64ELi4ELi33ELi32ELi16El19rocblas_complex_numIfEPKS1_PS1_EviT6_lT7_lT5_lS6_lS7_lS5_lT8_i
                                        ; -- End function
	.set _ZL26rocblas_hemvn_kernel_lowerILb0ELi64ELi4ELi33ELi32ELi16El19rocblas_complex_numIfEPKS1_PS1_EviT6_lT7_lT5_lS6_lS7_lS5_lT8_i.num_vgpr, 121
	.set _ZL26rocblas_hemvn_kernel_lowerILb0ELi64ELi4ELi33ELi32ELi16El19rocblas_complex_numIfEPKS1_PS1_EviT6_lT7_lT5_lS6_lS7_lS5_lT8_i.num_agpr, 0
	.set _ZL26rocblas_hemvn_kernel_lowerILb0ELi64ELi4ELi33ELi32ELi16El19rocblas_complex_numIfEPKS1_PS1_EviT6_lT7_lT5_lS6_lS7_lS5_lT8_i.numbered_sgpr, 53
	.set _ZL26rocblas_hemvn_kernel_lowerILb0ELi64ELi4ELi33ELi32ELi16El19rocblas_complex_numIfEPKS1_PS1_EviT6_lT7_lT5_lS6_lS7_lS5_lT8_i.num_named_barrier, 0
	.set _ZL26rocblas_hemvn_kernel_lowerILb0ELi64ELi4ELi33ELi32ELi16El19rocblas_complex_numIfEPKS1_PS1_EviT6_lT7_lT5_lS6_lS7_lS5_lT8_i.private_seg_size, 0
	.set _ZL26rocblas_hemvn_kernel_lowerILb0ELi64ELi4ELi33ELi32ELi16El19rocblas_complex_numIfEPKS1_PS1_EviT6_lT7_lT5_lS6_lS7_lS5_lT8_i.uses_vcc, 1
	.set _ZL26rocblas_hemvn_kernel_lowerILb0ELi64ELi4ELi33ELi32ELi16El19rocblas_complex_numIfEPKS1_PS1_EviT6_lT7_lT5_lS6_lS7_lS5_lT8_i.uses_flat_scratch, 0
	.set _ZL26rocblas_hemvn_kernel_lowerILb0ELi64ELi4ELi33ELi32ELi16El19rocblas_complex_numIfEPKS1_PS1_EviT6_lT7_lT5_lS6_lS7_lS5_lT8_i.has_dyn_sized_stack, 0
	.set _ZL26rocblas_hemvn_kernel_lowerILb0ELi64ELi4ELi33ELi32ELi16El19rocblas_complex_numIfEPKS1_PS1_EviT6_lT7_lT5_lS6_lS7_lS5_lT8_i.has_recursion, 0
	.set _ZL26rocblas_hemvn_kernel_lowerILb0ELi64ELi4ELi33ELi32ELi16El19rocblas_complex_numIfEPKS1_PS1_EviT6_lT7_lT5_lS6_lS7_lS5_lT8_i.has_indirect_call, 0
	.section	.AMDGPU.csdata,"",@progbits
; Kernel info:
; codeLenInByte = 7556
; TotalNumSgprs: 57
; NumVgprs: 121
; ScratchSize: 0
; MemoryBound: 1
; FloatMode: 240
; IeeeMode: 1
; LDSByteSize: 9600 bytes/workgroup (compile time only)
; SGPRBlocks: 12
; VGPRBlocks: 30
; NumSGPRsForWavesPerEU: 97
; NumVGPRsForWavesPerEU: 121
; Occupancy: 2
; WaveLimiterHint : 0
; COMPUTE_PGM_RSRC2:SCRATCH_EN: 0
; COMPUTE_PGM_RSRC2:USER_SGPR: 6
; COMPUTE_PGM_RSRC2:TRAP_HANDLER: 0
; COMPUTE_PGM_RSRC2:TGID_X_EN: 1
; COMPUTE_PGM_RSRC2:TGID_Y_EN: 0
; COMPUTE_PGM_RSRC2:TGID_Z_EN: 1
; COMPUTE_PGM_RSRC2:TIDIG_COMP_CNT: 1
	.section	.text._ZL26rocblas_hemvn_kernel_lowerILb0ELi64ELi4ELi33ELi32ELi16Ei19rocblas_complex_numIfEPKS1_PS1_EviT6_lT7_lT5_lS6_lS7_lS5_lT8_i,"axG",@progbits,_ZL26rocblas_hemvn_kernel_lowerILb0ELi64ELi4ELi33ELi32ELi16Ei19rocblas_complex_numIfEPKS1_PS1_EviT6_lT7_lT5_lS6_lS7_lS5_lT8_i,comdat
	.globl	_ZL26rocblas_hemvn_kernel_lowerILb0ELi64ELi4ELi33ELi32ELi16Ei19rocblas_complex_numIfEPKS1_PS1_EviT6_lT7_lT5_lS6_lS7_lS5_lT8_i ; -- Begin function _ZL26rocblas_hemvn_kernel_lowerILb0ELi64ELi4ELi33ELi32ELi16Ei19rocblas_complex_numIfEPKS1_PS1_EviT6_lT7_lT5_lS6_lS7_lS5_lT8_i
	.p2align	8
	.type	_ZL26rocblas_hemvn_kernel_lowerILb0ELi64ELi4ELi33ELi32ELi16Ei19rocblas_complex_numIfEPKS1_PS1_EviT6_lT7_lT5_lS6_lS7_lS5_lT8_i,@function
_ZL26rocblas_hemvn_kernel_lowerILb0ELi64ELi4ELi33ELi32ELi16Ei19rocblas_complex_numIfEPKS1_PS1_EviT6_lT7_lT5_lS6_lS7_lS5_lT8_i: ; @_ZL26rocblas_hemvn_kernel_lowerILb0ELi64ELi4ELi33ELi32ELi16Ei19rocblas_complex_numIfEPKS1_PS1_EviT6_lT7_lT5_lS6_lS7_lS5_lT8_i
; %bb.0:
	s_load_dwordx2 s[2:3], s[4:5], 0x84
	s_add_u32 s0, s4, 0x78
	s_addc_u32 s1, s5, 0
	s_waitcnt lgkmcnt(0)
	s_lshr_b32 s8, s2, 16
	s_and_b32 s2, s2, 0xffff
	s_and_b32 s3, s3, 0xffff
	s_mul_i32 s2, s8, s2
	s_mul_i32 s2, s2, s3
	s_cmpk_lg_i32 s2, 0x100
	s_cbranch_scc1 .LBB121_105
; %bb.1:
	s_load_dwordx2 s[2:3], s[4:5], 0x4
	v_mov_b32_e32 v2, v1
	s_mov_b64 s[8:9], -1
	s_waitcnt lgkmcnt(0)
	s_or_b32 s2, s2, s3
	s_bitset0_b32 s2, 31
	s_cmp_lg_u32 s2, 0
	s_cselect_b64 s[2:3], -1, 0
	s_and_b64 vcc, exec, s[2:3]
	s_cbranch_vccnz .LBB121_3
; %bb.2:
	s_load_dwordx2 s[8:9], s[4:5], 0x58
	s_waitcnt lgkmcnt(0)
	v_cmp_neq_f32_e64 s[10:11], s8, 1.0
	v_cmp_neq_f32_e64 s[8:9], s9, 0
	s_or_b64 s[8:9], s[10:11], s[8:9]
.LBB121_3:
	s_andn2_b64 vcc, exec, s[8:9]
	s_cbranch_vccnz .LBB121_105
; %bb.4:
	s_andn2_b64 vcc, exec, s[2:3]
	s_cbranch_vccnz .LBB121_105
; %bb.5:
	s_load_dwordx2 s[2:3], s[4:5], 0x40
	s_load_dwordx2 s[12:13], s[4:5], 0x50
	s_load_dword s33, s[4:5], 0x48
	s_load_dword s41, s[0:1], 0x0
	;; [unrolled: 1-line block ×3, first 2 shown]
	s_load_dwordx4 s[8:11], s[4:5], 0x30
	s_waitcnt lgkmcnt(0)
	s_mul_i32 s0, s13, s7
	s_mul_hi_u32 s1, s12, s7
	s_add_i32 s1, s1, s0
	s_mul_i32 s0, s12, s7
	s_lshl_b64 s[0:1], s[0:1], 3
	s_add_u32 s10, s10, s0
	s_addc_u32 s11, s11, s1
	s_lshl_b64 s[0:1], s[2:3], 3
	s_add_u32 s0, s10, s0
	s_addc_u32 s1, s11, s1
	s_lshl_b32 s26, s6, 6
	v_add_u32_e32 v35, s26, v0
	v_mul_lo_u32 v3, s33, v35
	s_ashr_i32 s42, s40, 31
	s_lshr_b32 s3, s42, 26
	s_add_i32 s3, s40, s3
	v_ashrrev_i32_e32 v4, 31, v3
	s_andn2_b32 s3, s3, 63
	v_lshlrev_b64 v[3:4], 3, v[3:4]
	s_add_i32 s2, s41, -1
	s_sub_i32 s3, s40, s3
	s_cmp_eq_u32 s6, s2
	v_mov_b32_e32 v1, s1
	v_add_co_u32_e32 v19, vcc, s0, v3
	s_cselect_b32 s24, s3, 0
	v_addc_co_u32_e32 v20, vcc, v1, v4, vcc
	v_cmp_ne_u32_e64 s[0:1], 0, v2
	v_cmp_eq_u32_e64 s[2:3], 0, v2
	s_and_saveexec_b64 s[10:11], s[2:3]
	s_cbranch_execz .LBB121_10
; %bb.6:
	s_cmp_lg_u32 s24, 0
	s_cselect_b64 s[12:13], -1, 0
	v_cmp_le_i32_e32 vcc, s24, v0
	v_mov_b32_e32 v1, 0x2380
	s_and_b64 s[12:13], s[12:13], vcc
	v_lshl_add_u32 v1, v0, 3, v1
	s_and_saveexec_b64 s[14:15], s[12:13]
	s_xor_b64 s[12:13], exec, s[14:15]
; %bb.7:
	v_mov_b32_e32 v3, 0
	v_mov_b32_e32 v4, v3
	ds_write_b64 v1, v[3:4]
                                        ; implicit-def: $vgpr1
; %bb.8:
	s_andn2_saveexec_b64 s[12:13], s[12:13]
	s_cbranch_execz .LBB121_10
; %bb.9:
	global_load_dwordx2 v[3:4], v[19:20], off
	s_waitcnt vmcnt(0)
	ds_write_b64 v1, v[3:4]
.LBB121_10:
	s_or_b64 exec, exec, s[10:11]
	s_load_dwordx4 s[12:15], s[4:5], 0x18
	s_load_dword s22, s[4:5], 0x28
	s_mul_i32 s9, s9, s7
	s_mul_hi_u32 s10, s8, s7
	s_add_i32 s9, s10, s9
	s_mul_i32 s8, s8, s7
	s_lshl_b64 s[8:9], s[8:9], 3
	s_waitcnt lgkmcnt(0)
	s_add_u32 s10, s12, s8
	v_lshl_add_u32 v25, v2, 6, v0
	s_addc_u32 s11, s13, s9
	s_lshl_b64 s[8:9], s[14:15], 3
	v_and_b32_e32 v1, 31, v0
	v_lshrrev_b32_e32 v7, 5, v25
	s_add_u32 s10, s10, s8
	s_addc_u32 s11, s11, s9
	v_mad_u64_u32 v[3:4], s[8:9], s22, v7, v[1:2]
	s_ashr_i32 s27, s26, 31
	s_lshl_b64 s[8:9], s[26:27], 3
	v_ashrrev_i32_e32 v4, 31, v3
	v_lshlrev_b64 v[21:22], 3, v[3:4]
	s_add_u32 s8, s10, s8
	s_addc_u32 s9, s11, s9
	v_add_co_u32_e32 v4, vcc, s8, v21
	s_mul_i32 s8, s22, s26
	v_mov_b32_e32 v3, s9
	s_ashr_i32 s9, s8, 31
	v_addc_co_u32_e32 v5, vcc, v3, v22, vcc
	s_lshl_b64 s[28:29], s[8:9], 3
	v_mov_b32_e32 v6, s29
	v_add_co_u32_e32 v3, vcc, s28, v4
	s_cmp_lg_u32 s24, 0
	v_addc_co_u32_e32 v4, vcc, v5, v6, vcc
	s_cselect_b64 s[30:31], -1, 0
	s_cmp_eq_u32 s24, 0
	s_cselect_b64 s[18:19], -1, 0
	s_mov_b64 s[8:9], -1
	s_and_b64 vcc, exec, s[30:31]
	s_cbranch_vccnz .LBB121_12
; %bb.11:
	s_lshl_b32 s8, s22, 3
	s_ashr_i32 s9, s8, 31
	s_lshl_b64 s[8:9], s[8:9], 3
	v_mov_b32_e32 v6, s9
	v_add_co_u32_e32 v5, vcc, s8, v3
	s_ashr_i32 s23, s22, 31
	v_addc_co_u32_e32 v6, vcc, v4, v6, vcc
	s_lshl_b64 s[8:9], s[22:23], 6
	v_mov_b32_e32 v11, s9
	v_add_co_u32_e32 v8, vcc, s8, v5
	v_addc_co_u32_e32 v9, vcc, v6, v11, vcc
	v_add_co_u32_e32 v10, vcc, s8, v8
	v_addc_co_u32_e32 v11, vcc, v9, v11, vcc
	global_load_dwordx2 v[12:13], v[3:4], off
	global_load_dwordx2 v[14:15], v[5:6], off
	;; [unrolled: 1-line block ×4, first 2 shown]
	v_mul_u32_u24_e32 v5, 0x108, v7
	v_lshl_add_u32 v5, v1, 3, v5
	s_mov_b64 s[8:9], 0
	s_waitcnt vmcnt(3)
	ds_write_b64 v5, v[12:13]
	s_waitcnt vmcnt(2)
	ds_write_b64 v5, v[14:15] offset:2112
	s_waitcnt vmcnt(1)
	ds_write_b64 v5, v[16:17] offset:4224
	;; [unrolled: 2-line block ×3, first 2 shown]
.LBB121_12:
	s_andn2_b64 vcc, exec, s[8:9]
	v_lshlrev_b32_e32 v8, 3, v1
	s_cbranch_vccnz .LBB121_30
; %bb.13:
	v_sub_co_u32_e32 v5, vcc, v3, v8
	s_ashr_i32 s25, s24, 31
	v_subbrev_co_u32_e32 v6, vcc, 0, v4, vcc
	s_lshl_b64 s[10:11], s[24:25], 3
	v_mov_b32_e32 v9, s11
	v_add_co_u32_e32 v5, vcc, s10, v5
	v_addc_co_u32_e32 v6, vcc, v6, v9, vcc
	v_add_co_u32_e32 v5, vcc, -8, v5
	v_addc_co_u32_e32 v6, vcc, -1, v6, vcc
	v_cmp_gt_i32_e32 vcc, s24, v1
	v_cndmask_b32_e32 v6, v6, v4, vcc
	v_cndmask_b32_e32 v5, v5, v3, vcc
	v_cmp_le_i32_e64 s[8:9], s24, v7
	v_mul_u32_u24_e32 v9, 0x108, v7
	s_and_saveexec_b64 s[12:13], s[8:9]
	s_xor_b64 s[8:9], exec, s[12:13]
; %bb.14:
	v_mov_b32_e32 v10, 0
	v_add_u32_e32 v12, v8, v9
	v_mov_b32_e32 v11, v10
	ds_write_b64 v12, v[10:11]
; %bb.15:
	s_andn2_saveexec_b64 s[8:9], s[8:9]
	s_cbranch_execz .LBB121_17
; %bb.16:
	global_load_dwordx2 v[10:11], v[5:6], off
	v_add_u32_e32 v12, v8, v9
	s_waitcnt vmcnt(0)
	ds_write_b64 v12, v[10:11]
.LBB121_17:
	s_or_b64 exec, exec, s[8:9]
	v_add_u32_e32 v10, 8, v7
	v_cmp_le_i32_e64 s[8:9], s24, v10
	s_and_saveexec_b64 s[12:13], s[8:9]
	s_xor_b64 s[8:9], exec, s[12:13]
; %bb.18:
	v_mov_b32_e32 v10, 0
	v_add_u32_e32 v12, v9, v8
	v_mov_b32_e32 v11, v10
	ds_write_b64 v12, v[10:11] offset:2112
; %bb.19:
	s_andn2_saveexec_b64 s[12:13], s[8:9]
	s_cbranch_execz .LBB121_21
; %bb.20:
	s_lshl_b32 s8, s22, 3
	s_ashr_i32 s9, s8, 31
	s_lshl_b64 s[8:9], s[8:9], 3
	v_mov_b32_e32 v11, s9
	v_add_co_u32_e64 v10, s[8:9], s8, v5
	v_addc_co_u32_e64 v11, s[8:9], v6, v11, s[8:9]
	global_load_dwordx2 v[10:11], v[10:11], off
	v_add_u32_e32 v12, v9, v8
	s_waitcnt vmcnt(0)
	ds_write_b64 v12, v[10:11] offset:2112
.LBB121_21:
	s_or_b64 exec, exec, s[12:13]
	v_add_u32_e32 v10, 16, v7
	v_cmp_le_i32_e64 s[8:9], s24, v10
	s_and_saveexec_b64 s[12:13], s[8:9]
	s_xor_b64 s[8:9], exec, s[12:13]
; %bb.22:
	v_mov_b32_e32 v10, 0
	v_add_u32_e32 v12, v9, v8
	v_mov_b32_e32 v11, v10
	ds_write_b64 v12, v[10:11] offset:4224
; %bb.23:
	s_andn2_saveexec_b64 s[12:13], s[8:9]
	s_cbranch_execz .LBB121_25
; %bb.24:
	s_lshl_b32 s8, s22, 4
	s_ashr_i32 s9, s8, 31
	s_lshl_b64 s[8:9], s[8:9], 3
	v_mov_b32_e32 v11, s9
	v_add_co_u32_e64 v10, s[8:9], s8, v5
	v_addc_co_u32_e64 v11, s[8:9], v6, v11, s[8:9]
	global_load_dwordx2 v[10:11], v[10:11], off
	v_add_u32_e32 v12, v9, v8
	s_waitcnt vmcnt(0)
	ds_write_b64 v12, v[10:11] offset:4224
.LBB121_25:
	s_or_b64 exec, exec, s[12:13]
	v_add_u32_e32 v10, 24, v7
	v_cmp_le_i32_e64 s[8:9], s24, v10
	s_and_saveexec_b64 s[12:13], s[8:9]
	s_xor_b64 s[8:9], exec, s[12:13]
; %bb.26:
	v_add_u32_e32 v11, v9, v8
	v_mov_b32_e32 v9, 0
	v_mov_b32_e32 v10, v9
	ds_write_b64 v11, v[9:10] offset:6336
                                        ; implicit-def: $vgpr9
; %bb.27:
	s_andn2_saveexec_b64 s[12:13], s[8:9]
	s_cbranch_execz .LBB121_29
; %bb.28:
	s_mul_i32 s8, s22, 24
	s_ashr_i32 s9, s8, 31
	s_lshl_b64 s[8:9], s[8:9], 3
	v_mov_b32_e32 v11, s9
	v_add_co_u32_e64 v10, s[8:9], s8, v5
	v_addc_co_u32_e64 v11, s[8:9], v6, v11, s[8:9]
	global_load_dwordx2 v[10:11], v[10:11], off
	v_add_u32_e32 v9, v9, v8
	s_waitcnt vmcnt(0)
	ds_write_b64 v9, v[10:11] offset:6336
.LBB121_29:
	s_or_b64 exec, exec, s[12:13]
	v_add_co_u32_e64 v5, s[8:9], v5, v8
	v_addc_co_u32_e64 v6, s[8:9], 0, v6, s[8:9]
	v_mov_b32_e32 v9, s11
	v_subrev_co_u32_e64 v5, s[8:9], s10, v5
	v_subb_co_u32_e64 v6, s[8:9], v6, v9, s[8:9]
	v_add_co_u32_e64 v5, s[8:9], 8, v5
	v_addc_co_u32_e64 v6, s[8:9], 0, v6, s[8:9]
	v_cndmask_b32_e32 v4, v6, v4, vcc
	v_cndmask_b32_e32 v3, v5, v3, vcc
.LBB121_30:
	v_lshlrev_b32_e32 v5, 2, v7
	v_lshl_or_b32 v6, v1, 8, v8
	v_cmp_lt_u32_e64 s[8:9], v5, v1
	s_waitcnt lgkmcnt(0)
	s_barrier
	s_and_saveexec_b64 s[10:11], s[8:9]
	s_cbranch_execz .LBB121_32
; %bb.31:
	s_movk_i32 s12, 0x420
	v_mad_u32_u24 v9, v7, s12, v8
	ds_read_b64 v[9:10], v9
	v_lshl_add_u32 v11, v5, 3, v6
	s_waitcnt lgkmcnt(0)
	ds_write_b64 v11, v[9:10]
.LBB121_32:
	s_or_b64 exec, exec, s[10:11]
	v_or_b32_e32 v9, 1, v5
	v_cmp_lt_u32_e64 s[10:11], v9, v1
	s_and_saveexec_b64 s[12:13], s[10:11]
	s_cbranch_execz .LBB121_34
; %bb.33:
	s_movk_i32 s14, 0x108
	v_mad_u32_u24 v10, v9, s14, v8
	ds_read_b64 v[10:11], v10
	v_lshl_add_u32 v12, v5, 3, v6
	s_waitcnt lgkmcnt(0)
	ds_write_b64 v12, v[10:11] offset:8
.LBB121_34:
	s_or_b64 exec, exec, s[12:13]
	v_or_b32_e32 v10, 2, v5
	v_cmp_lt_u32_e64 s[12:13], v10, v1
	s_and_saveexec_b64 s[14:15], s[12:13]
	s_cbranch_execz .LBB121_36
; %bb.35:
	s_movk_i32 s16, 0x108
	v_mad_u32_u24 v10, v10, s16, v8
	ds_read_b64 v[10:11], v10
	v_lshl_add_u32 v12, v5, 3, v6
	s_waitcnt lgkmcnt(0)
	ds_write_b64 v12, v[10:11] offset:16
.LBB121_36:
	s_or_b64 exec, exec, s[14:15]
	v_or_b32_e32 v11, 3, v5
	v_cmp_lt_u32_e64 s[14:15], v11, v1
	v_cmp_ge_u32_e32 vcc, v11, v1
                                        ; implicit-def: $vgpr10
	s_and_saveexec_b64 s[16:17], vcc
	s_xor_b64 s[16:17], exec, s[16:17]
; %bb.37:
	v_mul_u32_u24_e32 v10, 0x108, v11
                                        ; implicit-def: $vgpr6
                                        ; implicit-def: $vgpr11
; %bb.38:
	s_andn2_saveexec_b64 s[16:17], s[16:17]
	s_cbranch_execz .LBB121_40
; %bb.39:
	s_movk_i32 s20, 0x108
	v_mad_u32_u24 v10, v11, s20, v8
	ds_read_b64 v[12:13], v10
	v_lshl_add_u32 v6, v5, 3, v6
	v_mul_u32_u24_e32 v10, 0x108, v11
	s_waitcnt lgkmcnt(0)
	ds_write_b64 v6, v[12:13] offset:24
.LBB121_40:
	s_or_b64 exec, exec, s[16:17]
	s_movk_i32 s16, 0x420
	v_mad_u32_u24 v11, v7, s16, v8
	s_waitcnt lgkmcnt(0)
	s_barrier
	v_lshlrev_b32_e32 v6, 3, v5
	ds_read_b64 v[23:24], v11
	ds_read_b128 v[11:14], v6 offset:9088
	ds_read_b128 v[15:18], v6 offset:9104
	s_movk_i32 s16, 0x108
	v_mov_b32_e32 v36, 0
	v_cmp_gt_u32_e64 s[20:21], 32, v25
	s_waitcnt lgkmcnt(1)
	v_mul_f32_e32 v26, v12, v24
	v_fma_f32 v30, v11, v23, -v26
	v_mul_f32_e32 v11, v11, v24
	v_mad_u32_u24 v24, v9, s16, v8
	ds_read2_b64 v[26:29], v24 offset1:33
	v_fmac_f32_e32 v11, v12, v23
	v_add_f32_e32 v12, 0, v30
	v_add_f32_e32 v11, 0, v11
	v_mov_b32_e32 v37, 0
	s_waitcnt lgkmcnt(0)
	v_mul_f32_e32 v23, v14, v27
	v_fma_f32 v23, v13, v26, -v23
	v_mul_f32_e32 v13, v13, v27
	v_fmac_f32_e32 v13, v14, v26
	v_add_f32_e32 v14, v12, v23
	v_add_u32_e32 v12, v8, v10
	v_add_f32_e32 v13, v11, v13
	ds_read_b64 v[10:11], v12
	v_mul_f32_e32 v23, v16, v29
	v_fma_f32 v23, v15, v28, -v23
	v_mul_f32_e32 v15, v15, v29
	v_fmac_f32_e32 v15, v16, v28
	v_add_f32_e32 v13, v13, v15
	s_waitcnt lgkmcnt(0)
	v_mul_f32_e32 v15, v18, v11
	v_mul_f32_e32 v11, v17, v11
	v_fmac_f32_e32 v11, v18, v10
	v_add_f32_e32 v11, v13, v11
	v_mul_u32_u24_e32 v13, 33, v1
	v_add_f32_e32 v14, v14, v23
	v_fma_f32 v15, v17, v10, -v15
	v_lshlrev_b32_e32 v26, 3, v13
	v_add_f32_e32 v10, v14, v15
	v_lshl_add_u32 v27, v7, 3, v26
	s_barrier
	ds_write_b64 v27, v[10:11]
	s_waitcnt lgkmcnt(0)
	s_barrier
	s_and_saveexec_b64 s[16:17], s[20:21]
	s_cbranch_execz .LBB121_42
; %bb.41:
	ds_read2_b64 v[13:16], v26 offset1:7
	ds_read2_b64 v[28:31], v26 offset0:1 offset1:2
	ds_read2_b64 v[36:39], v26 offset0:3 offset1:4
	s_waitcnt lgkmcnt(1)
	v_add_f32_e32 v10, v28, v13
	v_add_f32_e32 v11, v29, v14
	;; [unrolled: 1-line block ×4, first 2 shown]
	ds_read2_b64 v[28:31], v26 offset0:5 offset1:6
	s_waitcnt lgkmcnt(1)
	v_add_f32_e32 v10, v10, v36
	v_add_f32_e32 v11, v11, v37
	;; [unrolled: 1-line block ×4, first 2 shown]
	s_waitcnt lgkmcnt(0)
	v_add_f32_e32 v10, v10, v28
	v_add_f32_e32 v11, v11, v29
	;; [unrolled: 1-line block ×6, first 2 shown]
.LBB121_42:
	s_or_b64 exec, exec, s[16:17]
	s_lshl_b32 s16, s22, 5
	s_ashr_i32 s17, s16, 31
	s_lshl_b64 s[34:35], s[16:17], 3
	v_mov_b32_e32 v10, s35
	v_add_co_u32_e32 v3, vcc, s34, v3
	v_addc_co_u32_e32 v4, vcc, v4, v10, vcc
	v_add_co_u32_e32 v10, vcc, 0x100, v3
	v_addc_co_u32_e32 v11, vcc, 0, v4, vcc
	v_cndmask_b32_e64 v13, 0, 1, s[18:19]
	v_cmp_ne_u32_e64 s[16:17], 1, v13
	s_andn2_b64 vcc, exec, s[18:19]
	s_mov_b64 s[18:19], -1
	s_barrier
	s_cbranch_vccnz .LBB121_44
; %bb.43:
	s_lshl_b32 s18, s22, 3
	s_ashr_i32 s19, s18, 31
	s_lshl_b64 s[18:19], s[18:19], 3
	v_mov_b32_e32 v14, s19
	v_add_co_u32_e32 v13, vcc, s18, v3
	s_ashr_i32 s23, s22, 31
	v_addc_co_u32_e32 v14, vcc, v4, v14, vcc
	s_lshl_b64 s[18:19], s[22:23], 6
	v_mov_b32_e32 v18, s19
	v_add_co_u32_e32 v15, vcc, s18, v13
	v_addc_co_u32_e32 v16, vcc, v14, v18, vcc
	v_add_co_u32_e32 v17, vcc, s18, v15
	v_addc_co_u32_e32 v18, vcc, v16, v18, vcc
	global_load_dwordx2 v[23:24], v[3:4], off offset:256
	global_load_dwordx2 v[28:29], v[13:14], off offset:256
	;; [unrolled: 1-line block ×4, first 2 shown]
	s_movk_i32 s18, 0x108
	v_mad_u32_u24 v13, v7, s18, v8
	s_mov_b64 s[18:19], 0
	s_waitcnt vmcnt(3)
	ds_write_b64 v13, v[23:24]
	s_waitcnt vmcnt(2)
	ds_write_b64 v13, v[28:29] offset:2112
	s_waitcnt vmcnt(1)
	ds_write_b64 v13, v[30:31] offset:4224
	;; [unrolled: 2-line block ×3, first 2 shown]
.LBB121_44:
	s_andn2_b64 vcc, exec, s[18:19]
	s_cbranch_vccnz .LBB121_62
; %bb.45:
	v_sub_co_u32_e32 v3, vcc, v3, v8
	s_ashr_i32 s25, s24, 31
	v_subbrev_co_u32_e32 v4, vcc, 0, v4, vcc
	s_lshl_b64 s[36:37], s[24:25], 3
	v_mov_b32_e32 v14, s37
	v_add_co_u32_e32 v3, vcc, s36, v3
	v_addc_co_u32_e32 v4, vcc, v4, v14, vcc
	v_or_b32_e32 v13, 32, v1
	v_add_co_u32_e32 v3, vcc, -8, v3
	v_addc_co_u32_e32 v4, vcc, -1, v4, vcc
	v_cmp_gt_i32_e64 s[18:19], s24, v13
	s_sub_i32 s23, s24, 32
	v_cndmask_b32_e64 v4, v4, v11, s[18:19]
	v_cndmask_b32_e64 v3, v3, v10, s[18:19]
	v_cmp_le_i32_e32 vcc, s23, v7
	v_mul_u32_u24_e32 v13, 0x108, v7
	s_and_saveexec_b64 s[38:39], vcc
	s_xor_b64 s[38:39], exec, s[38:39]
; %bb.46:
	v_mov_b32_e32 v14, 0
	v_add_u32_e32 v16, v8, v13
	v_mov_b32_e32 v15, v14
	ds_write_b64 v16, v[14:15]
; %bb.47:
	s_andn2_saveexec_b64 s[38:39], s[38:39]
	s_cbranch_execz .LBB121_49
; %bb.48:
	global_load_dwordx2 v[14:15], v[3:4], off
	v_add_u32_e32 v16, v8, v13
	s_waitcnt vmcnt(0)
	ds_write_b64 v16, v[14:15]
.LBB121_49:
	s_or_b64 exec, exec, s[38:39]
	v_add_u32_e32 v14, 8, v7
	v_cmp_le_i32_e32 vcc, s23, v14
	s_and_saveexec_b64 s[38:39], vcc
	s_xor_b64 s[38:39], exec, s[38:39]
; %bb.50:
	v_mov_b32_e32 v14, 0
	v_add_u32_e32 v16, v13, v8
	v_mov_b32_e32 v15, v14
	ds_write_b64 v16, v[14:15] offset:2112
; %bb.51:
	s_andn2_saveexec_b64 s[38:39], s[38:39]
	s_cbranch_execz .LBB121_53
; %bb.52:
	s_lshl_b32 s44, s22, 3
	s_ashr_i32 s45, s44, 31
	s_lshl_b64 s[44:45], s[44:45], 3
	v_mov_b32_e32 v15, s45
	v_add_co_u32_e32 v14, vcc, s44, v3
	v_addc_co_u32_e32 v15, vcc, v4, v15, vcc
	global_load_dwordx2 v[14:15], v[14:15], off
	v_add_u32_e32 v16, v13, v8
	s_waitcnt vmcnt(0)
	ds_write_b64 v16, v[14:15] offset:2112
.LBB121_53:
	s_or_b64 exec, exec, s[38:39]
	v_add_u32_e32 v14, 16, v7
	v_cmp_le_i32_e32 vcc, s23, v14
	s_and_saveexec_b64 s[38:39], vcc
	s_xor_b64 s[38:39], exec, s[38:39]
; %bb.54:
	v_mov_b32_e32 v14, 0
	v_add_u32_e32 v16, v13, v8
	v_mov_b32_e32 v15, v14
	ds_write_b64 v16, v[14:15] offset:4224
; %bb.55:
	s_andn2_saveexec_b64 s[38:39], s[38:39]
	s_cbranch_execz .LBB121_57
; %bb.56:
	s_lshl_b32 s44, s22, 4
	s_ashr_i32 s45, s44, 31
	s_lshl_b64 s[44:45], s[44:45], 3
	v_mov_b32_e32 v15, s45
	v_add_co_u32_e32 v14, vcc, s44, v3
	v_addc_co_u32_e32 v15, vcc, v4, v15, vcc
	global_load_dwordx2 v[14:15], v[14:15], off
	v_add_u32_e32 v16, v13, v8
	s_waitcnt vmcnt(0)
	ds_write_b64 v16, v[14:15] offset:4224
.LBB121_57:
	s_or_b64 exec, exec, s[38:39]
	v_add_u32_e32 v14, 24, v7
	v_cmp_le_i32_e32 vcc, s23, v14
	s_and_saveexec_b64 s[38:39], vcc
	s_xor_b64 s[38:39], exec, s[38:39]
; %bb.58:
	v_add_u32_e32 v15, v13, v8
	v_mov_b32_e32 v13, 0
	v_mov_b32_e32 v14, v13
	ds_write_b64 v15, v[13:14] offset:6336
                                        ; implicit-def: $vgpr13
; %bb.59:
	s_andn2_saveexec_b64 s[38:39], s[38:39]
	s_cbranch_execz .LBB121_61
; %bb.60:
	s_mul_i32 s44, s22, 24
	s_ashr_i32 s45, s44, 31
	s_lshl_b64 s[44:45], s[44:45], 3
	v_mov_b32_e32 v15, s45
	v_add_co_u32_e32 v14, vcc, s44, v3
	v_addc_co_u32_e32 v15, vcc, v4, v15, vcc
	global_load_dwordx2 v[14:15], v[14:15], off
	v_add_u32_e32 v13, v13, v8
	s_waitcnt vmcnt(0)
	ds_write_b64 v13, v[14:15] offset:6336
.LBB121_61:
	s_or_b64 exec, exec, s[38:39]
	v_add_co_u32_e32 v3, vcc, v3, v8
	v_addc_co_u32_e32 v4, vcc, 0, v4, vcc
	v_mov_b32_e32 v13, s37
	v_subrev_co_u32_e32 v3, vcc, s36, v3
	v_subb_co_u32_e32 v4, vcc, v4, v13, vcc
	v_add_co_u32_e32 v3, vcc, 0x108, v3
	v_addc_co_u32_e32 v4, vcc, 0, v4, vcc
	v_cndmask_b32_e64 v11, v4, v11, s[18:19]
	v_cndmask_b32_e64 v10, v3, v10, s[18:19]
.LBB121_62:
	v_mul_u32_u24_e32 v4, 0x420, v7
	v_add_u32_e32 v6, 0x2380, v6
	v_mul_u32_u24_e32 v3, 0x108, v9
	v_add_u32_e32 v4, v8, v4
	s_waitcnt lgkmcnt(0)
	s_barrier
	s_and_saveexec_b64 s[18:19], s[8:9]
	s_cbranch_execnz .LBB121_71
; %bb.63:
	s_or_b64 exec, exec, s[18:19]
	v_add_u32_e32 v3, v8, v3
	s_and_saveexec_b64 s[8:9], s[10:11]
	s_cbranch_execnz .LBB121_72
.LBB121_64:
	s_or_b64 exec, exec, s[8:9]
	s_and_saveexec_b64 s[8:9], s[12:13]
	s_cbranch_execnz .LBB121_73
.LBB121_65:
	s_or_b64 exec, exec, s[8:9]
	s_and_saveexec_b64 s[8:9], s[14:15]
	s_cbranch_execz .LBB121_67
.LBB121_66:
	ds_read_b64 v[13:14], v12
	v_lshl_add_u32 v9, v5, 3, v26
	s_waitcnt lgkmcnt(0)
	ds_write_b64 v9, v[13:14] offset:24
.LBB121_67:
	s_or_b64 exec, exec, s[8:9]
	s_waitcnt lgkmcnt(0)
	s_barrier
	ds_read_b64 v[17:18], v4
	ds_read_b128 v[13:16], v6 offset:256
	ds_read_b128 v[28:31], v6 offset:272
	ds_read_b64 v[23:24], v12
	ds_read2_b64 v[38:41], v3 offset1:33
	v_cmp_eq_u32_e64 s[8:9], 1, v7
	s_waitcnt lgkmcnt(3)
	v_mul_f32_e32 v4, v14, v18
	v_mul_f32_e32 v3, v13, v18
	v_fma_f32 v4, v13, v17, -v4
	v_fmac_f32_e32 v3, v14, v17
	s_waitcnt lgkmcnt(0)
	v_mul_f32_e32 v9, v16, v39
	v_mul_f32_e32 v12, v15, v39
	v_add_f32_e32 v4, 0, v4
	v_add_f32_e32 v3, 0, v3
	v_fma_f32 v9, v15, v38, -v9
	v_fmac_f32_e32 v12, v16, v38
	v_add_f32_e32 v4, v4, v9
	v_add_f32_e32 v3, v3, v12
	v_mul_f32_e32 v9, v29, v41
	v_mul_f32_e32 v12, v28, v41
	v_fma_f32 v9, v28, v40, -v9
	v_fmac_f32_e32 v12, v29, v40
	v_add_f32_e32 v4, v4, v9
	v_add_f32_e32 v9, v3, v12
	v_mul_f32_e32 v3, v31, v24
	v_mul_f32_e32 v12, v30, v24
	v_fma_f32 v3, v30, v23, -v3
	v_fmac_f32_e32 v12, v31, v23
	v_add_f32_e32 v3, v4, v3
	v_add_f32_e32 v4, v9, v12
	s_barrier
	ds_write_b64 v27, v[3:4]
	s_waitcnt lgkmcnt(0)
	s_barrier
	s_and_saveexec_b64 s[10:11], s[8:9]
	s_cbranch_execz .LBB121_69
; %bb.68:
	ds_read2_b64 v[12:15], v26 offset1:7
	ds_read2_b64 v[28:31], v26 offset0:1 offset1:2
	ds_read2_b64 v[36:39], v26 offset0:3 offset1:4
	s_waitcnt lgkmcnt(1)
	v_add_f32_e32 v3, v28, v12
	v_add_f32_e32 v4, v29, v13
	;; [unrolled: 1-line block ×4, first 2 shown]
	ds_read2_b64 v[28:31], v26 offset0:5 offset1:6
	s_waitcnt lgkmcnt(1)
	v_add_f32_e32 v3, v3, v36
	v_add_f32_e32 v4, v4, v37
	;; [unrolled: 1-line block ×4, first 2 shown]
	s_waitcnt lgkmcnt(0)
	v_add_f32_e32 v3, v3, v28
	v_add_f32_e32 v4, v4, v29
	;; [unrolled: 1-line block ×6, first 2 shown]
.LBB121_69:
	s_or_b64 exec, exec, s[10:11]
	v_mov_b32_e32 v3, s35
	v_subrev_co_u32_e64 v23, s[10:11], s34, v10
	s_and_b64 vcc, exec, s[16:17]
	v_subb_co_u32_e64 v24, s[10:11], v11, v3, s[10:11]
	s_barrier
	s_cbranch_vccnz .LBB121_74
; %bb.70:
	s_lshl_b32 s10, s22, 3
	s_ashr_i32 s11, s10, 31
	s_lshl_b64 s[10:11], s[10:11], 3
	v_mov_b32_e32 v4, s11
	v_add_co_u32_e32 v3, vcc, s10, v23
	s_ashr_i32 s23, s22, 31
	v_addc_co_u32_e32 v4, vcc, v24, v4, vcc
	s_lshl_b64 s[10:11], s[22:23], 6
	v_mov_b32_e32 v12, s11
	v_add_co_u32_e32 v9, vcc, s10, v3
	v_addc_co_u32_e32 v10, vcc, v4, v12, vcc
	v_add_co_u32_e32 v11, vcc, s10, v9
	v_addc_co_u32_e32 v12, vcc, v10, v12, vcc
	global_load_dwordx2 v[14:15], v[23:24], off
	global_load_dwordx2 v[16:17], v[3:4], off
	;; [unrolled: 1-line block ×4, first 2 shown]
	s_movk_i32 s10, 0x108
	v_mov_b32_e32 v3, 0x840
	v_mov_b32_e32 v13, 0x1080
	;; [unrolled: 1-line block ×3, first 2 shown]
	v_mul_u32_u24_e32 v9, 0x108, v7
	v_add_u32_e32 v10, 8, v7
	v_add_u32_e32 v11, 16, v7
	;; [unrolled: 1-line block ×3, first 2 shown]
	v_mad_u32_u24 v32, v7, s10, v8
	v_mad_u32_u24 v4, v7, s10, v3
	;; [unrolled: 1-line block ×4, first 2 shown]
	v_add_u32_e32 v18, v8, v4
	v_add_u32_e32 v33, v8, v3
	;; [unrolled: 1-line block ×3, first 2 shown]
	s_waitcnt vmcnt(3)
	ds_write_b64 v32, v[14:15]
	s_waitcnt vmcnt(2)
	ds_write_b64 v18, v[16:17]
	;; [unrolled: 2-line block ×4, first 2 shown]
	s_cbranch_execz .LBB121_75
	s_branch .LBB121_92
.LBB121_71:
	ds_read_b64 v[13:14], v4
	v_lshl_add_u32 v9, v5, 3, v26
	s_waitcnt lgkmcnt(0)
	ds_write_b64 v9, v[13:14]
	s_or_b64 exec, exec, s[18:19]
	v_add_u32_e32 v3, v8, v3
	s_and_saveexec_b64 s[8:9], s[10:11]
	s_cbranch_execz .LBB121_64
.LBB121_72:
	ds_read_b64 v[13:14], v3
	v_lshl_add_u32 v9, v5, 3, v26
	s_waitcnt lgkmcnt(0)
	ds_write_b64 v9, v[13:14] offset:8
	s_or_b64 exec, exec, s[8:9]
	s_and_saveexec_b64 s[8:9], s[12:13]
	s_cbranch_execz .LBB121_65
.LBB121_73:
	ds_read_b64 v[13:14], v3 offset:264
	v_lshl_add_u32 v9, v5, 3, v26
	s_waitcnt lgkmcnt(0)
	ds_write_b64 v9, v[13:14] offset:16
	s_or_b64 exec, exec, s[8:9]
	s_and_saveexec_b64 s[8:9], s[14:15]
	s_cbranch_execnz .LBB121_66
	s_branch .LBB121_67
.LBB121_74:
                                        ; implicit-def: $vgpr9
                                        ; implicit-def: $vgpr10
                                        ; implicit-def: $vgpr4
                                        ; implicit-def: $vgpr11
                                        ; implicit-def: $vgpr3
                                        ; implicit-def: $vgpr12
                                        ; implicit-def: $vgpr13
.LBB121_75:
	v_sub_co_u32_e32 v3, vcc, v23, v8
	s_ashr_i32 s25, s24, 31
	v_subbrev_co_u32_e32 v4, vcc, 0, v24, vcc
	s_lshl_b64 s[12:13], s[24:25], 3
	v_mov_b32_e32 v9, s13
	v_add_co_u32_e32 v3, vcc, s12, v3
	v_addc_co_u32_e32 v4, vcc, v4, v9, vcc
	v_or_b32_e32 v1, 32, v1
	v_add_co_u32_e32 v3, vcc, 0xfffffef8, v3
	v_addc_co_u32_e32 v4, vcc, -1, v4, vcc
	v_cmp_gt_i32_e64 s[10:11], s24, v1
	v_cndmask_b32_e64 v4, v4, v24, s[10:11]
	v_cndmask_b32_e64 v3, v3, v23, s[10:11]
	v_cmp_le_i32_e32 vcc, s24, v7
	v_mul_u32_u24_e32 v9, 0x108, v7
	s_and_saveexec_b64 s[14:15], vcc
	s_xor_b64 s[14:15], exec, s[14:15]
; %bb.76:
	v_mov_b32_e32 v10, 0
	v_add_u32_e32 v1, v8, v9
	v_mov_b32_e32 v11, v10
	ds_write_b64 v1, v[10:11]
; %bb.77:
	s_andn2_saveexec_b64 s[14:15], s[14:15]
	s_cbranch_execz .LBB121_79
; %bb.78:
	global_load_dwordx2 v[10:11], v[3:4], off
	v_add_u32_e32 v1, v8, v9
	s_waitcnt vmcnt(0)
	ds_write_b64 v1, v[10:11]
.LBB121_79:
	s_or_b64 exec, exec, s[14:15]
	v_add_u32_e32 v10, 8, v7
	v_cmp_le_i32_e32 vcc, s24, v10
	s_and_saveexec_b64 s[14:15], vcc
	s_xor_b64 s[14:15], exec, s[14:15]
; %bb.80:
	v_mov_b32_e32 v11, 0
	v_add_u32_e32 v1, v9, v8
	v_mov_b32_e32 v12, v11
	ds_write_b64 v1, v[11:12] offset:2112
; %bb.81:
	s_andn2_saveexec_b64 s[14:15], s[14:15]
	s_cbranch_execz .LBB121_83
; %bb.82:
	s_lshl_b32 s16, s22, 3
	s_ashr_i32 s17, s16, 31
	s_lshl_b64 s[16:17], s[16:17], 3
	v_mov_b32_e32 v1, s17
	v_add_co_u32_e32 v11, vcc, s16, v3
	v_addc_co_u32_e32 v12, vcc, v4, v1, vcc
	global_load_dwordx2 v[11:12], v[11:12], off
	v_add_u32_e32 v1, v9, v8
	s_waitcnt vmcnt(0)
	ds_write_b64 v1, v[11:12] offset:2112
.LBB121_83:
	s_or_b64 exec, exec, s[14:15]
	v_add_u32_e32 v11, 16, v7
	v_cmp_le_i32_e32 vcc, s24, v11
	s_and_saveexec_b64 s[14:15], vcc
	s_xor_b64 s[14:15], exec, s[14:15]
; %bb.84:
	v_mov_b32_e32 v12, 0
	v_add_u32_e32 v1, v9, v8
	v_mov_b32_e32 v13, v12
	ds_write_b64 v1, v[12:13] offset:4224
; %bb.85:
	s_andn2_saveexec_b64 s[14:15], s[14:15]
	s_cbranch_execz .LBB121_87
; %bb.86:
	s_lshl_b32 s16, s22, 4
	s_ashr_i32 s17, s16, 31
	s_lshl_b64 s[16:17], s[16:17], 3
	v_mov_b32_e32 v1, s17
	v_add_co_u32_e32 v12, vcc, s16, v3
	v_addc_co_u32_e32 v13, vcc, v4, v1, vcc
	global_load_dwordx2 v[12:13], v[12:13], off
	v_add_u32_e32 v1, v9, v8
	s_waitcnt vmcnt(0)
	ds_write_b64 v1, v[12:13] offset:4224
.LBB121_87:
	s_or_b64 exec, exec, s[14:15]
	v_add_u32_e32 v12, 24, v7
	v_cmp_le_i32_e32 vcc, s24, v12
                                        ; implicit-def: $vgpr13
	s_and_saveexec_b64 s[14:15], vcc
	s_xor_b64 s[14:15], exec, s[14:15]
; %bb.88:
	v_add_u32_e32 v13, 0x18c0, v9
	v_mov_b32_e32 v14, 0
	v_add_u32_e32 v1, v8, v13
	v_mov_b32_e32 v15, v14
	ds_write_b64 v1, v[14:15]
; %bb.89:
	s_andn2_saveexec_b64 s[14:15], s[14:15]
	s_cbranch_execz .LBB121_91
; %bb.90:
	s_mul_i32 s16, s22, 24
	s_ashr_i32 s17, s16, 31
	s_lshl_b64 s[16:17], s[16:17], 3
	v_mov_b32_e32 v1, s17
	v_add_co_u32_e32 v13, vcc, s16, v3
	v_addc_co_u32_e32 v14, vcc, v4, v1, vcc
	global_load_dwordx2 v[14:15], v[13:14], off
	v_add_u32_e32 v13, 0x18c0, v9
	v_add_u32_e32 v1, v8, v13
	s_waitcnt vmcnt(0)
	ds_write_b64 v1, v[14:15]
.LBB121_91:
	s_or_b64 exec, exec, s[14:15]
	v_add_co_u32_e32 v1, vcc, v3, v8
	v_addc_co_u32_e32 v3, vcc, 0, v4, vcc
	v_mov_b32_e32 v4, s13
	v_subrev_co_u32_e32 v1, vcc, s12, v1
	v_subb_co_u32_e32 v3, vcc, v3, v4, vcc
	v_add_co_u32_e32 v1, vcc, 0x108, v1
	v_addc_co_u32_e32 v3, vcc, 0, v3, vcc
	v_cndmask_b32_e64 v24, v3, v24, s[10:11]
	v_cndmask_b32_e64 v23, v1, v23, s[10:11]
	v_add_u32_e32 v4, 0x840, v9
	v_add_u32_e32 v3, 0x1080, v9
.LBB121_92:
	v_add_u32_e32 v1, v8, v9
	s_waitcnt lgkmcnt(0)
	s_barrier
	v_lshlrev_b32_e32 v7, 3, v7
	ds_read_b64 v[15:16], v1
	ds_read_b64 v[17:18], v7 offset:9088
	v_add_u32_e32 v1, v8, v4
	v_lshlrev_b32_e32 v4, 3, v10
	ds_read_b64 v[28:29], v1
	ds_read_b64 v[30:31], v4 offset:9088
	v_add_u32_e32 v3, v8, v3
	;; [unrolled: 4-line block ×3, first 2 shown]
	v_lshlrev_b32_e32 v7, 3, v12
	ds_read2_b32 v[40:41], v3 offset1:1
	ds_read_b64 v[42:43], v7 offset:9088
	s_waitcnt lgkmcnt(6)
	v_mul_f32_e32 v1, v18, v16
	v_fma_f32 v1, v17, v15, -v1
	s_waitcnt lgkmcnt(4)
	v_mul_f32_e32 v4, v31, v29
	v_add_f32_e32 v1, 0, v1
	v_fma_f32 v4, v30, v28, -v4
	s_waitcnt lgkmcnt(2)
	v_mul_f32_e32 v3, v39, v33
	v_add_f32_e32 v1, v1, v4
	v_fma_f32 v3, v38, v32, -v3
	v_add_f32_e32 v1, v1, v3
	s_waitcnt lgkmcnt(0)
	v_mul_f32_e32 v3, v43, v41
	v_fma_f32 v3, v42, v40, -v3
	v_mul_f32_e32 v34, v17, v16
	v_add_f32_e32 v44, v1, v3
	v_lshl_add_u32 v1, v5, 3, v26
	v_fmac_f32_e32 v34, v18, v15
	v_mul_f32_e32 v29, v30, v29
	ds_read_b128 v[11:14], v6 offset:256
	ds_read_b128 v[3:6], v6 offset:272
	ds_read2_b64 v[15:18], v1 offset1:1
	ds_read2_b64 v[7:10], v1 offset0:2 offset1:3
	v_add_f32_e32 v1, 0, v34
	v_fmac_f32_e32 v29, v31, v28
	v_mul_f32_e32 v28, v38, v33
	v_add_f32_e32 v1, v1, v29
	v_fmac_f32_e32 v28, v39, v32
	v_add_f32_e32 v1, v1, v28
	v_mul_f32_e32 v28, v42, v41
	v_fmac_f32_e32 v28, v43, v40
	v_add_f32_e32 v45, v1, v28
	s_waitcnt lgkmcnt(0)
	s_barrier
	ds_write_b64 v27, v[44:45]
	s_waitcnt lgkmcnt(0)
	s_barrier
	s_and_saveexec_b64 s[10:11], s[8:9]
	s_cbranch_execz .LBB121_94
; %bb.93:
	ds_read2_b64 v[28:31], v26 offset1:1
	ds_read2_b64 v[38:41], v26 offset0:2 offset1:3
	ds_read2_b64 v[42:45], v26 offset0:4 offset1:5
	s_waitcnt lgkmcnt(2)
	v_add_f32_e32 v1, v36, v28
	v_add_f32_e32 v28, v37, v29
	;; [unrolled: 1-line block ×3, first 2 shown]
	s_waitcnt lgkmcnt(1)
	v_add_f32_e32 v28, v28, v39
	v_add_f32_e32 v1, v1, v30
	;; [unrolled: 1-line block ×3, first 2 shown]
	ds_read2_b64 v[28:31], v26 offset0:6 offset1:7
	v_add_f32_e32 v1, v1, v38
	v_add_f32_e32 v1, v1, v40
	s_waitcnt lgkmcnt(1)
	v_add_f32_e32 v1, v1, v42
	v_add_f32_e32 v32, v32, v43
	;; [unrolled: 1-line block ×4, first 2 shown]
	s_waitcnt lgkmcnt(0)
	v_add_f32_e32 v1, v1, v28
	v_add_f32_e32 v28, v32, v29
	;; [unrolled: 1-line block ×4, first 2 shown]
.LBB121_94:
	s_or_b64 exec, exec, s[10:11]
	v_mul_f32_e32 v1, v12, v16
	v_fma_f32 v1, v11, v15, -v1
	v_mul_f32_e32 v11, v11, v16
	v_fmac_f32_e32 v11, v12, v15
	v_mul_f32_e32 v12, v14, v18
	v_add_f32_e32 v1, 0, v1
	v_fma_f32 v12, v13, v17, -v12
	v_mul_f32_e32 v13, v13, v18
	v_add_f32_e32 v1, v1, v12
	v_mul_f32_e32 v12, v4, v8
	v_add_f32_e32 v11, 0, v11
	v_fmac_f32_e32 v13, v14, v17
	v_fma_f32 v12, v3, v7, -v12
	v_mul_f32_e32 v3, v3, v8
	v_add_f32_e32 v11, v11, v13
	v_fmac_f32_e32 v3, v4, v7
	v_add_f32_e32 v4, v11, v3
	v_mul_f32_e32 v3, v6, v10
	v_fma_f32 v3, v5, v9, -v3
	v_mul_f32_e32 v5, v5, v10
	v_add_f32_e32 v1, v1, v12
	v_fmac_f32_e32 v5, v6, v9
	v_add_f32_e32 v3, v1, v3
	v_add_f32_e32 v4, v4, v5
	s_barrier
	ds_write_b64 v27, v[3:4]
	s_waitcnt lgkmcnt(0)
	s_barrier
	s_and_saveexec_b64 s[8:9], s[20:21]
	s_cbranch_execz .LBB121_96
; %bb.95:
	ds_read2_b64 v[3:6], v26 offset1:1
	ds_read2_b64 v[7:10], v26 offset0:2 offset1:3
	ds_read2_b64 v[11:14], v26 offset0:4 offset1:5
	s_waitcnt lgkmcnt(2)
	v_add_f32_e32 v1, v36, v3
	v_add_f32_e32 v3, v37, v4
	;; [unrolled: 1-line block ×4, first 2 shown]
	s_waitcnt lgkmcnt(1)
	v_add_f32_e32 v3, v3, v8
	v_add_f32_e32 v1, v1, v7
	;; [unrolled: 1-line block ×3, first 2 shown]
	ds_read2_b64 v[3:6], v26 offset0:6 offset1:7
	v_add_f32_e32 v1, v1, v9
	s_waitcnt lgkmcnt(1)
	v_add_f32_e32 v1, v1, v11
	v_add_f32_e32 v7, v7, v12
	;; [unrolled: 1-line block ×4, first 2 shown]
	s_waitcnt lgkmcnt(0)
	v_add_f32_e32 v1, v1, v3
	v_add_f32_e32 v3, v7, v4
	v_add_f32_e32 v36, v1, v5
	v_add_f32_e32 v37, v3, v6
.LBB121_96:
	s_or_b64 exec, exec, s[8:9]
	s_load_dwordx2 s[4:5], s[4:5], 0x68
	s_mul_hi_u32 s8, s40, s7
	s_mul_i32 s42, s42, s7
	s_add_i32 s8, s8, s42
	s_mul_i32 s7, s40, s7
	s_mul_i32 s8, s8, s41
	s_mul_hi_u32 s9, s7, s41
	s_add_i32 s9, s9, s8
	s_mul_i32 s8, s7, s41
	s_lshl_b64 s[8:9], s[8:9], 3
	s_waitcnt lgkmcnt(0)
	s_add_u32 s7, s4, s8
	s_mul_i32 s4, s40, s6
	s_addc_u32 s8, s5, s9
	s_ashr_i32 s5, s4, 31
	s_lshl_b64 s[4:5], s[4:5], 3
	s_add_u32 s7, s7, s4
	v_cmp_le_i32_e32 vcc, s24, v0
	s_addc_u32 s27, s8, s5
	s_and_b64 vcc, s[30:31], vcc
	s_cmp_lt_i32 s6, 1
	v_lshlrev_b32_e32 v72, 3, v0
	s_barrier
	s_cbranch_scc1 .LBB121_103
; %bb.97:
	s_mul_i32 s4, s33, s26
	s_ashr_i32 s5, s4, 31
	s_lshl_b64 s[4:5], s[4:5], 3
	v_mov_b32_e32 v1, s5
	v_subrev_co_u32_e64 v73, s[4:5], s4, v19
	v_mul_lo_u32 v4, v2, s22
	v_subb_co_u32_e64 v74, s[4:5], v20, v1, s[4:5]
	v_mov_b32_e32 v1, s29
	v_subrev_co_u32_e64 v3, s[4:5], s28, v23
	v_subb_co_u32_e64 v1, s[4:5], v24, v1, s[4:5]
	v_sub_co_u32_e64 v7, s[4:5], v3, v21
	v_lshl_add_u32 v3, v4, 2, v0
	v_ashrrev_i32_e32 v4, 31, v3
	v_lshlrev_b64 v[3:4], 3, v[3:4]
	v_subb_co_u32_e64 v1, s[4:5], v1, v22, s[4:5]
	v_add_co_u32_e64 v3, s[4:5], v7, v3
	v_addc_co_u32_e64 v4, s[4:5], v1, v4, s[4:5]
	s_movk_i32 s4, 0xff00
	v_add_co_u32_e64 v7, s[4:5], s4, v3
	v_addc_co_u32_e64 v8, s[4:5], -1, v4, s[4:5]
	v_sub_co_u32_e64 v3, s[4:5], v3, v72
	v_subbrev_co_u32_e64 v4, s[4:5], 0, v4, s[4:5]
	s_ashr_i32 s25, s24, 31
	s_lshl_b64 s[4:5], s[24:25], 3
	v_mov_b32_e32 v9, s5
	v_add_co_u32_e64 v3, s[4:5], s4, v3
	v_addc_co_u32_e64 v4, s[4:5], v4, v9, s[4:5]
	s_movk_i32 s4, 0xfef8
	v_add_co_u32_e64 v3, s[4:5], s4, v3
	v_addc_co_u32_e64 v4, s[4:5], -1, v4, s[4:5]
	v_cndmask_b32_e32 v39, v8, v4, vcc
	v_and_b32_e32 v4, 48, v0
	v_lshrrev_b32_e32 v5, 4, v25
	v_and_b32_e32 v6, 15, v0
	v_cndmask_b32_e32 v38, v7, v3, vcc
	v_mov_b32_e32 v3, 0x2180
	s_movk_i32 s8, 0x218
	v_lshlrev_b32_e32 v4, 3, v4
	v_lshl_add_u32 v76, v2, 5, v3
	v_lshlrev_b32_e32 v3, 5, v5
	v_mad_u32_u24 v80, v6, s8, v4
	v_or_b32_e32 v4, 0x78, v72
	s_ashr_i32 s23, s22, 31
	s_movk_i32 s4, 0x860
	v_mad_u32_u24 v79, v6, s8, v3
	v_mul_i32_i24_e32 v3, 0xffffffe8, v5
	v_mad_u32_u24 v81, v6, s8, v4
	s_lshl_b64 s[10:11], s[22:23], 3
	s_lshl_b64 s[12:13], s[22:23], 9
	;; [unrolled: 1-line block ×3, first 2 shown]
	s_mul_hi_i32 s8, s22, 24
	s_mul_hi_i32 s9, s22, 0x90
	;; [unrolled: 1-line block ×10, first 2 shown]
	s_lshl_b64 s[16:17], s[22:23], 8
	s_mul_hi_i32 s45, s22, 0x88
	s_lshl_b64 s[18:19], s[22:23], 7
	v_mov_b32_e32 v1, 0
	s_lshl_b32 s24, s33, 6
	v_add_u32_e32 v75, 0x2180, v72
	v_add_u32_e32 v77, 0x2380, v72
	v_mad_u32_u24 v78, v2, s4, v72
	v_cmp_gt_u32_e64 s[4:5], 64, v25
	s_mul_i32 s25, s22, 24
	s_mul_i32 s26, s22, 0x90
	;; [unrolled: 1-line block ×11, first 2 shown]
	s_mov_b32 s20, 0
	v_mov_b32_e32 v82, s11
	v_mov_b32_e32 v83, s15
	;; [unrolled: 1-line block ×15, first 2 shown]
	v_add_u32_e32 v97, v79, v3
	v_mov_b32_e32 v98, s13
	s_branch .LBB121_99
.LBB121_98:                             ;   in Loop: Header=BB121_99 Depth=1
	s_or_b64 exec, exec, s[22:23]
	v_mul_f32_e32 v99, v8, v41
	v_fma_f32 v99, v7, v40, -v99
	v_mul_f32_e32 v8, v8, v40
	v_mul_f32_e32 v40, v10, v43
	v_add_f32_e32 v36, v36, v99
	v_fma_f32 v40, v9, v42, -v40
	v_mul_f32_e32 v10, v10, v42
	v_add_f32_e32 v36, v36, v40
	v_mul_f32_e32 v40, v4, v45
	v_fmac_f32_e32 v8, v7, v41
	v_fma_f32 v40, v3, v44, -v40
	v_mul_f32_e32 v4, v4, v44
	v_add_f32_e32 v7, v37, v8
	v_fmac_f32_e32 v10, v9, v43
	v_add_f32_e32 v36, v36, v40
	v_mul_f32_e32 v40, v6, v47
	v_mul_f32_e32 v6, v6, v46
	v_add_f32_e32 v7, v7, v10
	v_fmac_f32_e32 v4, v3, v45
	v_fma_f32 v40, v5, v46, -v40
	v_add_f32_e32 v3, v7, v4
	v_fmac_f32_e32 v6, v5, v47
	v_mul_f32_e32 v4, v16, v53
	v_add_f32_e32 v36, v36, v40
	v_add_f32_e32 v3, v3, v6
	v_fma_f32 v4, v15, v52, -v4
	v_mul_f32_e32 v6, v18, v51
	v_add_f32_e32 v4, v36, v4
	v_fma_f32 v6, v17, v50, -v6
	v_add_f32_e32 v4, v4, v6
	v_mul_f32_e32 v6, v12, v49
	v_mul_f32_e32 v5, v16, v52
	v_fma_f32 v6, v11, v48, -v6
	v_add_f32_e32 v4, v4, v6
	v_mul_f32_e32 v6, v14, v55
	v_fmac_f32_e32 v5, v15, v53
	v_fma_f32 v6, v13, v54, -v6
	v_add_f32_e32 v3, v3, v5
	v_mul_f32_e32 v5, v24, v61
	v_add_f32_e32 v4, v4, v6
	v_fma_f32 v5, v23, v60, -v5
	v_add_f32_e32 v4, v4, v5
	v_mul_f32_e32 v5, v26, v57
	v_fma_f32 v5, v25, v56, -v5
	v_mul_f32_e32 v7, v18, v50
	v_add_f32_e32 v4, v4, v5
	v_mul_f32_e32 v5, v20, v59
	v_mul_f32_e32 v8, v12, v48
	v_fmac_f32_e32 v7, v17, v51
	v_fma_f32 v5, v19, v58, -v5
	v_mul_f32_e32 v9, v14, v54
	v_add_f32_e32 v3, v3, v7
	v_fmac_f32_e32 v8, v11, v49
	v_add_f32_e32 v4, v4, v5
	v_mul_f32_e32 v5, v22, v63
	v_add_f32_e32 v3, v3, v8
	v_fmac_f32_e32 v9, v13, v55
	v_mul_f32_e32 v6, v24, v60
	v_fma_f32 v5, v21, v62, -v5
	v_add_f32_e32 v3, v3, v9
	v_mul_f32_e32 v7, v26, v56
	v_add_f32_e32 v4, v4, v5
	v_fmac_f32_e32 v6, v23, v61
	v_mul_f32_e32 v5, v32, v69
	v_mul_f32_e32 v8, v20, v58
	v_add_f32_e32 v3, v3, v6
	v_fmac_f32_e32 v7, v25, v57
	v_fma_f32 v5, v31, v68, -v5
	v_mul_f32_e32 v9, v22, v62
	v_add_f32_e32 v3, v3, v7
	v_fmac_f32_e32 v8, v19, v59
	v_add_f32_e32 v4, v4, v5
	v_mul_f32_e32 v5, v34, v67
	v_add_f32_e32 v3, v3, v8
	v_fmac_f32_e32 v9, v21, v63
	v_mul_f32_e32 v6, v32, v68
	v_fma_f32 v5, v33, v66, -v5
	v_add_f32_e32 v3, v3, v9
	v_mul_f32_e32 v7, v34, v66
	v_add_f32_e32 v4, v4, v5
	v_mul_f32_e32 v5, v28, v65
	v_fmac_f32_e32 v6, v31, v69
	v_fma_f32 v5, v27, v64, -v5
	v_mul_f32_e32 v8, v28, v64
	v_fmac_f32_e32 v7, v33, v67
	v_add_f32_e32 v3, v3, v6
	v_add_f32_e32 v4, v4, v5
	v_mul_f32_e32 v5, v30, v71
	v_mul_f32_e32 v9, v30, v70
	v_fmac_f32_e32 v8, v27, v65
	v_add_f32_e32 v3, v3, v7
	v_fma_f32 v5, v29, v70, -v5
	v_fmac_f32_e32 v9, v29, v71
	v_add_f32_e32 v3, v3, v8
	v_add_co_u32_e64 v38, s[8:9], s12, v38
	s_add_i32 s6, s6, -1
	s_add_i32 s20, s20, s24
	v_add_f32_e32 v36, v4, v5
	v_add_f32_e32 v37, v3, v9
	v_addc_co_u32_e64 v39, s[8:9], v39, v98, s[8:9]
	s_cmp_eq_u32 s6, 0
	v_add_u32_e32 v0, 64, v0
	s_waitcnt vmcnt(0)
	s_barrier
	s_cbranch_scc1 .LBB121_103
.LBB121_99:                             ; =>This Inner Loop Header: Depth=1
	s_and_saveexec_b64 s[22:23], s[2:3]
	s_cbranch_execz .LBB121_101
; %bb.100:                              ;   in Loop: Header=BB121_99 Depth=1
	s_ashr_i32 s21, s20, 31
	s_lshl_b64 s[8:9], s[20:21], 3
	v_mov_b32_e32 v4, s9
	v_add_co_u32_e64 v3, s[8:9], s8, v73
	v_addc_co_u32_e64 v4, s[8:9], v74, v4, s[8:9]
	global_load_dwordx2 v[3:4], v[3:4], off
	s_waitcnt vmcnt(0)
	ds_write_b64 v75, v[3:4]
.LBB121_101:                            ;   in Loop: Header=BB121_99 Depth=1
	s_or_b64 exec, exec, s[22:23]
	v_add_co_u32_e64 v3, s[8:9], s10, v38
	v_addc_co_u32_e64 v4, s[8:9], v39, v82, s[8:9]
	v_add_co_u32_e64 v5, s[8:9], s14, v38
	v_addc_co_u32_e64 v6, s[8:9], v39, v83, s[8:9]
	s_waitcnt lgkmcnt(0)
	s_barrier
	global_load_dwordx2 v[40:41], v[38:39], off
	global_load_dwordx2 v[42:43], v[3:4], off
	;; [unrolled: 1-line block ×3, first 2 shown]
	v_add_co_u32_e64 v3, s[8:9], s25, v38
	v_addc_co_u32_e64 v4, s[8:9], v39, v84, s[8:9]
	global_load_dwordx2 v[46:47], v[3:4], off
	v_add_co_u32_e64 v13, s[8:9], s18, v38
	v_addc_co_u32_e64 v14, s[8:9], v39, v85, s[8:9]
	ds_read_b64 v[11:12], v77
	ds_read_b128 v[7:10], v76
	ds_read_b128 v[3:6], v76 offset:16
	v_add_co_u32_e64 v15, s[8:9], s37, v38
	v_addc_co_u32_e64 v16, s[8:9], v39, v86, s[8:9]
	v_add_co_u32_e64 v17, s[8:9], s26, v38
	v_addc_co_u32_e64 v18, s[8:9], v39, v87, s[8:9]
	s_waitcnt vmcnt(3) lgkmcnt(2)
	v_mul_f32_e32 v19, v12, v41
	v_mul_f32_e32 v20, v12, v40
	s_waitcnt vmcnt(2)
	v_mul_f32_e32 v21, v12, v43
	v_mul_f32_e32 v22, v12, v42
	s_waitcnt vmcnt(1)
	;; [unrolled: 3-line block ×3, first 2 shown]
	v_mul_f32_e32 v25, v12, v47
	v_fma_f32 v19, v11, v40, -v19
	v_fmac_f32_e32 v20, v11, v41
	v_mul_f32_e32 v26, v11, v47
	v_fma_f32 v21, v11, v42, -v21
	v_fmac_f32_e32 v22, v11, v43
	v_fma_f32 v23, v11, v44, -v23
	v_fma_f32 v25, v11, v46, -v25
	v_fmac_f32_e32 v24, v11, v45
	v_add_co_u32_e64 v11, s[8:9], s28, v38
	v_fmac_f32_e32 v26, v12, v46
	ds_write2_b64 v78, v[19:20], v[21:22] offset1:67
	ds_write2_b64 v78, v[23:24], v[25:26] offset0:134 offset1:201
	s_waitcnt lgkmcnt(0)
	s_barrier
	ds_read2_b64 v[27:30], v79 offset1:1
	ds_read2_b64 v[31:34], v79 offset0:2 offset1:3
	s_waitcnt lgkmcnt(0)
	s_barrier
	global_load_dwordx2 v[52:53], v[13:14], off
	global_load_dwordx2 v[50:51], v[15:16], off
	;; [unrolled: 1-line block ×3, first 2 shown]
	v_addc_co_u32_e64 v12, s[8:9], v39, v88, s[8:9]
	global_load_dwordx2 v[54:55], v[11:12], off
	ds_read_b64 v[23:24], v77
	v_add_co_u32_e64 v19, s[8:9], s16, v38
	v_addc_co_u32_e64 v20, s[8:9], v39, v89, s[8:9]
	v_add_co_u32_e64 v21, s[8:9], s36, v38
	v_addc_co_u32_e64 v22, s[8:9], v39, v90, s[8:9]
	;; [unrolled: 2-line block ×3, first 2 shown]
	ds_read_b128 v[15:18], v76 offset:128
	ds_read_b128 v[11:14], v76 offset:144
	v_add_f32_e32 v27, 0, v27
	v_add_f32_e32 v28, 0, v28
	;; [unrolled: 1-line block ×6, first 2 shown]
	s_waitcnt vmcnt(3) lgkmcnt(2)
	v_mul_f32_e32 v56, v24, v53
	v_mul_f32_e32 v57, v24, v52
	s_waitcnt vmcnt(2)
	v_mul_f32_e32 v58, v24, v51
	v_mul_f32_e32 v59, v24, v50
	s_waitcnt vmcnt(1)
	;; [unrolled: 3-line block ×3, first 2 shown]
	v_mul_f32_e32 v62, v24, v55
	v_mul_f32_e32 v63, v23, v55
	v_fma_f32 v56, v23, v52, -v56
	v_fma_f32 v58, v23, v50, -v58
	;; [unrolled: 1-line block ×3, first 2 shown]
	v_fmac_f32_e32 v57, v23, v53
	v_fmac_f32_e32 v59, v23, v51
	;; [unrolled: 1-line block ×3, first 2 shown]
	v_fma_f32 v62, v23, v54, -v62
	v_fmac_f32_e32 v63, v24, v54
	ds_write2_b64 v78, v[56:57], v[58:59] offset1:67
	ds_write2_b64 v78, v[60:61], v[62:63] offset0:134 offset1:201
	s_waitcnt lgkmcnt(0)
	s_barrier
	ds_read2_b64 v[99:102], v79 offset1:1
	ds_read2_b64 v[103:106], v79 offset0:2 offset1:3
	s_waitcnt lgkmcnt(0)
	s_barrier
	global_load_dwordx2 v[60:61], v[19:20], off
	global_load_dwordx2 v[56:57], v[21:22], off
	;; [unrolled: 1-line block ×3, first 2 shown]
	v_add_co_u32_e64 v19, s[8:9], s30, v38
	v_addc_co_u32_e64 v20, s[8:9], v39, v92, s[8:9]
	global_load_dwordx2 v[62:63], v[19:20], off
	ds_read_b64 v[64:65], v77
	v_add_co_u32_e64 v70, s[8:9], s35, v38
	v_addc_co_u32_e64 v71, s[8:9], v39, v93, s[8:9]
	v_add_co_u32_e64 v115, s[8:9], s34, v38
	v_addc_co_u32_e64 v116, s[8:9], v39, v94, s[8:9]
	;; [unrolled: 2-line block ×3, first 2 shown]
	ds_read_b128 v[23:26], v76 offset:256
	ds_read_b128 v[19:22], v76 offset:272
	s_waitcnt vmcnt(3) lgkmcnt(2)
	v_mul_f32_e32 v66, v65, v61
	v_mul_f32_e32 v67, v65, v60
	s_waitcnt vmcnt(2)
	v_mul_f32_e32 v68, v65, v57
	v_mul_f32_e32 v69, v65, v56
	s_waitcnt vmcnt(1)
	v_mul_f32_e32 v107, v65, v59
	v_mul_f32_e32 v108, v65, v58
	v_fma_f32 v66, v64, v60, -v66
	s_waitcnt vmcnt(0)
	v_mul_f32_e32 v109, v65, v63
	v_mul_f32_e32 v110, v64, v63
	v_fma_f32 v68, v64, v56, -v68
	v_fmac_f32_e32 v67, v64, v61
	v_fmac_f32_e32 v69, v64, v57
	v_fma_f32 v107, v64, v58, -v107
	v_fma_f32 v109, v64, v62, -v109
	v_fmac_f32_e32 v108, v64, v59
	v_fmac_f32_e32 v110, v65, v62
	ds_write2_b64 v78, v[66:67], v[68:69] offset1:67
	ds_write2_b64 v78, v[107:108], v[109:110] offset0:134 offset1:201
	s_waitcnt lgkmcnt(0)
	s_barrier
	ds_read2_b64 v[107:110], v79 offset1:1
	ds_read2_b64 v[111:114], v79 offset0:2 offset1:3
	s_waitcnt lgkmcnt(0)
	s_barrier
	global_load_dwordx2 v[68:69], v[70:71], off
	global_load_dwordx2 v[66:67], v[115:116], off
	;; [unrolled: 1-line block ×3, first 2 shown]
	v_add_co_u32_e64 v70, s[8:9], s33, v38
	v_addc_co_u32_e64 v71, s[8:9], v39, v96, s[8:9]
	global_load_dwordx2 v[70:71], v[70:71], off
	v_add_f32_e32 v115, v27, v33
	v_add_f32_e32 v116, v28, v34
	;; [unrolled: 1-line block ×10, first 2 shown]
	ds_read_b64 v[99:100], v77
	ds_read_b128 v[31:34], v76 offset:384
	ds_read_b128 v[27:30], v76 offset:400
	v_add_f32_e32 v101, 0, v107
	v_add_f32_e32 v102, 0, v108
	;; [unrolled: 1-line block ×8, first 2 shown]
	s_waitcnt vmcnt(3) lgkmcnt(2)
	v_mul_f32_e32 v101, v100, v69
	v_mul_f32_e32 v102, v100, v68
	s_waitcnt vmcnt(2)
	v_mul_f32_e32 v103, v100, v67
	v_mul_f32_e32 v104, v100, v66
	s_waitcnt vmcnt(1)
	v_mul_f32_e32 v105, v100, v65
	v_mul_f32_e32 v106, v100, v64
	v_fma_f32 v101, v99, v68, -v101
	s_waitcnt vmcnt(0)
	v_mul_f32_e32 v109, v100, v71
	v_mul_f32_e32 v110, v99, v71
	v_fma_f32 v103, v99, v66, -v103
	v_fmac_f32_e32 v102, v99, v69
	v_fmac_f32_e32 v104, v99, v67
	v_fma_f32 v105, v99, v64, -v105
	v_fmac_f32_e32 v106, v99, v65
	v_fma_f32 v109, v99, v70, -v109
	v_fmac_f32_e32 v110, v100, v70
	ds_write2_b64 v78, v[101:102], v[103:104] offset1:67
	ds_write2_b64 v78, v[105:106], v[109:110] offset0:134 offset1:201
	s_waitcnt lgkmcnt(0)
	s_barrier
	ds_read2_b64 v[99:102], v79 offset1:1
	ds_read2_b64 v[103:106], v79 offset0:2 offset1:3
	s_waitcnt lgkmcnt(0)
	s_barrier
	v_add_f32_e32 v99, 0, v99
	v_add_f32_e32 v100, 0, v100
	;; [unrolled: 1-line block ×8, first 2 shown]
	ds_write2_b64 v97, v[115:116], v[117:118] offset1:16
	ds_write2_b64 v97, v[107:108], v[99:100] offset0:32 offset1:48
	s_waitcnt lgkmcnt(0)
	s_barrier
	s_and_saveexec_b64 s[22:23], s[4:5]
	s_cbranch_execz .LBB121_98
; %bb.102:                              ;   in Loop: Header=BB121_99 Depth=1
	ds_read_b64 v[107:108], v80
	ds_read2_b64 v[99:102], v80 offset0:1 offset1:2
	ds_read2_b64 v[103:106], v80 offset0:3 offset1:4
	s_waitcnt lgkmcnt(1)
	v_add_f32_e32 v99, v99, v107
	v_add_f32_e32 v100, v100, v108
	v_add_f32_e32 v107, v101, v99
	v_add_f32_e32 v108, v102, v100
	ds_read2_b64 v[99:102], v80 offset0:5 offset1:6
	s_waitcnt lgkmcnt(1)
	v_add_f32_e32 v103, v107, v103
	v_add_f32_e32 v104, v108, v104
	;; [unrolled: 1-line block ×4, first 2 shown]
	s_waitcnt lgkmcnt(0)
	v_add_f32_e32 v99, v103, v99
	ds_read2_b64 v[103:106], v80 offset0:7 offset1:8
	v_add_f32_e32 v100, v107, v100
	v_add_f32_e32 v107, v99, v101
	;; [unrolled: 1-line block ×3, first 2 shown]
	ds_read2_b64 v[99:102], v80 offset0:9 offset1:10
	s_waitcnt lgkmcnt(1)
	v_add_f32_e32 v103, v107, v103
	v_add_f32_e32 v104, v108, v104
	;; [unrolled: 1-line block ×4, first 2 shown]
	s_waitcnt lgkmcnt(0)
	v_add_f32_e32 v99, v103, v99
	ds_read2_b64 v[103:106], v80 offset0:11 offset1:12
	v_add_f32_e32 v100, v107, v100
	v_add_f32_e32 v107, v99, v101
	;; [unrolled: 1-line block ×3, first 2 shown]
	ds_read2_b64 v[99:102], v80 offset0:13 offset1:14
	s_waitcnt lgkmcnt(1)
	v_add_f32_e32 v103, v107, v103
	v_add_f32_e32 v104, v108, v104
	;; [unrolled: 1-line block ×4, first 2 shown]
	ds_read_b64 v[103:104], v81
	s_waitcnt lgkmcnt(1)
	v_add_f32_e32 v99, v105, v99
	v_add_f32_e32 v100, v106, v100
	;; [unrolled: 1-line block ×4, first 2 shown]
	v_lshlrev_b64 v[101:102], 3, v[0:1]
	s_waitcnt lgkmcnt(0)
	v_add_f32_e32 v99, v99, v103
	v_mov_b32_e32 v103, s27
	v_add_co_u32_e64 v101, s[8:9], s7, v101
	v_add_f32_e32 v100, v100, v104
	v_addc_co_u32_e64 v102, s[8:9], v103, v102, s[8:9]
	global_store_dwordx2 v[101:102], v[99:100], off
	s_branch .LBB121_98
.LBB121_103:
	s_movk_i32 s2, 0x218
	v_mad_u32_u24 v0, v2, s2, v72
	s_nor_b64 s[0:1], s[0:1], vcc
	ds_write_b64 v0, v[36:37]
	s_waitcnt lgkmcnt(0)
	s_barrier
	s_and_saveexec_b64 s[2:3], s[0:1]
	s_cbranch_execz .LBB121_105
; %bb.104:
	ds_read2_b64 v[0:3], v72 offset1:67
	ds_read2_b64 v[4:7], v72 offset0:134 offset1:201
	v_ashrrev_i32_e32 v36, 31, v35
	s_waitcnt lgkmcnt(1)
	v_add_f32_e32 v0, v2, v0
	v_add_f32_e32 v1, v3, v1
	v_lshlrev_b64 v[2:3], 3, v[35:36]
	s_waitcnt lgkmcnt(0)
	v_add_f32_e32 v0, v4, v0
	v_add_f32_e32 v1, v5, v1
	v_mov_b32_e32 v4, s27
	v_add_co_u32_e32 v2, vcc, s7, v2
	v_add_f32_e32 v0, v0, v6
	v_add_f32_e32 v1, v1, v7
	v_addc_co_u32_e32 v3, vcc, v4, v3, vcc
	global_store_dwordx2 v[2:3], v[0:1], off
.LBB121_105:
	s_endpgm
	.section	.rodata,"a",@progbits
	.p2align	6, 0x0
	.amdhsa_kernel _ZL26rocblas_hemvn_kernel_lowerILb0ELi64ELi4ELi33ELi32ELi16Ei19rocblas_complex_numIfEPKS1_PS1_EviT6_lT7_lT5_lS6_lS7_lS5_lT8_i
		.amdhsa_group_segment_fixed_size 9600
		.amdhsa_private_segment_fixed_size 0
		.amdhsa_kernarg_size 376
		.amdhsa_user_sgpr_count 6
		.amdhsa_user_sgpr_private_segment_buffer 1
		.amdhsa_user_sgpr_dispatch_ptr 0
		.amdhsa_user_sgpr_queue_ptr 0
		.amdhsa_user_sgpr_kernarg_segment_ptr 1
		.amdhsa_user_sgpr_dispatch_id 0
		.amdhsa_user_sgpr_flat_scratch_init 0
		.amdhsa_user_sgpr_private_segment_size 0
		.amdhsa_uses_dynamic_stack 0
		.amdhsa_system_sgpr_private_segment_wavefront_offset 0
		.amdhsa_system_sgpr_workgroup_id_x 1
		.amdhsa_system_sgpr_workgroup_id_y 0
		.amdhsa_system_sgpr_workgroup_id_z 1
		.amdhsa_system_sgpr_workgroup_info 0
		.amdhsa_system_vgpr_workitem_id 1
		.amdhsa_next_free_vgpr 119
		.amdhsa_next_free_sgpr 93
		.amdhsa_reserve_vcc 1
		.amdhsa_reserve_flat_scratch 0
		.amdhsa_float_round_mode_32 0
		.amdhsa_float_round_mode_16_64 0
		.amdhsa_float_denorm_mode_32 3
		.amdhsa_float_denorm_mode_16_64 3
		.amdhsa_dx10_clamp 1
		.amdhsa_ieee_mode 1
		.amdhsa_fp16_overflow 0
		.amdhsa_exception_fp_ieee_invalid_op 0
		.amdhsa_exception_fp_denorm_src 0
		.amdhsa_exception_fp_ieee_div_zero 0
		.amdhsa_exception_fp_ieee_overflow 0
		.amdhsa_exception_fp_ieee_underflow 0
		.amdhsa_exception_fp_ieee_inexact 0
		.amdhsa_exception_int_div_zero 0
	.end_amdhsa_kernel
	.section	.text._ZL26rocblas_hemvn_kernel_lowerILb0ELi64ELi4ELi33ELi32ELi16Ei19rocblas_complex_numIfEPKS1_PS1_EviT6_lT7_lT5_lS6_lS7_lS5_lT8_i,"axG",@progbits,_ZL26rocblas_hemvn_kernel_lowerILb0ELi64ELi4ELi33ELi32ELi16Ei19rocblas_complex_numIfEPKS1_PS1_EviT6_lT7_lT5_lS6_lS7_lS5_lT8_i,comdat
.Lfunc_end121:
	.size	_ZL26rocblas_hemvn_kernel_lowerILb0ELi64ELi4ELi33ELi32ELi16Ei19rocblas_complex_numIfEPKS1_PS1_EviT6_lT7_lT5_lS6_lS7_lS5_lT8_i, .Lfunc_end121-_ZL26rocblas_hemvn_kernel_lowerILb0ELi64ELi4ELi33ELi32ELi16Ei19rocblas_complex_numIfEPKS1_PS1_EviT6_lT7_lT5_lS6_lS7_lS5_lT8_i
                                        ; -- End function
	.set _ZL26rocblas_hemvn_kernel_lowerILb0ELi64ELi4ELi33ELi32ELi16Ei19rocblas_complex_numIfEPKS1_PS1_EviT6_lT7_lT5_lS6_lS7_lS5_lT8_i.num_vgpr, 119
	.set _ZL26rocblas_hemvn_kernel_lowerILb0ELi64ELi4ELi33ELi32ELi16Ei19rocblas_complex_numIfEPKS1_PS1_EviT6_lT7_lT5_lS6_lS7_lS5_lT8_i.num_agpr, 0
	.set _ZL26rocblas_hemvn_kernel_lowerILb0ELi64ELi4ELi33ELi32ELi16Ei19rocblas_complex_numIfEPKS1_PS1_EviT6_lT7_lT5_lS6_lS7_lS5_lT8_i.numbered_sgpr, 46
	.set _ZL26rocblas_hemvn_kernel_lowerILb0ELi64ELi4ELi33ELi32ELi16Ei19rocblas_complex_numIfEPKS1_PS1_EviT6_lT7_lT5_lS6_lS7_lS5_lT8_i.num_named_barrier, 0
	.set _ZL26rocblas_hemvn_kernel_lowerILb0ELi64ELi4ELi33ELi32ELi16Ei19rocblas_complex_numIfEPKS1_PS1_EviT6_lT7_lT5_lS6_lS7_lS5_lT8_i.private_seg_size, 0
	.set _ZL26rocblas_hemvn_kernel_lowerILb0ELi64ELi4ELi33ELi32ELi16Ei19rocblas_complex_numIfEPKS1_PS1_EviT6_lT7_lT5_lS6_lS7_lS5_lT8_i.uses_vcc, 1
	.set _ZL26rocblas_hemvn_kernel_lowerILb0ELi64ELi4ELi33ELi32ELi16Ei19rocblas_complex_numIfEPKS1_PS1_EviT6_lT7_lT5_lS6_lS7_lS5_lT8_i.uses_flat_scratch, 0
	.set _ZL26rocblas_hemvn_kernel_lowerILb0ELi64ELi4ELi33ELi32ELi16Ei19rocblas_complex_numIfEPKS1_PS1_EviT6_lT7_lT5_lS6_lS7_lS5_lT8_i.has_dyn_sized_stack, 0
	.set _ZL26rocblas_hemvn_kernel_lowerILb0ELi64ELi4ELi33ELi32ELi16Ei19rocblas_complex_numIfEPKS1_PS1_EviT6_lT7_lT5_lS6_lS7_lS5_lT8_i.has_recursion, 0
	.set _ZL26rocblas_hemvn_kernel_lowerILb0ELi64ELi4ELi33ELi32ELi16Ei19rocblas_complex_numIfEPKS1_PS1_EviT6_lT7_lT5_lS6_lS7_lS5_lT8_i.has_indirect_call, 0
	.section	.AMDGPU.csdata,"",@progbits
; Kernel info:
; codeLenInByte = 7504
; TotalNumSgprs: 50
; NumVgprs: 119
; ScratchSize: 0
; MemoryBound: 1
; FloatMode: 240
; IeeeMode: 1
; LDSByteSize: 9600 bytes/workgroup (compile time only)
; SGPRBlocks: 12
; VGPRBlocks: 29
; NumSGPRsForWavesPerEU: 97
; NumVGPRsForWavesPerEU: 119
; Occupancy: 2
; WaveLimiterHint : 1
; COMPUTE_PGM_RSRC2:SCRATCH_EN: 0
; COMPUTE_PGM_RSRC2:USER_SGPR: 6
; COMPUTE_PGM_RSRC2:TRAP_HANDLER: 0
; COMPUTE_PGM_RSRC2:TGID_X_EN: 1
; COMPUTE_PGM_RSRC2:TGID_Y_EN: 0
; COMPUTE_PGM_RSRC2:TGID_Z_EN: 1
; COMPUTE_PGM_RSRC2:TIDIG_COMP_CNT: 1
	.section	.text._ZL26rocblas_hemvn_kernel_upperILb0ELi64ELi4ELi33ELi32ELi16ElPK19rocblas_complex_numIdES3_PS1_EviT6_lT7_lT5_lS6_lS7_lS5_lT8_i,"axG",@progbits,_ZL26rocblas_hemvn_kernel_upperILb0ELi64ELi4ELi33ELi32ELi16ElPK19rocblas_complex_numIdES3_PS1_EviT6_lT7_lT5_lS6_lS7_lS5_lT8_i,comdat
	.globl	_ZL26rocblas_hemvn_kernel_upperILb0ELi64ELi4ELi33ELi32ELi16ElPK19rocblas_complex_numIdES3_PS1_EviT6_lT7_lT5_lS6_lS7_lS5_lT8_i ; -- Begin function _ZL26rocblas_hemvn_kernel_upperILb0ELi64ELi4ELi33ELi32ELi16ElPK19rocblas_complex_numIdES3_PS1_EviT6_lT7_lT5_lS6_lS7_lS5_lT8_i
	.p2align	8
	.type	_ZL26rocblas_hemvn_kernel_upperILb0ELi64ELi4ELi33ELi32ELi16ElPK19rocblas_complex_numIdES3_PS1_EviT6_lT7_lT5_lS6_lS7_lS5_lT8_i,@function
_ZL26rocblas_hemvn_kernel_upperILb0ELi64ELi4ELi33ELi32ELi16ElPK19rocblas_complex_numIdES3_PS1_EviT6_lT7_lT5_lS6_lS7_lS5_lT8_i: ; @_ZL26rocblas_hemvn_kernel_upperILb0ELi64ELi4ELi33ELi32ELi16ElPK19rocblas_complex_numIdES3_PS1_EviT6_lT7_lT5_lS6_lS7_lS5_lT8_i
; %bb.0:
	s_load_dwordx2 s[2:3], s[4:5], 0x84
	s_add_u32 s0, s4, 0x78
	s_addc_u32 s1, s5, 0
	s_waitcnt lgkmcnt(0)
	s_lshr_b32 s8, s2, 16
	s_and_b32 s2, s2, 0xffff
	s_and_b32 s3, s3, 0xffff
	s_mul_i32 s2, s8, s2
	s_mul_i32 s2, s2, s3
	s_cmpk_lg_i32 s2, 0x100
	s_cbranch_scc1 .LBB122_156
; %bb.1:
	s_load_dwordx16 s[8:23], s[4:5], 0x8
	s_waitcnt lgkmcnt(0)
	s_mul_i32 s3, s11, s7
	s_mul_hi_u32 s11, s10, s7
	s_mul_i32 s2, s10, s7
	s_add_i32 s3, s11, s3
	s_lshl_b64 s[2:3], s[2:3], 4
	s_add_u32 s2, s8, s2
	s_addc_u32 s3, s9, s3
	s_load_dwordx4 s[8:11], s[2:3], 0x0
	s_load_dwordx2 s[34:35], s[4:5], 0x68
	s_load_dwordx8 s[24:31], s[4:5], 0x48
	s_waitcnt lgkmcnt(0)
	v_cmp_neq_f64_e64 s[2:3], s[8:9], 0
	v_cmp_neq_f64_e64 s[8:9], s[10:11], 0
	s_or_b64 s[2:3], s[2:3], s[8:9]
	s_mov_b64 s[8:9], -1
	s_and_b64 vcc, exec, s[2:3]
	s_cbranch_vccnz .LBB122_3
; %bb.2:
	s_mul_i32 s8, s31, s7
	s_mul_hi_u32 s9, s30, s7
	s_add_i32 s9, s9, s8
	s_mul_i32 s8, s30, s7
	s_lshl_b64 s[8:9], s[8:9], 4
	s_add_u32 s28, s28, s8
	s_addc_u32 s29, s29, s9
	s_load_dwordx4 s[8:11], s[28:29], 0x0
	s_waitcnt lgkmcnt(0)
	v_cmp_neq_f64_e64 s[8:9], s[8:9], 1.0
	v_cmp_neq_f64_e64 s[10:11], s[10:11], 0
	s_or_b64 s[8:9], s[8:9], s[10:11]
.LBB122_3:
	s_andn2_b64 vcc, exec, s[8:9]
	s_cbranch_vccnz .LBB122_156
; %bb.4:
	s_andn2_b64 vcc, exec, s[2:3]
	s_cbranch_vccnz .LBB122_156
; %bb.5:
	s_load_dword s33, s[0:1], 0x0
	s_load_dword s37, s[4:5], 0x0
	s_mul_i32 s0, s27, s7
	s_mul_hi_u32 s1, s26, s7
	s_add_i32 s1, s1, s0
	s_mul_i32 s0, s26, s7
	s_lshl_b64 s[0:1], s[0:1], 4
	s_add_u32 s2, s20, s0
	s_addc_u32 s3, s21, s1
	s_lshl_b64 s[0:1], s[22:23], 4
	s_add_u32 s2, s2, s0
	s_addc_u32 s3, s3, s1
	s_lshl_b32 s22, s6, 6
	s_waitcnt lgkmcnt(0)
	s_ashr_i32 s38, s37, 31
	s_lshr_b32 s0, s38, 26
	v_add_u32_e32 v175, s22, v0
	s_add_i32 s0, s37, s0
	v_ashrrev_i32_e32 v176, 31, v175
	s_and_b32 s5, s0, 0xffffffc0
	v_mul_lo_u32 v4, s24, v176
	v_mul_lo_u32 v5, s25, v175
	v_mad_u64_u32 v[2:3], s[0:1], s24, v175, 0
	s_add_i32 s4, s33, -1
	s_sub_i32 s36, s37, s5
	v_add3_u32 v3, v3, v4, v5
	v_lshlrev_b64 v[2:3], 4, v[2:3]
	s_cmp_eq_u32 s6, s4
	v_mov_b32_e32 v4, s3
	v_add_co_u32_e32 v40, vcc, s2, v2
	s_cselect_b32 s20, s36, 0
	v_addc_co_u32_e32 v41, vcc, v4, v3, vcc
	v_cmp_eq_u32_e64 s[0:1], 0, v1
	s_and_saveexec_b64 s[2:3], s[0:1]
	s_cbranch_execz .LBB122_10
; %bb.6:
	s_cmp_lg_u32 s20, 0
	s_cselect_b64 s[4:5], -1, 0
	v_cmp_le_i32_e32 vcc, s20, v0
	v_mov_b32_e32 v2, 0x4700
	s_and_b64 s[4:5], s[4:5], vcc
	v_lshl_add_u32 v2, v0, 4, v2
	s_and_saveexec_b64 s[8:9], s[4:5]
	s_xor_b64 s[4:5], exec, s[8:9]
; %bb.7:
	v_mov_b32_e32 v3, 0
	v_mov_b32_e32 v4, v3
	;; [unrolled: 1-line block ×4, first 2 shown]
	ds_write_b128 v2, v[3:6]
                                        ; implicit-def: $vgpr2
; %bb.8:
	s_andn2_saveexec_b64 s[4:5], s[4:5]
	s_cbranch_execz .LBB122_10
; %bb.9:
	global_load_dwordx4 v[3:6], v[40:41], off
	s_waitcnt vmcnt(0)
	ds_write2_b64 v2, v[3:4], v[5:6] offset1:1
.LBB122_10:
	s_or_b64 exec, exec, s[2:3]
	v_lshl_add_u32 v44, v1, 6, v0
	s_mul_i32 s2, s19, s7
	s_mul_hi_u32 s3, s18, s7
	v_and_b32_e32 v6, 31, v0
	v_lshrrev_b32_e32 v13, 5, v44
	s_add_i32 s3, s3, s2
	s_mul_i32 s2, s18, s7
	v_mov_b32_e32 v7, 0
	s_lshl_b64 s[2:3], s[2:3], 4
	v_mad_u64_u32 v[2:3], s[4:5], s16, v13, v[6:7]
	s_add_u32 s8, s12, s2
	s_addc_u32 s9, s13, s3
	s_lshl_b64 s[2:3], s[14:15], 4
	s_add_u32 s4, s8, s2
	s_addc_u32 s5, s9, s3
	v_mad_u64_u32 v[3:4], s[2:3], s17, v13, v[3:4]
	s_ashr_i32 s23, s22, 31
	s_lshl_b64 s[2:3], s[22:23], 4
	s_add_u32 s2, s4, s2
	v_lshlrev_b64 v[38:39], 4, v[2:3]
	s_addc_u32 s3, s5, s3
	v_mov_b32_e32 v2, s3
	v_add_co_u32_e32 v3, vcc, s2, v38
	s_mul_hi_u32 s2, s16, s22
	s_mul_i32 s3, s16, s23
	s_add_i32 s2, s2, s3
	s_mul_i32 s3, s17, s22
	s_add_i32 s3, s2, s3
	s_mul_i32 s2, s16, s22
	s_lshl_b64 s[2:3], s[2:3], 4
	v_addc_co_u32_e32 v4, vcc, v2, v39, vcc
	s_cmp_eq_u32 s20, 0
	v_mov_b32_e32 v5, s3
	v_add_co_u32_e32 v2, vcc, s2, v3
	s_cselect_b64 s[18:19], -1, 0
	s_cmp_lg_u32 s20, 0
	v_addc_co_u32_e32 v3, vcc, v4, v5, vcc
	s_cselect_b64 s[26:27], -1, 0
	s_and_b64 vcc, exec, s[26:27]
	v_cmp_gt_i32_e64 s[2:3], s20, v6
	v_lshlrev_b32_e32 v15, 4, v6
	v_lshlrev_b32_e32 v14, 4, v6
	s_cbranch_vccz .LBB122_28
; %bb.11:
	v_sub_co_u32_e32 v4, vcc, v2, v15
	s_ashr_i32 s21, s20, 31
	v_subbrev_co_u32_e32 v5, vcc, 0, v3, vcc
	s_lshl_b64 s[4:5], s[20:21], 4
	v_mov_b32_e32 v7, s5
	v_add_co_u32_e32 v4, vcc, s4, v4
	v_addc_co_u32_e32 v5, vcc, v5, v7, vcc
	v_add_co_u32_e32 v4, vcc, -16, v4
	v_addc_co_u32_e32 v5, vcc, -1, v5, vcc
	s_movk_i32 s8, 0x210
	v_cndmask_b32_e64 v5, v5, v3, s[2:3]
	v_cndmask_b32_e64 v4, v4, v2, s[2:3]
	v_cmp_le_i32_e32 vcc, s20, v13
	v_mad_u32_u24 v8, v13, s8, v14
	s_and_saveexec_b64 s[8:9], vcc
	s_xor_b64 s[8:9], exec, s[8:9]
; %bb.12:
	v_mov_b32_e32 v9, 0
	v_mov_b32_e32 v10, v9
	;; [unrolled: 1-line block ×4, first 2 shown]
	ds_write_b128 v8, v[9:12]
                                        ; implicit-def: $vgpr8
; %bb.13:
	s_or_saveexec_b64 s[8:9], s[8:9]
	v_mul_u32_u24_e32 v7, 0x210, v13
	s_xor_b64 exec, exec, s[8:9]
	s_cbranch_execz .LBB122_15
; %bb.14:
	global_load_dwordx4 v[9:12], v[4:5], off
	s_waitcnt vmcnt(0)
	ds_write2_b64 v8, v[9:10], v[11:12] offset1:1
.LBB122_15:
	s_or_b64 exec, exec, s[8:9]
	v_add_u32_e32 v8, 8, v13
	v_cmp_le_i32_e32 vcc, s20, v8
	v_add_u32_e32 v8, v7, v14
	s_and_saveexec_b64 s[8:9], vcc
	s_xor_b64 s[8:9], exec, s[8:9]
; %bb.16:
	v_mov_b32_e32 v9, 0
	v_mov_b32_e32 v10, v9
	;; [unrolled: 1-line block ×4, first 2 shown]
	ds_write_b128 v8, v[9:12] offset:4224
; %bb.17:
	s_andn2_saveexec_b64 s[8:9], s[8:9]
	s_cbranch_execz .LBB122_19
; %bb.18:
	s_lshl_b64 s[10:11], s[16:17], 7
	v_mov_b32_e32 v10, s11
	v_add_co_u32_e32 v9, vcc, s10, v4
	v_addc_co_u32_e32 v10, vcc, v5, v10, vcc
	global_load_dwordx4 v[9:12], v[9:10], off
	s_movk_i32 s10, 0x1080
	v_add3_u32 v16, v7, v14, s10
	s_waitcnt vmcnt(0)
	ds_write2_b64 v16, v[9:10], v[11:12] offset1:1
.LBB122_19:
	s_or_b64 exec, exec, s[8:9]
	v_add_u32_e32 v9, 16, v13
	v_cmp_le_i32_e32 vcc, s20, v9
	s_and_saveexec_b64 s[8:9], vcc
	s_xor_b64 s[8:9], exec, s[8:9]
; %bb.20:
	v_mov_b32_e32 v9, 0
	v_mov_b32_e32 v10, v9
	;; [unrolled: 1-line block ×4, first 2 shown]
	ds_write_b128 v8, v[9:12] offset:8448
; %bb.21:
	s_andn2_saveexec_b64 s[8:9], s[8:9]
	s_cbranch_execz .LBB122_23
; %bb.22:
	s_lshl_b64 s[10:11], s[16:17], 8
	v_mov_b32_e32 v10, s11
	v_add_co_u32_e32 v9, vcc, s10, v4
	v_addc_co_u32_e32 v10, vcc, v5, v10, vcc
	global_load_dwordx4 v[9:12], v[9:10], off
	s_movk_i32 s10, 0x2100
	v_add3_u32 v16, v7, v14, s10
	s_waitcnt vmcnt(0)
	ds_write2_b64 v16, v[9:10], v[11:12] offset1:1
.LBB122_23:
	s_or_b64 exec, exec, s[8:9]
	v_add_u32_e32 v9, 24, v13
	v_cmp_le_i32_e32 vcc, s20, v9
	s_and_saveexec_b64 s[8:9], vcc
	s_xor_b64 s[8:9], exec, s[8:9]
; %bb.24:
	v_mov_b32_e32 v9, 0
	v_mov_b32_e32 v10, v9
	;; [unrolled: 1-line block ×4, first 2 shown]
	ds_write_b128 v8, v[9:12] offset:12672
                                        ; implicit-def: $vgpr7
; %bb.25:
	s_andn2_saveexec_b64 s[8:9], s[8:9]
	s_cbranch_execz .LBB122_27
; %bb.26:
	v_mov_b32_e32 v8, 0x180
	v_mad_u64_u32 v[8:9], s[10:11], s16, v8, v[4:5]
	s_mul_i32 s10, s17, 0x180
	v_add_u32_e32 v9, s10, v9
	global_load_dwordx4 v[8:11], v[8:9], off
	s_movk_i32 s10, 0x3180
	v_add3_u32 v7, v7, v14, s10
	s_waitcnt vmcnt(0)
	ds_write2_b64 v7, v[8:9], v[10:11] offset1:1
.LBB122_27:
	s_or_b64 exec, exec, s[8:9]
	v_add_co_u32_e32 v4, vcc, v4, v15
	v_addc_co_u32_e32 v5, vcc, 0, v5, vcc
	v_mov_b32_e32 v7, s5
	v_subrev_co_u32_e32 v4, vcc, s4, v4
	v_subb_co_u32_e32 v5, vcc, v5, v7, vcc
	v_add_co_u32_e32 v4, vcc, 16, v4
	v_addc_co_u32_e32 v5, vcc, 0, v5, vcc
	v_cndmask_b32_e64 v8, v5, v3, s[2:3]
	v_cndmask_b32_e64 v7, v4, v2, s[2:3]
	s_branch .LBB122_30
.LBB122_28:
                                        ; implicit-def: $vgpr7_vgpr8
	s_cbranch_execz .LBB122_30
; %bb.29:
	s_lshl_b64 s[2:3], s[16:17], 7
	v_mov_b32_e32 v12, s3
	v_add_co_u32_e32 v4, vcc, s2, v2
	v_addc_co_u32_e32 v5, vcc, v3, v12, vcc
	global_load_dwordx4 v[7:10], v[2:3], off
	global_load_dwordx4 v[16:19], v[4:5], off
	v_add_co_u32_e32 v4, vcc, s2, v4
	v_addc_co_u32_e32 v5, vcc, v5, v12, vcc
	v_add_co_u32_e32 v11, vcc, s2, v4
	v_addc_co_u32_e32 v12, vcc, v5, v12, vcc
	global_load_dwordx4 v[20:23], v[4:5], off
	global_load_dwordx4 v[24:27], v[11:12], off
	v_mul_u32_u24_e32 v4, 0x210, v13
	v_lshl_add_u32 v4, v6, 4, v4
	v_add_u32_e32 v5, 0x1080, v4
	v_add_u32_e32 v11, 0x2100, v4
	v_add_u32_e32 v12, 0x3180, v4
	s_waitcnt vmcnt(3)
	ds_write2_b64 v4, v[7:8], v[9:10] offset1:1
	s_waitcnt vmcnt(2)
	ds_write2_b64 v5, v[16:17], v[18:19] offset1:1
	;; [unrolled: 2-line block ×4, first 2 shown]
	v_mov_b32_e32 v8, v3
	v_mov_b32_e32 v7, v2
.LBB122_30:
	v_lshlrev_b32_e32 v11, 2, v13
	v_lshl_or_b32 v2, v6, 9, v14
	v_cmp_gt_u32_e64 s[4:5], v11, v6
	v_lshl_add_u32 v4, v11, 4, v2
	s_waitcnt lgkmcnt(0)
	s_barrier
	s_and_saveexec_b64 s[2:3], s[4:5]
	s_cbranch_execz .LBB122_32
; %bb.31:
	s_movk_i32 s8, 0x840
	v_mad_u32_u24 v2, v13, s8, v14
	ds_read_b128 v[16:19], v2
	s_waitcnt lgkmcnt(0)
	ds_write_b128 v4, v[16:19]
.LBB122_32:
	s_or_b64 exec, exec, s[2:3]
	v_or_b32_e32 v2, 1, v11
	v_cmp_ge_u32_e64 s[14:15], v11, v6
	s_and_saveexec_b64 s[2:3], s[14:15]
	s_cbranch_execz .LBB122_34
; %bb.33:
	s_movk_i32 s8, 0x210
	v_mad_u32_u24 v3, v2, s8, v14
	ds_read_b128 v[16:19], v3
	s_waitcnt lgkmcnt(0)
	ds_write_b128 v4, v[16:19] offset:16
.LBB122_34:
	s_or_b64 exec, exec, s[2:3]
	v_or_b32_e32 v3, 2, v11
	v_cmp_gt_u32_e64 s[8:9], v3, v6
	s_and_saveexec_b64 s[2:3], s[8:9]
	s_cbranch_execz .LBB122_36
; %bb.35:
	s_movk_i32 s10, 0x210
	v_mad_u32_u24 v3, v3, s10, v14
	ds_read_b128 v[16:19], v3
	s_waitcnt lgkmcnt(0)
	ds_write_b128 v4, v[16:19] offset:32
.LBB122_36:
	s_or_b64 exec, exec, s[2:3]
	v_or_b32_e32 v5, 3, v11
	v_cmp_gt_u32_e64 s[10:11], v5, v6
	v_cmp_le_u32_e32 vcc, v5, v6
                                        ; implicit-def: $vgpr3
	s_and_saveexec_b64 s[2:3], vcc
	s_xor_b64 s[2:3], exec, s[2:3]
; %bb.37:
	v_mul_u32_u24_e32 v3, 0x210, v5
                                        ; implicit-def: $vgpr5
                                        ; implicit-def: $vgpr4
; %bb.38:
	s_andn2_saveexec_b64 s[2:3], s[2:3]
	s_cbranch_execz .LBB122_40
; %bb.39:
	s_movk_i32 s12, 0x210
	v_mad_u32_u24 v3, v5, s12, v14
	ds_read_b128 v[16:19], v3
	v_mul_u32_u24_e32 v3, 0x210, v5
	s_waitcnt lgkmcnt(0)
	ds_write_b128 v4, v[16:19] offset:48
.LBB122_40:
	s_or_b64 exec, exec, s[2:3]
	s_movk_i32 s2, 0x840
	v_mad_u32_u24 v16, v13, s2, v14
	s_waitcnt lgkmcnt(0)
	s_barrier
	v_lshlrev_b32_e32 v12, 4, v11
	ds_read_b128 v[18:21], v16
	ds_read_b128 v[22:25], v12 offset:18176
	ds_read_b128 v[26:29], v12 offset:18192
	s_movk_i32 s21, 0x210
	v_mad_u32_u24 v17, v2, s21, v14
	ds_read_b128 v[30:33], v17
	s_waitcnt lgkmcnt(2)
	v_mul_f64 v[4:5], v[24:25], v[20:21]
	v_mul_f64 v[9:10], v[22:23], v[20:21]
	v_add_u32_e32 v47, v14, v3
	v_cmp_gt_u32_e64 s[2:3], 32, v44
	v_fma_f64 v[36:37], v[22:23], v[18:19], -v[4:5]
	ds_read_b128 v[2:5], v12 offset:18208
	s_waitcnt lgkmcnt(1)
	v_mul_f64 v[42:43], v[28:29], v[32:33]
	v_mul_f64 v[45:46], v[26:27], v[32:33]
	v_fma_f64 v[9:10], v[24:25], v[18:19], v[9:10]
	ds_read_b128 v[20:23], v17 offset:528
	ds_read_b128 v[32:35], v12 offset:18224
	ds_read_b128 v[48:51], v47
	s_waitcnt lgkmcnt(0)
	v_add_f64 v[18:19], v[36:37], 0
	s_barrier
	v_mul_f64 v[24:25], v[4:5], v[22:23]
	v_fma_f64 v[26:27], v[26:27], v[30:31], -v[42:43]
	v_fma_f64 v[28:29], v[28:29], v[30:31], v[45:46]
	v_mul_f64 v[22:23], v[2:3], v[22:23]
	v_add_f64 v[9:10], v[9:10], 0
	v_mul_f64 v[30:31], v[34:35], v[50:51]
	v_fma_f64 v[2:3], v[2:3], v[20:21], -v[24:25]
	v_add_f64 v[18:19], v[18:19], v[26:27]
	v_mul_f64 v[24:25], v[32:33], v[50:51]
	v_fma_f64 v[4:5], v[4:5], v[20:21], v[22:23]
	v_add_f64 v[9:10], v[9:10], v[28:29]
	v_fma_f64 v[20:21], v[32:33], v[48:49], -v[30:31]
	v_add_f64 v[18:19], v[18:19], v[2:3]
	v_fma_f64 v[22:23], v[34:35], v[48:49], v[24:25]
	v_mov_b32_e32 v2, 0
	v_add_f64 v[4:5], v[9:10], v[4:5]
	v_mul_u32_u24_e32 v9, 33, v6
	v_lshlrev_b32_e32 v45, 4, v9
	v_mov_b32_e32 v3, 0
	v_lshl_add_u32 v46, v13, 4, v45
	v_add_f64 v[18:19], v[18:19], v[20:21]
	v_add_f64 v[20:21], v[4:5], v[22:23]
	v_mov_b32_e32 v4, 0
	v_mov_b32_e32 v5, 0
	ds_write_b128 v46, v[18:21]
	s_waitcnt lgkmcnt(0)
	s_barrier
	s_and_saveexec_b64 s[12:13], s[2:3]
	s_cbranch_execz .LBB122_42
; %bb.41:
	ds_read_b128 v[2:5], v45
	ds_read_b128 v[18:21], v45 offset:16
	s_waitcnt lgkmcnt(0)
	v_add_f64 v[9:10], v[18:19], v[2:3]
	v_add_f64 v[22:23], v[20:21], v[4:5]
	ds_read_b128 v[2:5], v45 offset:32
	ds_read_b128 v[18:21], v45 offset:48
	s_waitcnt lgkmcnt(1)
	v_add_f64 v[2:3], v[9:10], v[2:3]
	v_add_f64 v[4:5], v[22:23], v[4:5]
	s_waitcnt lgkmcnt(0)
	v_add_f64 v[9:10], v[2:3], v[18:19]
	v_add_f64 v[22:23], v[4:5], v[20:21]
	ds_read_b128 v[2:5], v45 offset:64
	ds_read_b128 v[18:21], v45 offset:80
	s_waitcnt lgkmcnt(1)
	v_add_f64 v[2:3], v[9:10], v[2:3]
	v_add_f64 v[4:5], v[22:23], v[4:5]
	;; [unrolled: 8-line block ×3, first 2 shown]
	s_waitcnt lgkmcnt(0)
	v_add_f64 v[2:3], v[2:3], v[18:19]
	v_add_f64 v[4:5], v[4:5], v[20:21]
.LBB122_42:
	s_or_b64 exec, exec, s[12:13]
	s_lshl_b64 s[12:13], s[16:17], 9
	v_mov_b32_e32 v9, s13
	v_add_co_u32_e32 v19, vcc, s12, v7
	v_addc_co_u32_e32 v20, vcc, v8, v9, vcc
	v_add_co_u32_e32 v9, vcc, 0x200, v19
	v_addc_co_u32_e32 v10, vcc, 0, v20, vcc
	v_mad_u32_u24 v18, v13, s21, v14
	s_and_b64 vcc, exec, s[26:27]
	s_barrier
	s_cbranch_vccz .LBB122_60
; %bb.43:
	v_sub_co_u32_e32 v8, vcc, v19, v15
	s_ashr_i32 s21, s20, 31
	v_subbrev_co_u32_e32 v21, vcc, 0, v20, vcc
	s_lshl_b64 s[28:29], s[20:21], 4
	v_mov_b32_e32 v22, s29
	v_add_co_u32_e32 v8, vcc, s28, v8
	v_addc_co_u32_e32 v21, vcc, v21, v22, vcc
	v_or_b32_e32 v7, 32, v6
	v_add_co_u32_e32 v22, vcc, -16, v8
	v_addc_co_u32_e32 v8, vcc, -1, v21, vcc
	v_cmp_gt_i32_e64 s[12:13], s20, v7
	s_sub_i32 s21, s20, 32
	v_cndmask_b32_e64 v8, v8, v10, s[12:13]
	v_cndmask_b32_e64 v7, v22, v9, s[12:13]
	v_cmp_le_i32_e32 vcc, s21, v13
	s_and_saveexec_b64 s[30:31], vcc
	s_xor_b64 s[30:31], exec, s[30:31]
; %bb.44:
	v_mov_b32_e32 v21, 0
	v_mov_b32_e32 v22, v21
	;; [unrolled: 1-line block ×4, first 2 shown]
	ds_write_b128 v18, v[21:24]
; %bb.45:
	s_andn2_saveexec_b64 s[30:31], s[30:31]
	s_cbranch_execz .LBB122_47
; %bb.46:
	global_load_dwordx4 v[21:24], v[7:8], off
	s_waitcnt vmcnt(0)
	ds_write2_b64 v18, v[21:22], v[23:24] offset1:1
.LBB122_47:
	s_or_b64 exec, exec, s[30:31]
	v_add_u32_e32 v21, 8, v13
	v_cmp_le_i32_e32 vcc, s21, v21
	s_and_saveexec_b64 s[30:31], vcc
	s_xor_b64 s[30:31], exec, s[30:31]
	s_cbranch_execz .LBB122_49
; %bb.48:
	s_movk_i32 s39, 0x210
	v_mad_u32_u24 v25, v21, s39, v14
	v_mov_b32_e32 v21, 0
	v_mov_b32_e32 v22, v21
	;; [unrolled: 1-line block ×4, first 2 shown]
	ds_write_b128 v25, v[21:24]
                                        ; implicit-def: $vgpr21
.LBB122_49:
	s_andn2_saveexec_b64 s[30:31], s[30:31]
	s_cbranch_execz .LBB122_51
; %bb.50:
	s_lshl_b64 s[40:41], s[16:17], 7
	v_mov_b32_e32 v23, s41
	v_add_co_u32_e32 v22, vcc, s40, v7
	v_addc_co_u32_e32 v23, vcc, v8, v23, vcc
	global_load_dwordx4 v[22:25], v[22:23], off
	s_movk_i32 s39, 0x210
	v_mad_u32_u24 v21, v21, s39, v14
	s_waitcnt vmcnt(0)
	ds_write2_b64 v21, v[22:23], v[24:25] offset1:1
.LBB122_51:
	s_or_b64 exec, exec, s[30:31]
	v_add_u32_e32 v21, 16, v13
	v_cmp_le_i32_e32 vcc, s21, v21
	s_and_saveexec_b64 s[30:31], vcc
	s_xor_b64 s[30:31], exec, s[30:31]
	s_cbranch_execz .LBB122_53
; %bb.52:
	s_movk_i32 s39, 0x210
	v_mad_u32_u24 v25, v21, s39, v14
	v_mov_b32_e32 v21, 0
	v_mov_b32_e32 v22, v21
	;; [unrolled: 1-line block ×4, first 2 shown]
	ds_write_b128 v25, v[21:24]
                                        ; implicit-def: $vgpr21
.LBB122_53:
	s_andn2_saveexec_b64 s[30:31], s[30:31]
	s_cbranch_execz .LBB122_55
; %bb.54:
	s_lshl_b64 s[40:41], s[16:17], 8
	v_mov_b32_e32 v23, s41
	v_add_co_u32_e32 v22, vcc, s40, v7
	v_addc_co_u32_e32 v23, vcc, v8, v23, vcc
	global_load_dwordx4 v[22:25], v[22:23], off
	s_movk_i32 s39, 0x210
	v_mad_u32_u24 v21, v21, s39, v14
	s_waitcnt vmcnt(0)
	ds_write2_b64 v21, v[22:23], v[24:25] offset1:1
.LBB122_55:
	s_or_b64 exec, exec, s[30:31]
	v_add_u32_e32 v21, 24, v13
	v_cmp_le_i32_e32 vcc, s21, v21
	s_and_saveexec_b64 s[30:31], vcc
	s_xor_b64 s[30:31], exec, s[30:31]
	s_cbranch_execz .LBB122_57
; %bb.56:
	s_movk_i32 s21, 0x210
	v_mad_u32_u24 v25, v21, s21, v14
	v_mov_b32_e32 v21, 0
	v_mov_b32_e32 v22, v21
	;; [unrolled: 1-line block ×4, first 2 shown]
	ds_write_b128 v25, v[21:24]
                                        ; implicit-def: $vgpr21
.LBB122_57:
	s_andn2_saveexec_b64 s[30:31], s[30:31]
	s_cbranch_execz .LBB122_59
; %bb.58:
	v_mov_b32_e32 v22, 0x180
	v_mad_u64_u32 v[22:23], s[40:41], s16, v22, v[7:8]
	s_mul_i32 s21, s17, 0x180
	v_add_u32_e32 v23, s21, v23
	global_load_dwordx4 v[22:25], v[22:23], off
	s_movk_i32 s21, 0x210
	v_mad_u32_u24 v21, v21, s21, v14
	s_waitcnt vmcnt(0)
	ds_write2_b64 v21, v[22:23], v[24:25] offset1:1
.LBB122_59:
	s_or_b64 exec, exec, s[30:31]
	v_add_co_u32_e32 v7, vcc, v7, v15
	v_addc_co_u32_e32 v8, vcc, 0, v8, vcc
	v_mov_b32_e32 v21, s29
	v_subrev_co_u32_e32 v7, vcc, s28, v7
	v_subb_co_u32_e32 v8, vcc, v8, v21, vcc
	v_add_co_u32_e32 v7, vcc, 0x210, v7
	v_addc_co_u32_e32 v8, vcc, 0, v8, vcc
	v_cndmask_b32_e64 v8, v8, v10, s[12:13]
	v_cndmask_b32_e64 v7, v7, v9, s[12:13]
	s_branch .LBB122_62
.LBB122_60:
                                        ; implicit-def: $vgpr7_vgpr8
	s_cbranch_execz .LBB122_62
; %bb.61:
	s_lshl_b64 s[12:13], s[16:17], 7
	v_mov_b32_e32 v27, s13
	v_add_co_u32_e32 v7, vcc, s12, v19
	v_addc_co_u32_e32 v8, vcc, v20, v27, vcc
	global_load_dwordx4 v[19:22], v[9:10], off
	global_load_dwordx4 v[23:26], v[7:8], off offset:512
	v_add_co_u32_e32 v7, vcc, s12, v7
	v_addc_co_u32_e32 v8, vcc, v8, v27, vcc
	v_add_co_u32_e32 v35, vcc, s12, v7
	v_addc_co_u32_e32 v36, vcc, v8, v27, vcc
	global_load_dwordx4 v[27:30], v[7:8], off offset:512
	global_load_dwordx4 v[31:34], v[35:36], off offset:512
	v_add_u32_e32 v7, 0x1080, v18
	v_add_u32_e32 v8, 0x2100, v18
	;; [unrolled: 1-line block ×3, first 2 shown]
	s_waitcnt vmcnt(3)
	ds_write2_b64 v18, v[19:20], v[21:22] offset1:1
	s_waitcnt vmcnt(2)
	ds_write2_b64 v7, v[23:24], v[25:26] offset1:1
	;; [unrolled: 2-line block ×4, first 2 shown]
	v_mov_b32_e32 v7, v9
	v_mov_b32_e32 v8, v10
.LBB122_62:
	v_lshl_add_u32 v9, v11, 4, v45
	s_waitcnt lgkmcnt(0)
	s_barrier
	s_and_saveexec_b64 s[12:13], s[4:5]
	s_cbranch_execnz .LBB122_87
; %bb.63:
	s_or_b64 exec, exec, s[12:13]
	s_and_saveexec_b64 s[4:5], s[14:15]
	s_cbranch_execnz .LBB122_88
.LBB122_64:
	s_or_b64 exec, exec, s[4:5]
	v_add_u32_e32 v19, 0x210, v17
	s_and_saveexec_b64 s[4:5], s[8:9]
	s_cbranch_execnz .LBB122_89
.LBB122_65:
	s_or_b64 exec, exec, s[4:5]
	v_add_u32_e32 v20, 0x4700, v12
	s_and_saveexec_b64 s[4:5], s[10:11]
	s_cbranch_execz .LBB122_67
.LBB122_66:
	ds_read_b128 v[21:24], v47
	s_waitcnt lgkmcnt(0)
	ds_write_b128 v9, v[21:24] offset:48
.LBB122_67:
	s_or_b64 exec, exec, s[4:5]
	s_waitcnt lgkmcnt(0)
	s_barrier
	ds_read_b128 v[9:12], v20 offset:512
	ds_read_b128 v[21:24], v16
	v_cmp_eq_u32_e64 s[4:5], 1, v13
	s_waitcnt lgkmcnt(0)
	v_mul_f64 v[35:36], v[11:12], v[23:24]
	v_mul_f64 v[42:43], v[9:10], v[23:24]
	ds_read_b128 v[23:26], v17
	ds_read_b128 v[27:30], v20 offset:528
	ds_read_b128 v[31:34], v20 offset:544
	ds_read_b128 v[48:51], v19
	s_waitcnt lgkmcnt(2)
	v_mul_f64 v[56:57], v[29:30], v[25:26]
	v_mul_f64 v[25:26], v[27:28], v[25:26]
	v_fma_f64 v[35:36], v[9:10], v[21:22], -v[35:36]
	v_fma_f64 v[21:22], v[11:12], v[21:22], v[42:43]
	s_waitcnt lgkmcnt(0)
	v_mul_f64 v[42:43], v[33:34], v[50:51]
	v_mul_f64 v[50:51], v[31:32], v[50:51]
	ds_read_b128 v[9:12], v20 offset:560
	ds_read_b128 v[52:55], v47
	v_fma_f64 v[27:28], v[27:28], v[23:24], -v[56:57]
	v_fma_f64 v[23:24], v[29:30], v[23:24], v[25:26]
	s_waitcnt lgkmcnt(0)
	v_add_f64 v[25:26], v[35:36], 0
	v_add_f64 v[21:22], v[21:22], 0
	v_mul_f64 v[29:30], v[11:12], v[54:55]
	v_mul_f64 v[35:36], v[9:10], v[54:55]
	v_fma_f64 v[31:32], v[31:32], v[48:49], -v[42:43]
	v_fma_f64 v[33:34], v[33:34], v[48:49], v[50:51]
	s_barrier
	v_add_f64 v[25:26], v[25:26], v[27:28]
	v_add_f64 v[21:22], v[21:22], v[23:24]
	v_fma_f64 v[9:10], v[9:10], v[52:53], -v[29:30]
	v_fma_f64 v[11:12], v[11:12], v[52:53], v[35:36]
	v_add_f64 v[23:24], v[25:26], v[31:32]
	v_add_f64 v[21:22], v[21:22], v[33:34]
	;; [unrolled: 1-line block ×4, first 2 shown]
	ds_write_b128 v46, v[9:12]
	s_waitcnt lgkmcnt(0)
	s_barrier
	s_and_saveexec_b64 s[8:9], s[4:5]
	s_cbranch_execz .LBB122_69
; %bb.68:
	ds_read_b128 v[2:5], v45
	ds_read_b128 v[9:12], v45 offset:16
	s_waitcnt lgkmcnt(0)
	v_add_f64 v[21:22], v[9:10], v[2:3]
	v_add_f64 v[23:24], v[11:12], v[4:5]
	ds_read_b128 v[2:5], v45 offset:32
	ds_read_b128 v[9:12], v45 offset:48
	s_waitcnt lgkmcnt(1)
	v_add_f64 v[2:3], v[21:22], v[2:3]
	v_add_f64 v[4:5], v[23:24], v[4:5]
	s_waitcnt lgkmcnt(0)
	v_add_f64 v[21:22], v[2:3], v[9:10]
	v_add_f64 v[23:24], v[4:5], v[11:12]
	ds_read_b128 v[2:5], v45 offset:64
	ds_read_b128 v[9:12], v45 offset:80
	s_waitcnt lgkmcnt(1)
	v_add_f64 v[2:3], v[21:22], v[2:3]
	v_add_f64 v[4:5], v[23:24], v[4:5]
	;; [unrolled: 8-line block ×3, first 2 shown]
	s_waitcnt lgkmcnt(0)
	v_add_f64 v[2:3], v[2:3], v[9:10]
	v_add_f64 v[4:5], v[4:5], v[11:12]
.LBB122_69:
	s_or_b64 exec, exec, s[8:9]
	v_add_co_u32_e32 v9, vcc, 0xfffffe00, v7
	v_addc_co_u32_e32 v10, vcc, -1, v8, vcc
	s_and_b64 vcc, exec, s[26:27]
	s_barrier
	s_cbranch_vccz .LBB122_90
; %bb.70:
	v_sub_co_u32_e32 v11, vcc, v7, v15
	s_ashr_i32 s21, s20, 31
	v_subbrev_co_u32_e32 v12, vcc, 0, v8, vcc
	s_lshl_b64 s[10:11], s[20:21], 4
	v_mov_b32_e32 v21, s11
	v_add_co_u32_e32 v11, vcc, s10, v11
	v_addc_co_u32_e32 v12, vcc, v12, v21, vcc
	v_add_co_u32_e32 v11, vcc, 0xfffffdf0, v11
	v_addc_co_u32_e32 v12, vcc, -1, v12, vcc
	v_cmp_gt_i32_e32 vcc, s20, v6
	s_sub_i32 s14, s20, 32
	v_cndmask_b32_e32 v12, v12, v10, vcc
	v_cndmask_b32_e32 v11, v11, v9, vcc
	v_cmp_le_i32_e64 s[8:9], s14, v13
	s_and_saveexec_b64 s[12:13], s[8:9]
	s_xor_b64 s[8:9], exec, s[12:13]
; %bb.71:
	v_mov_b32_e32 v21, 0
	v_mov_b32_e32 v22, v21
	;; [unrolled: 1-line block ×4, first 2 shown]
	ds_write_b128 v18, v[21:24]
; %bb.72:
	s_andn2_saveexec_b64 s[8:9], s[8:9]
	s_cbranch_execz .LBB122_74
; %bb.73:
	global_load_dwordx4 v[21:24], v[11:12], off
	s_waitcnt vmcnt(0)
	ds_write2_b64 v18, v[21:22], v[23:24] offset1:1
.LBB122_74:
	s_or_b64 exec, exec, s[8:9]
	v_add_u32_e32 v6, 8, v13
	v_cmp_le_i32_e64 s[8:9], s14, v6
	s_and_saveexec_b64 s[12:13], s[8:9]
	s_xor_b64 s[8:9], exec, s[12:13]
	s_cbranch_execz .LBB122_76
; %bb.75:
	s_movk_i32 s12, 0x210
	v_mov_b32_e32 v21, 0
	v_mad_u32_u24 v25, v6, s12, v14
	v_mov_b32_e32 v22, v21
	v_mov_b32_e32 v23, v21
	v_mov_b32_e32 v24, v21
	ds_write_b128 v25, v[21:24]
.LBB122_76:
	s_andn2_saveexec_b64 s[12:13], s[8:9]
	s_cbranch_execz .LBB122_78
; %bb.77:
	s_lshl_b64 s[8:9], s[16:17], 7
	v_mov_b32_e32 v22, s9
	v_add_co_u32_e64 v21, s[8:9], s8, v11
	v_addc_co_u32_e64 v22, s[8:9], v12, v22, s[8:9]
	global_load_dwordx4 v[21:24], v[21:22], off
	s_movk_i32 s8, 0x210
	v_mad_u32_u24 v25, v6, s8, v14
	s_waitcnt vmcnt(0)
	ds_write2_b64 v25, v[21:22], v[23:24] offset1:1
.LBB122_78:
	s_or_b64 exec, exec, s[12:13]
	v_add_u32_e32 v22, 16, v13
	v_cmp_le_i32_e64 s[8:9], s14, v22
	s_and_saveexec_b64 s[12:13], s[8:9]
	s_xor_b64 s[8:9], exec, s[12:13]
	s_cbranch_execz .LBB122_80
; %bb.79:
	s_movk_i32 s12, 0x210
	v_mov_b32_e32 v23, 0
	v_mad_u32_u24 v21, v22, s12, v14
	v_mov_b32_e32 v24, v23
	v_mov_b32_e32 v25, v23
	;; [unrolled: 1-line block ×3, first 2 shown]
	ds_write_b128 v21, v[23:26]
.LBB122_80:
	s_andn2_saveexec_b64 s[12:13], s[8:9]
	s_cbranch_execz .LBB122_82
; %bb.81:
	s_lshl_b64 s[8:9], s[16:17], 8
	v_mov_b32_e32 v21, s9
	v_add_co_u32_e64 v23, s[8:9], s8, v11
	v_addc_co_u32_e64 v24, s[8:9], v12, v21, s[8:9]
	global_load_dwordx4 v[23:26], v[23:24], off
	s_movk_i32 s8, 0x210
	v_mad_u32_u24 v21, v22, s8, v14
	s_waitcnt vmcnt(0)
	ds_write2_b64 v21, v[23:24], v[25:26] offset1:1
.LBB122_82:
	s_or_b64 exec, exec, s[12:13]
	v_add_u32_e32 v21, 24, v13
	v_cmp_le_i32_e64 s[8:9], s14, v21
	s_and_saveexec_b64 s[12:13], s[8:9]
	s_xor_b64 s[8:9], exec, s[12:13]
	s_cbranch_execz .LBB122_84
; %bb.83:
	s_movk_i32 s12, 0x210
	v_mov_b32_e32 v23, 0
	v_mad_u32_u24 v27, v21, s12, v14
	v_mov_b32_e32 v24, v23
	v_mov_b32_e32 v25, v23
	;; [unrolled: 1-line block ×3, first 2 shown]
	ds_write_b128 v27, v[23:26]
.LBB122_84:
	s_andn2_saveexec_b64 s[8:9], s[8:9]
	s_cbranch_execz .LBB122_86
; %bb.85:
	v_mov_b32_e32 v23, 0x180
	v_mad_u64_u32 v[23:24], s[12:13], s16, v23, v[11:12]
	s_mul_i32 s12, s17, 0x180
	v_add_u32_e32 v24, s12, v24
	global_load_dwordx4 v[23:26], v[23:24], off
	s_movk_i32 s12, 0x210
	v_mad_u32_u24 v27, v21, s12, v14
	s_waitcnt vmcnt(0)
	ds_write2_b64 v27, v[23:24], v[25:26] offset1:1
.LBB122_86:
	s_or_b64 exec, exec, s[8:9]
	v_add_co_u32_e64 v11, s[8:9], v11, v15
	v_addc_co_u32_e64 v12, s[8:9], 0, v12, s[8:9]
	v_mov_b32_e32 v15, s11
	v_subrev_co_u32_e64 v11, s[8:9], s10, v11
	v_subb_co_u32_e64 v12, s[8:9], v12, v15, s[8:9]
	v_add_co_u32_e64 v11, s[8:9], 16, v11
	v_addc_co_u32_e64 v12, s[8:9], 0, v12, s[8:9]
	v_cndmask_b32_e32 v43, v12, v10, vcc
	v_cndmask_b32_e32 v42, v11, v9, vcc
	s_branch .LBB122_92
.LBB122_87:
	ds_read_b128 v[19:22], v16
	s_waitcnt lgkmcnt(0)
	ds_write_b128 v9, v[19:22]
	s_or_b64 exec, exec, s[12:13]
	s_and_saveexec_b64 s[4:5], s[14:15]
	s_cbranch_execz .LBB122_64
.LBB122_88:
	ds_read_b128 v[19:22], v17
	s_waitcnt lgkmcnt(0)
	ds_write_b128 v9, v[19:22] offset:16
	s_or_b64 exec, exec, s[4:5]
	v_add_u32_e32 v19, 0x210, v17
	s_and_saveexec_b64 s[4:5], s[8:9]
	s_cbranch_execz .LBB122_65
.LBB122_89:
	ds_read_b128 v[20:23], v19
	s_waitcnt lgkmcnt(0)
	ds_write_b128 v9, v[20:23] offset:32
	s_or_b64 exec, exec, s[4:5]
	v_add_u32_e32 v20, 0x4700, v12
	s_and_saveexec_b64 s[4:5], s[10:11]
	s_cbranch_execnz .LBB122_66
	s_branch .LBB122_67
.LBB122_90:
                                        ; implicit-def: $vgpr42_vgpr43
                                        ; implicit-def: $vgpr6
                                        ; implicit-def: $vgpr22
                                        ; implicit-def: $vgpr21
	s_cbranch_execz .LBB122_92
; %bb.91:
	s_lshl_b64 s[8:9], s[16:17], 7
	v_mov_b32_e32 v12, s9
	v_add_co_u32_e32 v6, vcc, s8, v7
	v_addc_co_u32_e32 v7, vcc, v8, v12, vcc
	global_load_dwordx4 v[23:26], v[9:10], off
	global_load_dwordx4 v[27:30], v[6:7], off offset:-512
	v_add_co_u32_e32 v6, vcc, s8, v6
	v_addc_co_u32_e32 v7, vcc, v7, v12, vcc
	v_add_co_u32_e32 v11, vcc, s8, v6
	v_addc_co_u32_e32 v12, vcc, v7, v12, vcc
	global_load_dwordx4 v[31:34], v[6:7], off offset:-512
	global_load_dwordx4 v[48:51], v[11:12], off offset:-512
	v_add_u32_e32 v6, 8, v13
	s_movk_i32 s8, 0x210
	v_mov_b32_e32 v43, v10
	v_add_u32_e32 v22, 16, v13
	v_add_u32_e32 v21, 24, v13
	v_mad_u32_u24 v7, v6, s8, v14
	v_mov_b32_e32 v42, v9
	v_add_u32_e32 v8, 0x1080, v7
	v_add_u32_e32 v11, 0x2100, v7
	s_waitcnt vmcnt(3)
	ds_write2_b64 v18, v[23:24], v[25:26] offset1:1
	s_waitcnt vmcnt(2)
	ds_write2_b64 v7, v[27:28], v[29:30] offset1:1
	;; [unrolled: 2-line block ×4, first 2 shown]
.LBB122_92:
	v_lshlrev_b32_e32 v11, 4, v13
	v_add_u32_e32 v7, v45, v11
	s_waitcnt lgkmcnt(0)
	s_barrier
	ds_read_b128 v[7:10], v7
	ds_read_b128 v[11:14], v11 offset:18176
	v_lshlrev_b32_e32 v6, 4, v6
	v_add_u32_e32 v15, v45, v6
	ds_read_b128 v[23:26], v15
	ds_read_b128 v[27:30], v6 offset:18176
	v_lshlrev_b32_e32 v6, 4, v22
	s_waitcnt lgkmcnt(2)
	v_mul_f64 v[35:36], v[9:10], v[13:14]
	v_mul_f64 v[13:14], v[7:8], v[13:14]
	v_add_u32_e32 v15, v45, v6
	s_waitcnt lgkmcnt(0)
	v_mul_f64 v[52:53], v[25:26], v[29:30]
	ds_read_b128 v[31:34], v15
	ds_read_b128 v[48:51], v6 offset:18176
	v_mul_f64 v[29:30], v[23:24], v[29:30]
	v_fma_f64 v[6:7], v[7:8], v[11:12], -v[35:36]
	v_fma_f64 v[14:15], v[9:10], v[11:12], v[13:14]
	s_waitcnt lgkmcnt(0)
	v_mul_f64 v[35:36], v[33:34], v[50:51]
	v_fma_f64 v[22:23], v[23:24], v[27:28], -v[52:53]
	v_mul_f64 v[50:51], v[31:32], v[50:51]
	v_fma_f64 v[24:25], v[25:26], v[27:28], v[29:30]
	v_lshlrev_b32_e32 v10, 4, v21
	v_add_f64 v[52:53], v[6:7], 0
	v_add_f64 v[14:15], v[14:15], 0
	v_add_u32_e32 v6, v45, v10
	ds_read_b128 v[6:9], v6
	ds_read_b128 v[10:13], v10 offset:18176
	v_fma_f64 v[26:27], v[31:32], v[48:49], -v[35:36]
	v_fma_f64 v[30:31], v[33:34], v[48:49], v[50:51]
	v_add_f64 v[21:22], v[52:53], v[22:23]
	s_waitcnt lgkmcnt(0)
	v_mul_f64 v[28:29], v[8:9], v[12:13]
	v_mul_f64 v[12:13], v[6:7], v[12:13]
	v_add_f64 v[14:15], v[14:15], v[24:25]
	v_fma_f64 v[28:29], v[6:7], v[10:11], -v[28:29]
	v_fma_f64 v[10:11], v[8:9], v[10:11], v[12:13]
	v_add_f64 v[12:13], v[21:22], v[26:27]
	v_add_f64 v[14:15], v[14:15], v[30:31]
	ds_read_b128 v[22:25], v20 offset:528
	ds_read_b128 v[6:9], v20 offset:544
	;; [unrolled: 1-line block ×3, first 2 shown]
	ds_read_b128 v[34:37], v16
	v_add_f64 v[48:49], v[12:13], v[28:29]
	v_add_f64 v[50:51], v[14:15], v[10:11]
	ds_read_b128 v[10:13], v20 offset:560
	ds_read_b128 v[26:29], v17
	ds_read_b128 v[18:21], v19
	;; [unrolled: 1-line block ×3, first 2 shown]
	s_waitcnt lgkmcnt(0)
	s_barrier
	ds_write_b128 v46, v[48:51]
	s_waitcnt lgkmcnt(0)
	s_barrier
	s_and_saveexec_b64 s[8:9], s[4:5]
	s_cbranch_execz .LBB122_94
; %bb.93:
	ds_read_b128 v[47:50], v45
	ds_read_b128 v[51:54], v45 offset:16
	s_waitcnt lgkmcnt(1)
	v_add_f64 v[2:3], v[2:3], v[47:48]
	v_add_f64 v[4:5], v[4:5], v[49:50]
	s_waitcnt lgkmcnt(0)
	v_add_f64 v[51:52], v[2:3], v[51:52]
	v_add_f64 v[53:54], v[4:5], v[53:54]
	ds_read_b128 v[2:5], v45 offset:32
	ds_read_b128 v[47:50], v45 offset:48
	s_waitcnt lgkmcnt(1)
	v_add_f64 v[2:3], v[51:52], v[2:3]
	v_add_f64 v[4:5], v[53:54], v[4:5]
	s_waitcnt lgkmcnt(0)
	v_add_f64 v[51:52], v[2:3], v[47:48]
	v_add_f64 v[53:54], v[4:5], v[49:50]
	ds_read_b128 v[2:5], v45 offset:64
	ds_read_b128 v[47:50], v45 offset:80
	s_waitcnt lgkmcnt(1)
	v_add_f64 v[2:3], v[51:52], v[2:3]
	v_add_f64 v[4:5], v[53:54], v[4:5]
	s_waitcnt lgkmcnt(0)
	v_add_f64 v[51:52], v[2:3], v[47:48]
	v_add_f64 v[53:54], v[4:5], v[49:50]
	ds_read_b128 v[2:5], v45 offset:96
	ds_read_b128 v[47:50], v45 offset:112
	s_waitcnt lgkmcnt(1)
	v_add_f64 v[2:3], v[51:52], v[2:3]
	v_add_f64 v[4:5], v[53:54], v[4:5]
	s_waitcnt lgkmcnt(0)
	v_add_f64 v[2:3], v[2:3], v[47:48]
	v_add_f64 v[4:5], v[4:5], v[49:50]
.LBB122_94:
	s_or_b64 exec, exec, s[8:9]
	v_mul_f64 v[47:48], v[32:33], v[36:37]
	v_mul_f64 v[36:37], v[30:31], v[36:37]
	;; [unrolled: 1-line block ×4, first 2 shown]
	s_barrier
	v_fma_f64 v[30:31], v[30:31], v[34:35], -v[47:48]
	v_fma_f64 v[32:33], v[32:33], v[34:35], v[36:37]
	v_mul_f64 v[34:35], v[8:9], v[20:21]
	v_mul_f64 v[20:21], v[6:7], v[20:21]
	v_fma_f64 v[22:23], v[22:23], v[26:27], -v[49:50]
	v_fma_f64 v[24:25], v[24:25], v[26:27], v[28:29]
	v_add_f64 v[26:27], v[30:31], 0
	v_add_f64 v[28:29], v[32:33], 0
	v_mul_f64 v[30:31], v[12:13], v[16:17]
	v_mul_f64 v[16:17], v[10:11], v[16:17]
	v_fma_f64 v[6:7], v[6:7], v[18:19], -v[34:35]
	v_fma_f64 v[8:9], v[8:9], v[18:19], v[20:21]
	v_add_f64 v[18:19], v[26:27], v[22:23]
	v_add_f64 v[20:21], v[28:29], v[24:25]
	v_fma_f64 v[10:11], v[10:11], v[14:15], -v[30:31]
	v_fma_f64 v[12:13], v[12:13], v[14:15], v[16:17]
	v_add_f64 v[6:7], v[18:19], v[6:7]
	v_add_f64 v[8:9], v[20:21], v[8:9]
	;; [unrolled: 1-line block ×4, first 2 shown]
	ds_write_b128 v46, v[6:9]
	s_waitcnt lgkmcnt(0)
	s_barrier
	s_and_saveexec_b64 s[4:5], s[2:3]
	s_cbranch_execz .LBB122_96
; %bb.95:
	ds_read_b128 v[6:9], v45
	ds_read_b128 v[10:13], v45 offset:16
	s_waitcnt lgkmcnt(1)
	v_add_f64 v[2:3], v[2:3], v[6:7]
	v_add_f64 v[4:5], v[4:5], v[8:9]
	s_waitcnt lgkmcnt(0)
	v_add_f64 v[10:11], v[2:3], v[10:11]
	v_add_f64 v[12:13], v[4:5], v[12:13]
	ds_read_b128 v[2:5], v45 offset:32
	ds_read_b128 v[6:9], v45 offset:48
	s_waitcnt lgkmcnt(1)
	v_add_f64 v[2:3], v[10:11], v[2:3]
	v_add_f64 v[4:5], v[12:13], v[4:5]
	s_waitcnt lgkmcnt(0)
	v_add_f64 v[10:11], v[2:3], v[6:7]
	v_add_f64 v[12:13], v[4:5], v[8:9]
	ds_read_b128 v[2:5], v45 offset:64
	;; [unrolled: 8-line block ×3, first 2 shown]
	ds_read_b128 v[6:9], v45 offset:112
	s_waitcnt lgkmcnt(1)
	v_add_f64 v[2:3], v[10:11], v[2:3]
	v_add_f64 v[4:5], v[12:13], v[4:5]
	s_waitcnt lgkmcnt(0)
	v_add_f64 v[2:3], v[2:3], v[6:7]
	v_add_f64 v[4:5], v[4:5], v[8:9]
.LBB122_96:
	s_or_b64 exec, exec, s[4:5]
	s_mul_hi_u32 s2, s37, s7
	s_mul_i32 s38, s38, s7
	s_add_i32 s2, s2, s38
	s_mul_i32 s4, s37, s7
	s_mul_i32 s2, s2, s33
	s_mul_hi_u32 s3, s4, s33
	s_add_i32 s3, s3, s2
	s_mul_i32 s2, s4, s33
	s_lshl_b64 s[2:3], s[2:3], 4
	s_add_u32 s4, s34, s2
	s_addc_u32 s5, s35, s3
	s_mul_hi_i32 s3, s37, s6
	s_mul_i32 s2, s37, s6
	s_lshl_b64 s[2:3], s[2:3], 4
	s_add_u32 s7, s4, s2
	s_addc_u32 s21, s5, s3
	s_add_i32 s2, s6, 1
	s_cmp_ge_u32 s2, s33
	v_lshlrev_b32_e32 v177, 4, v0
	s_barrier
	s_cbranch_scc1 .LBB122_154
; %bb.97:
	s_mul_i32 s2, s24, s23
	s_mul_hi_u32 s3, s24, s22
	s_add_i32 s2, s3, s2
	s_mul_i32 s3, s25, s22
	s_add_i32 s3, s2, s3
	s_mul_i32 s2, s24, s22
	s_lshl_b64 s[2:3], s[2:3], 4
	v_mov_b32_e32 v6, s3
	v_subrev_co_u32_e32 v179, vcc, s2, v40
	v_subb_co_u32_e32 v180, vcc, v41, v6, vcc
	v_lshrrev_b32_e32 v6, 4, v44
	v_lshlrev_b32_e32 v8, 6, v6
	v_mul_i32_i24_e32 v11, 0xffffffd0, v6
	v_and_b32_e32 v6, 48, v0
	v_and_b32_e32 v7, 15, v0
	v_lshlrev_b32_e32 v10, 6, v1
	s_movk_i32 s4, 0x430
	v_lshlrev_b32_e32 v6, 4, v6
	v_mad_u32_u24 v186, v7, s4, v6
	v_or_b32_e32 v6, 0xf0, v177
	v_add_u32_e32 v9, 0x200, v10
	v_mad_u32_u24 v185, v7, s4, v8
	v_mad_u32_u24 v187, v7, s4, v6
	v_mad_u64_u32 v[7:8], s[4:5], s16, v9, 0
	v_add_u32_e32 v13, 0x530, v10
	v_add_u32_e32 v182, 0x4300, v10
	v_mad_u64_u32 v[8:9], s[4:5], s17, v9, v[8:9]
	v_sub_co_u32_e32 v7, vcc, v7, v38
	v_subb_co_u32_e32 v9, vcc, v8, v39, vcc
	v_or_b32_e32 v12, 8, v7
	v_mad_u64_u32 v[7:8], s[4:5], s16, v13, 0
	v_add_co_u32_e32 v203, vcc, v42, v12
	v_addc_co_u32_e32 v204, vcc, v43, v9, vcc
	v_mad_u64_u32 v[8:9], s[4:5], s17, v13, v[8:9]
	v_sub_co_u32_e32 v9, vcc, v7, v38
	v_add_u32_e32 v13, 0x220, v10
	v_subb_co_u32_e32 v12, vcc, v8, v39, vcc
	v_mad_u64_u32 v[7:8], s[4:5], s16, v13, 0
	v_add_co_u32_e32 v205, vcc, v42, v9
	v_mad_u64_u32 v[8:9], s[4:5], s17, v13, v[8:9]
	v_addc_co_u32_e32 v206, vcc, v43, v12, vcc
	v_sub_co_u32_e32 v9, vcc, v7, v38
	v_add_u32_e32 v13, 0x520, v10
	v_subb_co_u32_e32 v12, vcc, v8, v39, vcc
	v_mad_u64_u32 v[7:8], s[4:5], s16, v13, 0
	v_add_co_u32_e32 v207, vcc, v42, v9
	v_mad_u64_u32 v[8:9], s[4:5], s17, v13, v[8:9]
	v_addc_co_u32_e32 v208, vcc, v43, v12, vcc
	;; [unrolled: 7-line block ×3, first 2 shown]
	v_sub_co_u32_e32 v7, vcc, v7, v38
	v_add_u32_e32 v13, 0x510, v10
	v_subb_co_u32_e32 v9, vcc, v8, v39, vcc
	v_or_b32_e32 v12, 8, v7
	v_mad_u64_u32 v[7:8], s[4:5], s16, v13, 0
	v_add_co_u32_e32 v211, vcc, v42, v12
	v_addc_co_u32_e32 v212, vcc, v43, v9, vcc
	v_mad_u64_u32 v[8:9], s[4:5], s17, v13, v[8:9]
	v_sub_co_u32_e32 v9, vcc, v7, v38
	v_add_u32_e32 v13, 0x230, v10
	v_subb_co_u32_e32 v12, vcc, v8, v39, vcc
	v_mad_u64_u32 v[7:8], s[4:5], s16, v13, 0
	v_add_co_u32_e32 v213, vcc, v42, v9
	v_mad_u64_u32 v[8:9], s[4:5], s17, v13, v[8:9]
	v_addc_co_u32_e32 v214, vcc, v43, v12, vcc
	v_sub_co_u32_e32 v7, vcc, v7, v38
	v_add_u32_e32 v13, 0x500, v10
	v_subb_co_u32_e32 v9, vcc, v8, v39, vcc
	v_or_b32_e32 v12, 8, v7
	v_mad_u64_u32 v[7:8], s[4:5], s16, v13, 0
	v_add_co_u32_e32 v215, vcc, v42, v12
	v_addc_co_u32_e32 v216, vcc, v43, v9, vcc
	v_mad_u64_u32 v[8:9], s[4:5], s17, v13, v[8:9]
	v_sub_co_u32_e32 v9, vcc, v7, v38
	v_add_u32_e32 v13, 0x300, v10
	v_subb_co_u32_e32 v12, vcc, v8, v39, vcc
	v_mad_u64_u32 v[7:8], s[4:5], s16, v13, 0
	v_add_co_u32_e32 v217, vcc, v42, v9
	v_mad_u64_u32 v[8:9], s[4:5], s17, v13, v[8:9]
	v_addc_co_u32_e32 v218, vcc, v43, v12, vcc
	;; [unrolled: 15-line block ×5, first 2 shown]
	v_sub_co_u32_e32 v7, vcc, v7, v38
	v_add_u32_e32 v10, 0x400, v10
	v_subb_co_u32_e32 v9, vcc, v8, v39, vcc
	v_or_b32_e32 v12, 8, v7
	v_mad_u64_u32 v[7:8], s[4:5], s16, v10, 0
	v_add_co_u32_e32 v231, vcc, v42, v12
	v_addc_co_u32_e32 v232, vcc, v43, v9, vcc
	v_mad_u64_u32 v[8:9], s[4:5], s17, v10, v[8:9]
	v_sub_co_u32_e32 v7, vcc, v7, v38
	v_subb_co_u32_e32 v8, vcc, v8, v39, vcc
	v_or_b32_e32 v7, 8, v7
	v_lshlrev_b32_e32 v178, 2, v1
	s_movk_i32 s2, 0x10c0
	v_add_co_u32_e32 v233, vcc, v42, v7
	s_add_i32 s23, s33, -2
	v_add_u32_e32 v181, 0x4300, v177
	v_add_u32_e32 v183, 0x4700, v177
	v_mad_u32_u24 v184, v1, s2, v177
	v_cmp_gt_u32_e64 s[2:3], 64, v44
	v_or_b32_e32 v188, 1, v178
	v_or_b32_e32 v189, 2, v178
	;; [unrolled: 1-line block ×3, first 2 shown]
	v_add_u32_e32 v191, 16, v178
	v_add_u32_e32 v192, 17, v178
	;; [unrolled: 1-line block ×12, first 2 shown]
	s_add_i32 s22, s22, 64
	v_mov_b32_e32 v6, 0
	s_lshl_b64 s[10:11], s[16:17], 10
	v_addc_co_u32_e32 v234, vcc, v43, v8, vcc
	v_add_u32_e32 v235, v185, v11
	s_cmp_eq_u32 s23, s6
	s_cselect_b32 s16, s36, 0
	s_and_saveexec_b64 s[4:5], s[0:1]
	s_cbranch_execz .LBB122_102
.LBB122_98:
	s_cmp_lg_u32 s16, 0
	s_cselect_b64 s[8:9], -1, 0
	v_cmp_le_i32_e32 vcc, s16, v0
	s_and_b64 s[8:9], s[8:9], vcc
	s_and_saveexec_b64 s[12:13], s[8:9]
	s_xor_b64 s[8:9], exec, s[12:13]
; %bb.99:
	v_mov_b32_e32 v7, v6
	v_mov_b32_e32 v8, v6
	;; [unrolled: 1-line block ×3, first 2 shown]
	ds_write_b128 v181, v[6:9]
; %bb.100:
	s_andn2_saveexec_b64 s[8:9], s[8:9]
	s_cbranch_execz .LBB122_102
; %bb.101:
	s_ashr_i32 s8, s22, 31
	s_mul_hi_u32 s9, s24, s22
	s_mul_i32 s8, s24, s8
	s_add_i32 s8, s9, s8
	s_mul_i32 s9, s25, s22
	s_add_i32 s9, s8, s9
	s_mul_i32 s8, s24, s22
	s_lshl_b64 s[8:9], s[8:9], 4
	v_mov_b32_e32 v8, s9
	v_add_co_u32_e32 v7, vcc, s8, v179
	v_addc_co_u32_e32 v8, vcc, v180, v8, vcc
	global_load_dwordx4 v[7:10], v[7:8], off
	s_waitcnt vmcnt(0)
	ds_write2_b64 v181, v[7:8], v[9:10] offset1:1
.LBB122_102:                            ; =>This Inner Loop Header: Depth=1
	s_or_b64 exec, exec, s[4:5]
	s_cmp_eq_u32 s16, 0
	v_add_co_u32_e32 v19, vcc, v203, v177
	s_cselect_b64 s[12:13], -1, 0
	s_cmp_lg_u32 s16, 0
	v_addc_co_u32_e32 v20, vcc, 0, v204, vcc
	s_cselect_b64 s[8:9], -1, 0
	s_and_b64 vcc, exec, s[8:9]
	s_waitcnt lgkmcnt(0)
	s_barrier
	s_cbranch_vccz .LBB122_110
; %bb.103:                              ;   in Loop: Header=BB122_102 Depth=1
	v_mov_b32_e32 v11, 0
	v_mov_b32_e32 v7, 0
	;; [unrolled: 1-line block ×6, first 2 shown]
	v_cmp_gt_i32_e32 vcc, s16, v178
	s_and_saveexec_b64 s[4:5], vcc
	s_cbranch_execz .LBB122_105
; %bb.104:                              ;   in Loop: Header=BB122_102 Depth=1
	global_load_dwordx4 v[7:10], v[19:20], off offset:-8
.LBB122_105:                            ;   in Loop: Header=BB122_102 Depth=1
	s_or_b64 exec, exec, s[4:5]
	v_mov_b32_e32 v13, 0
	v_mov_b32_e32 v14, 0
	v_cmp_gt_i32_e32 vcc, s16, v188
	s_and_saveexec_b64 s[4:5], vcc
	s_cbranch_execz .LBB122_107
; %bb.106:                              ;   in Loop: Header=BB122_102 Depth=1
	v_add_co_u32_e32 v11, vcc, v211, v177
	v_addc_co_u32_e32 v12, vcc, 0, v212, vcc
	global_load_dwordx4 v[11:14], v[11:12], off offset:-8
.LBB122_107:                            ;   in Loop: Header=BB122_102 Depth=1
	s_or_b64 exec, exec, s[4:5]
	v_mov_b32_e32 v15, 0
	v_mov_b32_e32 v17, 0
	;; [unrolled: 1-line block ×4, first 2 shown]
	v_cmp_gt_i32_e32 vcc, s16, v189
	s_and_saveexec_b64 s[4:5], vcc
	s_cbranch_execz .LBB122_109
; %bb.108:                              ;   in Loop: Header=BB122_102 Depth=1
	v_add_co_u32_e32 v15, vcc, v207, v177
	v_addc_co_u32_e32 v16, vcc, 0, v208, vcc
	global_load_dwordx4 v[15:18], v[15:16], off
.LBB122_109:                            ;   in Loop: Header=BB122_102 Depth=1
	s_or_b64 exec, exec, s[4:5]
	v_cmp_gt_i32_e64 s[4:5], s16, v190
	s_branch .LBB122_112
.LBB122_110:                            ;   in Loop: Header=BB122_102 Depth=1
	s_mov_b64 s[4:5], 0
                                        ; implicit-def: $vgpr17_vgpr18
                                        ; implicit-def: $vgpr13_vgpr14
                                        ; implicit-def: $vgpr9_vgpr10
	s_cbranch_execz .LBB122_112
; %bb.111:                              ;   in Loop: Header=BB122_102 Depth=1
	s_waitcnt vmcnt(0)
	v_add_co_u32_e32 v11, vcc, v211, v177
	v_addc_co_u32_e32 v12, vcc, 0, v212, vcc
	v_add_co_u32_e32 v15, vcc, v207, v177
	v_addc_co_u32_e32 v16, vcc, 0, v208, vcc
	global_load_dwordx4 v[7:10], v[19:20], off offset:-8
	s_or_b64 s[4:5], s[4:5], exec
	global_load_dwordx4 v[11:14], v[11:12], off offset:-8
	s_nop 0
	global_load_dwordx4 v[15:18], v[15:16], off
.LBB122_112:                            ;   in Loop: Header=BB122_102 Depth=1
	v_mov_b32_e32 v19, 0
	v_mov_b32_e32 v21, 0
	;; [unrolled: 1-line block ×4, first 2 shown]
	s_and_saveexec_b64 s[14:15], s[4:5]
	s_cbranch_execz .LBB122_114
; %bb.113:                              ;   in Loop: Header=BB122_102 Depth=1
	v_add_co_u32_e32 v19, vcc, v215, v177
	v_addc_co_u32_e32 v20, vcc, 0, v216, vcc
	global_load_dwordx4 v[19:22], v[19:20], off offset:-8
.LBB122_114:                            ;   in Loop: Header=BB122_102 Depth=1
	s_or_b64 exec, exec, s[14:15]
	ds_read_b128 v[23:26], v183
	s_andn2_b64 vcc, exec, s[8:9]
	s_waitcnt vmcnt(0) lgkmcnt(0)
	v_mul_f64 v[27:28], v[9:10], v[25:26]
	v_mul_f64 v[29:30], v[7:8], v[25:26]
	;; [unrolled: 1-line block ×8, first 2 shown]
	v_fma_f64 v[27:28], v[7:8], v[23:24], -v[27:28]
	v_fma_f64 v[29:30], v[9:10], v[23:24], v[29:30]
	v_fma_f64 v[31:32], v[11:12], v[23:24], -v[31:32]
	v_fma_f64 v[33:34], v[13:14], v[23:24], v[33:34]
	;; [unrolled: 2-line block ×4, first 2 shown]
	ds_read_b128 v[47:50], v182
	ds_read_b128 v[43:46], v182 offset:16
	ds_read_b128 v[35:38], v182 offset:32
	;; [unrolled: 1-line block ×3, first 2 shown]
	ds_write_b128 v184, v[27:30]
	ds_write_b128 v184, v[31:34] offset:1072
	ds_write_b128 v184, v[39:42] offset:2144
	;; [unrolled: 1-line block ×3, first 2 shown]
	s_waitcnt lgkmcnt(0)
	s_barrier
	ds_read_b128 v[95:98], v185
	ds_read_b128 v[91:94], v185 offset:16
	ds_read_b128 v[87:90], v185 offset:32
	ds_read_b128 v[83:86], v185 offset:48
	v_cndmask_b32_e64 v27, 0, 1, s[8:9]
	v_add_co_u32_e64 v51, s[8:9], v219, v177
	v_cmp_ne_u32_e64 s[4:5], 1, v27
	v_addc_co_u32_e64 v52, s[8:9], 0, v220, s[8:9]
	s_waitcnt lgkmcnt(0)
	s_barrier
	s_cbranch_vccnz .LBB122_122
; %bb.115:                              ;   in Loop: Header=BB122_102 Depth=1
	v_mov_b32_e32 v27, 0
	v_mov_b32_e32 v31, 0
	;; [unrolled: 1-line block ×6, first 2 shown]
	v_cmp_gt_i32_e32 vcc, s16, v191
	s_and_saveexec_b64 s[8:9], vcc
	s_cbranch_execz .LBB122_117
; %bb.116:                              ;   in Loop: Header=BB122_102 Depth=1
	global_load_dwordx4 v[31:34], v[51:52], off offset:-8
.LBB122_117:                            ;   in Loop: Header=BB122_102 Depth=1
	s_or_b64 exec, exec, s[8:9]
	v_mov_b32_e32 v29, 0
	v_mov_b32_e32 v30, 0
	v_cmp_gt_i32_e32 vcc, s16, v192
	s_and_saveexec_b64 s[8:9], vcc
	s_cbranch_execz .LBB122_119
; %bb.118:                              ;   in Loop: Header=BB122_102 Depth=1
	v_add_co_u32_e32 v27, vcc, v223, v177
	v_addc_co_u32_e32 v28, vcc, 0, v224, vcc
	global_load_dwordx4 v[27:30], v[27:28], off offset:-8
.LBB122_119:                            ;   in Loop: Header=BB122_102 Depth=1
	s_or_b64 exec, exec, s[8:9]
	v_mov_b32_e32 v39, 0
	v_mov_b32_e32 v41, 0
	;; [unrolled: 1-line block ×4, first 2 shown]
	v_cmp_gt_i32_e32 vcc, s16, v193
	s_and_saveexec_b64 s[8:9], vcc
	s_cbranch_execz .LBB122_121
; %bb.120:                              ;   in Loop: Header=BB122_102 Depth=1
	v_add_co_u32_e32 v39, vcc, v227, v177
	v_addc_co_u32_e32 v40, vcc, 0, v228, vcc
	global_load_dwordx4 v[39:42], v[39:40], off offset:-8
.LBB122_121:                            ;   in Loop: Header=BB122_102 Depth=1
	s_or_b64 exec, exec, s[8:9]
	v_cmp_gt_i32_e64 s[8:9], s16, v194
	s_branch .LBB122_124
.LBB122_122:                            ;   in Loop: Header=BB122_102 Depth=1
	s_mov_b64 s[8:9], 0
                                        ; implicit-def: $vgpr41_vgpr42
                                        ; implicit-def: $vgpr29_vgpr30
                                        ; implicit-def: $vgpr33_vgpr34
	s_cbranch_execz .LBB122_124
; %bb.123:                              ;   in Loop: Header=BB122_102 Depth=1
	s_waitcnt vmcnt(0)
	v_add_co_u32_e32 v27, vcc, v223, v177
	v_addc_co_u32_e32 v28, vcc, 0, v224, vcc
	v_add_co_u32_e32 v39, vcc, v227, v177
	v_addc_co_u32_e32 v40, vcc, 0, v228, vcc
	global_load_dwordx4 v[31:34], v[51:52], off offset:-8
	s_or_b64 s[8:9], s[8:9], exec
	global_load_dwordx4 v[27:30], v[27:28], off offset:-8
	s_nop 0
	global_load_dwordx4 v[39:42], v[39:40], off offset:-8
.LBB122_124:                            ;   in Loop: Header=BB122_102 Depth=1
	v_mov_b32_e32 v51, 0
	v_mov_b32_e32 v53, 0
	;; [unrolled: 1-line block ×4, first 2 shown]
	s_and_saveexec_b64 s[14:15], s[8:9]
	s_cbranch_execz .LBB122_126
; %bb.125:                              ;   in Loop: Header=BB122_102 Depth=1
	v_add_co_u32_e32 v51, vcc, v231, v177
	v_addc_co_u32_e32 v52, vcc, 0, v232, vcc
	global_load_dwordx4 v[51:54], v[51:52], off offset:-8
.LBB122_126:                            ;   in Loop: Header=BB122_102 Depth=1
	s_or_b64 exec, exec, s[14:15]
	ds_read_b128 v[55:58], v183
	s_and_b64 vcc, exec, s[4:5]
	s_waitcnt vmcnt(0) lgkmcnt(0)
	v_mul_f64 v[59:60], v[33:34], v[57:58]
	v_mul_f64 v[61:62], v[31:32], v[57:58]
	;; [unrolled: 1-line block ×8, first 2 shown]
	v_fma_f64 v[63:64], v[31:32], v[55:56], -v[59:60]
	v_fma_f64 v[65:66], v[33:34], v[55:56], v[61:62]
	v_fma_f64 v[67:68], v[27:28], v[55:56], -v[67:68]
	v_fma_f64 v[69:70], v[29:30], v[55:56], v[69:70]
	v_fma_f64 v[79:80], v[39:40], v[55:56], -v[71:72]
	v_fma_f64 v[81:82], v[41:42], v[55:56], v[73:74]
	v_fma_f64 v[99:100], v[51:52], v[55:56], -v[75:76]
	v_fma_f64 v[101:102], v[53:54], v[55:56], v[57:58]
	ds_read_b128 v[75:78], v182 offset:256
	ds_read_b128 v[71:74], v182 offset:272
	;; [unrolled: 1-line block ×4, first 2 shown]
	ds_write_b128 v184, v[63:66]
	ds_write_b128 v184, v[67:70] offset:1072
	ds_write_b128 v184, v[79:82] offset:2144
	;; [unrolled: 1-line block ×3, first 2 shown]
	s_waitcnt lgkmcnt(0)
	s_barrier
	ds_read_b128 v[147:150], v185
	ds_read_b128 v[139:142], v185 offset:16
	ds_read_b128 v[135:138], v185 offset:32
	;; [unrolled: 1-line block ×3, first 2 shown]
	v_add_co_u32_e64 v99, s[8:9], v233, v177
	v_addc_co_u32_e64 v100, s[8:9], 0, v234, s[8:9]
	s_waitcnt lgkmcnt(0)
	s_barrier
	s_cbranch_vccnz .LBB122_134
; %bb.127:                              ;   in Loop: Header=BB122_102 Depth=1
	v_mov_b32_e32 v67, 0
	v_mov_b32_e32 v63, 0
	;; [unrolled: 1-line block ×6, first 2 shown]
	v_cmp_gt_i32_e32 vcc, s16, v195
	s_and_saveexec_b64 s[8:9], vcc
	s_cbranch_execz .LBB122_129
; %bb.128:                              ;   in Loop: Header=BB122_102 Depth=1
	global_load_dwordx4 v[63:66], v[99:100], off offset:-8
.LBB122_129:                            ;   in Loop: Header=BB122_102 Depth=1
	s_or_b64 exec, exec, s[8:9]
	v_mov_b32_e32 v69, 0
	v_mov_b32_e32 v70, 0
	v_cmp_gt_i32_e32 vcc, s16, v196
	s_and_saveexec_b64 s[8:9], vcc
	s_cbranch_execz .LBB122_131
; %bb.130:                              ;   in Loop: Header=BB122_102 Depth=1
	v_add_co_u32_e32 v67, vcc, v229, v177
	v_addc_co_u32_e32 v68, vcc, 0, v230, vcc
	global_load_dwordx4 v[67:70], v[67:68], off
.LBB122_131:                            ;   in Loop: Header=BB122_102 Depth=1
	s_or_b64 exec, exec, s[8:9]
	v_mov_b32_e32 v79, 0
	v_mov_b32_e32 v81, 0
	;; [unrolled: 1-line block ×4, first 2 shown]
	v_cmp_gt_i32_e32 vcc, s16, v197
	s_and_saveexec_b64 s[8:9], vcc
	s_cbranch_execz .LBB122_133
; %bb.132:                              ;   in Loop: Header=BB122_102 Depth=1
	v_add_co_u32_e32 v79, vcc, v225, v177
	v_addc_co_u32_e32 v80, vcc, 0, v226, vcc
	global_load_dwordx4 v[79:82], v[79:80], off
.LBB122_133:                            ;   in Loop: Header=BB122_102 Depth=1
	s_or_b64 exec, exec, s[8:9]
	v_cmp_gt_i32_e64 s[8:9], s16, v198
	s_branch .LBB122_136
.LBB122_134:                            ;   in Loop: Header=BB122_102 Depth=1
	s_mov_b64 s[8:9], 0
                                        ; implicit-def: $vgpr81_vgpr82
                                        ; implicit-def: $vgpr69_vgpr70
                                        ; implicit-def: $vgpr65_vgpr66
	s_cbranch_execz .LBB122_136
; %bb.135:                              ;   in Loop: Header=BB122_102 Depth=1
	s_waitcnt vmcnt(0)
	v_add_co_u32_e32 v67, vcc, v229, v177
	v_addc_co_u32_e32 v68, vcc, 0, v230, vcc
	v_add_co_u32_e32 v79, vcc, v225, v177
	v_addc_co_u32_e32 v80, vcc, 0, v226, vcc
	global_load_dwordx4 v[63:66], v[99:100], off offset:-8
	s_or_b64 s[8:9], s[8:9], exec
	global_load_dwordx4 v[67:70], v[67:68], off
	s_nop 0
	global_load_dwordx4 v[79:82], v[79:80], off
.LBB122_136:                            ;   in Loop: Header=BB122_102 Depth=1
	v_mov_b32_e32 v99, 0
	v_mov_b32_e32 v101, 0
	;; [unrolled: 1-line block ×4, first 2 shown]
	s_and_saveexec_b64 s[14:15], s[8:9]
	s_cbranch_execz .LBB122_138
; %bb.137:                              ;   in Loop: Header=BB122_102 Depth=1
	v_add_co_u32_e32 v99, vcc, v221, v177
	v_addc_co_u32_e32 v100, vcc, 0, v222, vcc
	global_load_dwordx4 v[99:102], v[99:100], off
.LBB122_138:                            ;   in Loop: Header=BB122_102 Depth=1
	s_or_b64 exec, exec, s[14:15]
	ds_read_b128 v[103:106], v183
	s_and_b64 vcc, exec, s[4:5]
	s_waitcnt vmcnt(0) lgkmcnt(0)
	v_mul_f64 v[107:108], v[65:66], v[105:106]
	v_mul_f64 v[109:110], v[63:64], v[105:106]
	;; [unrolled: 1-line block ×8, first 2 shown]
	v_fma_f64 v[119:120], v[63:64], v[103:104], -v[107:108]
	v_fma_f64 v[121:122], v[65:66], v[103:104], v[109:110]
	v_fma_f64 v[123:124], v[67:68], v[103:104], -v[111:112]
	v_fma_f64 v[125:126], v[69:70], v[103:104], v[113:114]
	;; [unrolled: 2-line block ×4, first 2 shown]
	ds_read_b128 v[115:118], v182 offset:512
	ds_read_b128 v[111:114], v182 offset:528
	;; [unrolled: 1-line block ×4, first 2 shown]
	ds_write_b128 v184, v[119:122]
	ds_write_b128 v184, v[123:126] offset:1072
	ds_write_b128 v184, v[127:130] offset:2144
	;; [unrolled: 1-line block ×3, first 2 shown]
	s_waitcnt lgkmcnt(0)
	s_barrier
	ds_read_b128 v[155:158], v185
	ds_read_b128 v[151:154], v185 offset:16
	ds_read_b128 v[171:174], v185 offset:32
	;; [unrolled: 1-line block ×3, first 2 shown]
	v_add_co_u32_e64 v143, s[4:5], v217, v177
	v_addc_co_u32_e64 v144, s[4:5], 0, v218, s[4:5]
	s_waitcnt lgkmcnt(0)
	s_barrier
	s_cbranch_vccnz .LBB122_146
; %bb.139:                              ;   in Loop: Header=BB122_102 Depth=1
	v_mov_b32_e32 v123, 0
	v_mov_b32_e32 v119, 0
	;; [unrolled: 1-line block ×6, first 2 shown]
	v_cmp_gt_i32_e32 vcc, s16, v199
	s_and_saveexec_b64 s[4:5], vcc
	s_cbranch_execz .LBB122_141
; %bb.140:                              ;   in Loop: Header=BB122_102 Depth=1
	global_load_dwordx4 v[119:122], v[143:144], off
.LBB122_141:                            ;   in Loop: Header=BB122_102 Depth=1
	s_or_b64 exec, exec, s[4:5]
	v_mov_b32_e32 v125, 0
	v_mov_b32_e32 v126, 0
	v_cmp_gt_i32_e32 vcc, s16, v200
	s_and_saveexec_b64 s[4:5], vcc
	s_cbranch_execz .LBB122_143
; %bb.142:                              ;   in Loop: Header=BB122_102 Depth=1
	v_add_co_u32_e32 v123, vcc, v213, v177
	v_addc_co_u32_e32 v124, vcc, 0, v214, vcc
	global_load_dwordx4 v[123:126], v[123:124], off
.LBB122_143:                            ;   in Loop: Header=BB122_102 Depth=1
	s_or_b64 exec, exec, s[4:5]
	v_mov_b32_e32 v127, 0
	v_mov_b32_e32 v129, 0
	v_mov_b32_e32 v128, 0
	v_mov_b32_e32 v130, 0
	v_cmp_gt_i32_e32 vcc, s16, v201
	s_and_saveexec_b64 s[4:5], vcc
	s_cbranch_execz .LBB122_145
; %bb.144:                              ;   in Loop: Header=BB122_102 Depth=1
	v_add_co_u32_e32 v127, vcc, v209, v177
	v_addc_co_u32_e32 v128, vcc, 0, v210, vcc
	global_load_dwordx4 v[127:130], v[127:128], off
.LBB122_145:                            ;   in Loop: Header=BB122_102 Depth=1
	s_or_b64 exec, exec, s[4:5]
	v_cmp_gt_i32_e64 s[4:5], s16, v202
	s_branch .LBB122_148
.LBB122_146:                            ;   in Loop: Header=BB122_102 Depth=1
	s_mov_b64 s[4:5], 0
                                        ; implicit-def: $vgpr129_vgpr130
                                        ; implicit-def: $vgpr125_vgpr126
                                        ; implicit-def: $vgpr121_vgpr122
	s_cbranch_execz .LBB122_148
; %bb.147:                              ;   in Loop: Header=BB122_102 Depth=1
	s_waitcnt vmcnt(0)
	v_add_co_u32_e32 v123, vcc, v213, v177
	v_addc_co_u32_e32 v124, vcc, 0, v214, vcc
	v_add_co_u32_e32 v127, vcc, v209, v177
	v_addc_co_u32_e32 v128, vcc, 0, v210, vcc
	global_load_dwordx4 v[119:122], v[143:144], off
	s_or_b64 s[4:5], s[4:5], exec
	global_load_dwordx4 v[123:126], v[123:124], off
	s_nop 0
	global_load_dwordx4 v[127:130], v[127:128], off
.LBB122_148:                            ;   in Loop: Header=BB122_102 Depth=1
	v_mov_b32_e32 v143, 0
	v_mov_b32_e32 v145, 0
	;; [unrolled: 1-line block ×4, first 2 shown]
	s_and_saveexec_b64 s[8:9], s[4:5]
	s_cbranch_execz .LBB122_150
; %bb.149:                              ;   in Loop: Header=BB122_102 Depth=1
	v_add_co_u32_e32 v143, vcc, v205, v177
	v_addc_co_u32_e32 v144, vcc, 0, v206, vcc
	global_load_dwordx4 v[143:146], v[143:144], off
.LBB122_150:                            ;   in Loop: Header=BB122_102 Depth=1
	s_or_b64 exec, exec, s[8:9]
	v_add_f64 v[155:156], v[155:156], 0
	v_add_f64 v[157:158], v[157:158], 0
	ds_read_b128 v[159:162], v183
	v_add_f64 v[147:148], v[147:148], 0
	v_add_f64 v[149:150], v[149:150], 0
	v_cmp_gt_i32_e32 vcc, s16, v0
	s_or_b64 s[4:5], s[12:13], vcc
	s_waitcnt vmcnt(0) lgkmcnt(0)
	v_mul_f64 v[163:164], v[121:122], v[161:162]
	v_mul_f64 v[165:166], v[119:120], v[161:162]
	;; [unrolled: 1-line block ×3, first 2 shown]
	v_add_f64 v[252:253], v[155:156], v[151:152]
	v_mul_f64 v[151:152], v[123:124], v[161:162]
	v_add_f64 v[254:255], v[157:158], v[153:154]
	v_mul_f64 v[153:154], v[129:130], v[161:162]
	v_mul_f64 v[155:156], v[127:128], v[161:162]
	;; [unrolled: 1-line block ×4, first 2 shown]
	v_fma_f64 v[236:237], v[119:120], v[159:160], -v[163:164]
	v_fma_f64 v[238:239], v[121:122], v[159:160], v[165:166]
	v_fma_f64 v[240:241], v[123:124], v[159:160], -v[240:241]
	v_fma_f64 v[242:243], v[125:126], v[159:160], v[151:152]
	;; [unrolled: 2-line block ×4, first 2 shown]
	ds_read_b128 v[163:166], v182 offset:768
	ds_read_b128 v[159:162], v182 offset:784
	;; [unrolled: 1-line block ×4, first 2 shown]
	ds_write_b128 v184, v[236:239]
	ds_write_b128 v184, v[240:243] offset:1072
	ds_write_b128 v184, v[244:247] offset:2144
	;; [unrolled: 1-line block ×3, first 2 shown]
	s_waitcnt lgkmcnt(0)
	s_barrier
	ds_read_b128 v[236:239], v185
	v_add_f64 v[240:241], v[95:96], 0
	v_add_f64 v[242:243], v[97:98], 0
	ds_read_b128 v[95:98], v185 offset:16
	v_add_f64 v[139:140], v[147:148], v[139:140]
	s_waitcnt lgkmcnt(1)
	v_add_f64 v[236:237], v[236:237], 0
	v_add_f64 v[238:239], v[238:239], 0
	;; [unrolled: 1-line block ×6, first 2 shown]
	ds_read_b128 v[91:94], v185 offset:32
	v_add_f64 v[135:136], v[139:140], v[135:136]
	s_waitcnt lgkmcnt(1)
	v_add_f64 v[95:96], v[236:237], v[95:96]
	v_add_f64 v[97:98], v[238:239], v[97:98]
	v_add_f64 v[173:174], v[254:255], v[173:174]
	v_add_f64 v[137:138], v[141:142], v[137:138]
	v_add_f64 v[139:140], v[149:150], v[87:88]
	v_add_f64 v[141:142], v[171:172], v[89:90]
	ds_read_b128 v[87:90], v185 offset:48
	s_and_b64 s[8:9], s[2:3], s[4:5]
	s_waitcnt lgkmcnt(1)
	v_add_f64 v[149:150], v[95:96], v[91:92]
	v_add_f64 v[171:172], v[97:98], v[93:94]
	;; [unrolled: 1-line block ×8, first 2 shown]
	s_waitcnt lgkmcnt(0)
	v_add_f64 v[87:88], v[149:150], v[87:88]
	v_add_f64 v[89:90], v[171:172], v[89:90]
	s_barrier
	ds_write_b128 v235, v[83:86]
	ds_write_b128 v235, v[95:98] offset:256
	ds_write_b128 v235, v[91:94] offset:512
	;; [unrolled: 1-line block ×3, first 2 shown]
	s_waitcnt lgkmcnt(0)
	s_barrier
	s_and_saveexec_b64 s[4:5], s[8:9]
	s_cbranch_execz .LBB122_152
; %bb.151:                              ;   in Loop: Header=BB122_102 Depth=1
	ds_read_b128 v[83:86], v186
	ds_read_b128 v[87:90], v186 offset:16
	s_waitcnt lgkmcnt(0)
	v_add_f64 v[91:92], v[87:88], v[83:84]
	v_add_f64 v[93:94], v[89:90], v[85:86]
	ds_read_b128 v[83:86], v186 offset:32
	ds_read_b128 v[87:90], v186 offset:48
	s_waitcnt lgkmcnt(1)
	v_add_f64 v[83:84], v[91:92], v[83:84]
	v_add_f64 v[85:86], v[93:94], v[85:86]
	s_waitcnt lgkmcnt(0)
	v_add_f64 v[91:92], v[83:84], v[87:88]
	v_add_f64 v[93:94], v[85:86], v[89:90]
	ds_read_b128 v[83:86], v186 offset:64
	ds_read_b128 v[87:90], v186 offset:80
	s_waitcnt lgkmcnt(1)
	v_add_f64 v[83:84], v[91:92], v[83:84]
	v_add_f64 v[85:86], v[93:94], v[85:86]
	;; [unrolled: 8-line block ×6, first 2 shown]
	s_waitcnt lgkmcnt(0)
	v_add_f64 v[91:92], v[83:84], v[87:88]
	v_add_f64 v[93:94], v[85:86], v[89:90]
	ds_read_b128 v[83:86], v186 offset:224
	ds_read_b128 v[87:90], v187
	s_waitcnt lgkmcnt(1)
	v_add_f64 v[83:84], v[91:92], v[83:84]
	v_add_f64 v[85:86], v[93:94], v[85:86]
	s_waitcnt lgkmcnt(0)
	v_add_f64 v[83:84], v[83:84], v[87:88]
	v_add_f64 v[85:86], v[85:86], v[89:90]
	v_add_u32_e32 v87, s22, v0
	v_ashrrev_i32_e32 v88, 31, v87
	v_lshlrev_b64 v[87:88], 4, v[87:88]
	v_mov_b32_e32 v89, s21
	v_add_co_u32_e32 v87, vcc, s7, v87
	v_addc_co_u32_e32 v88, vcc, v89, v88, vcc
	global_store_dwordx4 v[87:88], v[83:86], off
.LBB122_152:                            ;   in Loop: Header=BB122_102 Depth=1
	s_or_b64 exec, exec, s[4:5]
	v_mul_f64 v[83:84], v[9:10], v[49:50]
	v_mul_f64 v[49:50], v[7:8], v[49:50]
	v_mul_f64 v[85:86], v[13:14], v[45:46]
	v_mul_f64 v[45:46], v[11:12], v[45:46]
	v_add_co_u32_e32 v203, vcc, s10, v203
	s_add_i32 s4, s6, 1
	s_add_i32 s22, s22, 64
	v_fma_f64 v[7:8], v[7:8], v[47:48], -v[83:84]
	v_fma_f64 v[9:10], v[9:10], v[47:48], v[49:50]
	v_mul_f64 v[47:48], v[17:18], v[37:38]
	v_mul_f64 v[37:38], v[15:16], v[37:38]
	v_fma_f64 v[11:12], v[11:12], v[43:44], -v[85:86]
	v_fma_f64 v[13:14], v[13:14], v[43:44], v[45:46]
	v_mul_f64 v[49:50], v[21:22], v[25:26]
	v_mul_f64 v[43:44], v[29:30], v[73:74]
	v_add_f64 v[2:3], v[2:3], v[7:8]
	v_add_f64 v[4:5], v[4:5], v[9:10]
	v_mul_f64 v[7:8], v[19:20], v[25:26]
	v_fma_f64 v[15:16], v[15:16], v[35:36], -v[47:48]
	v_fma_f64 v[17:18], v[17:18], v[35:36], v[37:38]
	v_mul_f64 v[9:10], v[33:34], v[77:78]
	v_mul_f64 v[25:26], v[31:32], v[77:78]
	v_fma_f64 v[19:20], v[19:20], v[23:24], -v[49:50]
	v_add_f64 v[2:3], v[2:3], v[11:12]
	v_add_f64 v[4:5], v[4:5], v[13:14]
	v_fma_f64 v[7:8], v[21:22], v[23:24], v[7:8]
	v_mul_f64 v[11:12], v[27:28], v[73:74]
	v_mul_f64 v[13:14], v[41:42], v[61:62]
	v_fma_f64 v[9:10], v[31:32], v[75:76], -v[9:10]
	v_fma_f64 v[25:26], v[33:34], v[75:76], v[25:26]
	v_mul_f64 v[35:36], v[39:40], v[61:62]
	v_add_f64 v[2:3], v[2:3], v[15:16]
	v_add_f64 v[4:5], v[4:5], v[17:18]
	v_fma_f64 v[27:28], v[27:28], v[71:72], -v[43:44]
	v_fma_f64 v[11:12], v[29:30], v[71:72], v[11:12]
	v_mul_f64 v[37:38], v[53:54], v[57:58]
	v_mul_f64 v[15:16], v[51:52], v[57:58]
	v_fma_f64 v[13:14], v[39:40], v[59:60], -v[13:14]
	v_fma_f64 v[35:36], v[41:42], v[59:60], v[35:36]
	v_add_f64 v[2:3], v[2:3], v[19:20]
	v_add_f64 v[4:5], v[4:5], v[7:8]
	v_mul_f64 v[17:18], v[65:66], v[117:118]
	v_mul_f64 v[21:22], v[63:64], v[117:118]
	v_fma_f64 v[37:38], v[51:52], v[55:56], -v[37:38]
	v_fma_f64 v[15:16], v[53:54], v[55:56], v[15:16]
	v_mul_f64 v[23:24], v[69:70], v[113:114]
	v_mul_f64 v[7:8], v[67:68], v[113:114]
	v_add_f64 v[2:3], v[2:3], v[9:10]
	v_add_f64 v[4:5], v[4:5], v[25:26]
	v_fma_f64 v[17:18], v[63:64], v[115:116], -v[17:18]
	v_fma_f64 v[21:22], v[65:66], v[115:116], v[21:22]
	v_mul_f64 v[19:20], v[81:82], v[109:110]
	v_mul_f64 v[31:32], v[79:80], v[109:110]
	;; [unrolled: 1-line block ×3, first 2 shown]
	v_fma_f64 v[7:8], v[69:70], v[111:112], v[7:8]
	v_add_f64 v[2:3], v[2:3], v[27:28]
	v_add_f64 v[4:5], v[4:5], v[11:12]
	v_mul_f64 v[9:10], v[99:100], v[105:106]
	v_mul_f64 v[25:26], v[121:122], v[165:166]
	v_mul_f64 v[29:30], v[119:120], v[165:166]
	v_mul_f64 v[43:44], v[125:126], v[161:162]
	v_mul_f64 v[11:12], v[123:124], v[161:162]
	v_mul_f64 v[27:28], v[129:130], v[157:158]
	v_add_f64 v[2:3], v[2:3], v[13:14]
	v_add_f64 v[4:5], v[4:5], v[35:36]
	v_fma_f64 v[9:10], v[101:102], v[103:104], v[9:10]
	v_mul_f64 v[39:40], v[127:128], v[157:158]
	v_mov_b32_e32 v35, s11
	v_addc_co_u32_e32 v204, vcc, v204, v35, vcc
	v_add_co_u32_e32 v205, vcc, s10, v205
	v_add_f64 v[2:3], v[2:3], v[37:38]
	v_add_f64 v[4:5], v[4:5], v[15:16]
	v_fma_f64 v[15:16], v[67:68], v[111:112], -v[23:24]
	v_addc_co_u32_e32 v206, vcc, v206, v35, vcc
	v_add_co_u32_e32 v207, vcc, s10, v207
	v_addc_co_u32_e32 v208, vcc, v208, v35, vcc
	v_add_f64 v[2:3], v[2:3], v[17:18]
	v_add_f64 v[4:5], v[4:5], v[21:22]
	v_fma_f64 v[17:18], v[79:80], v[107:108], -v[19:20]
	v_fma_f64 v[19:20], v[81:82], v[107:108], v[31:32]
	v_add_co_u32_e32 v209, vcc, s10, v209
	v_addc_co_u32_e32 v210, vcc, v210, v35, vcc
	v_add_f64 v[2:3], v[2:3], v[15:16]
	v_add_f64 v[4:5], v[4:5], v[7:8]
	v_fma_f64 v[7:8], v[99:100], v[103:104], -v[33:34]
	v_fma_f64 v[15:16], v[119:120], v[163:164], -v[25:26]
	v_mul_f64 v[41:42], v[145:146], v[153:154]
	v_mul_f64 v[13:14], v[143:144], v[153:154]
	v_add_co_u32_e32 v211, vcc, s10, v211
	v_add_f64 v[2:3], v[2:3], v[17:18]
	v_add_f64 v[4:5], v[4:5], v[19:20]
	v_fma_f64 v[17:18], v[121:122], v[163:164], v[29:30]
	v_addc_co_u32_e32 v212, vcc, v212, v35, vcc
	v_add_co_u32_e32 v213, vcc, s10, v213
	v_addc_co_u32_e32 v214, vcc, v214, v35, vcc
	v_add_f64 v[2:3], v[2:3], v[7:8]
	v_add_f64 v[4:5], v[4:5], v[9:10]
	v_fma_f64 v[7:8], v[123:124], v[159:160], -v[43:44]
	v_fma_f64 v[9:10], v[125:126], v[159:160], v[11:12]
	v_fma_f64 v[11:12], v[127:128], v[155:156], -v[27:28]
	v_add_co_u32_e32 v215, vcc, s10, v215
	v_addc_co_u32_e32 v216, vcc, v216, v35, vcc
	v_add_f64 v[2:3], v[2:3], v[15:16]
	v_add_f64 v[4:5], v[4:5], v[17:18]
	v_fma_f64 v[15:16], v[129:130], v[155:156], v[39:40]
	v_add_co_u32_e32 v217, vcc, s10, v217
	v_addc_co_u32_e32 v218, vcc, v218, v35, vcc
	v_add_co_u32_e32 v219, vcc, s10, v219
	v_add_f64 v[2:3], v[2:3], v[7:8]
	v_add_f64 v[4:5], v[4:5], v[9:10]
	v_fma_f64 v[7:8], v[143:144], v[151:152], -v[41:42]
	v_fma_f64 v[9:10], v[145:146], v[151:152], v[13:14]
	v_addc_co_u32_e32 v220, vcc, v220, v35, vcc
	v_add_co_u32_e32 v221, vcc, s10, v221
	v_add_f64 v[2:3], v[2:3], v[11:12]
	v_add_f64 v[4:5], v[4:5], v[15:16]
	v_addc_co_u32_e32 v222, vcc, v222, v35, vcc
	v_add_co_u32_e32 v223, vcc, s10, v223
	v_addc_co_u32_e32 v224, vcc, v224, v35, vcc
	v_add_co_u32_e32 v225, vcc, s10, v225
	v_addc_co_u32_e32 v226, vcc, v226, v35, vcc
	v_add_f64 v[2:3], v[2:3], v[7:8]
	v_add_f64 v[4:5], v[4:5], v[9:10]
	v_add_co_u32_e32 v227, vcc, s10, v227
	v_addc_co_u32_e32 v228, vcc, v228, v35, vcc
	v_add_co_u32_e32 v229, vcc, s10, v229
	v_addc_co_u32_e32 v230, vcc, v230, v35, vcc
	;; [unrolled: 2-line block ×3, first 2 shown]
	s_add_i32 s5, s6, 2
	v_add_co_u32_e32 v233, vcc, s10, v233
	s_cmp_ge_u32 s5, s33
	v_addc_co_u32_e32 v234, vcc, v234, v35, vcc
	s_waitcnt vmcnt(0)
	s_barrier
	s_cbranch_scc1 .LBB122_154
; %bb.153:                              ;   in Loop: Header=BB122_102 Depth=1
	s_mov_b32 s6, s4
	s_cmp_eq_u32 s23, s6
	s_cselect_b32 s16, s36, 0
	s_and_saveexec_b64 s[4:5], s[0:1]
	s_cbranch_execnz .LBB122_98
	s_branch .LBB122_102
.LBB122_154:
	s_movk_i32 s2, 0x430
	v_cmp_gt_i32_e32 vcc, s20, v0
	v_mad_u32_u24 v1, v1, s2, v177
	s_or_b64 s[2:3], s[18:19], vcc
	s_and_b64 s[0:1], s[0:1], s[2:3]
	ds_write_b128 v1, v[2:5]
	s_waitcnt lgkmcnt(0)
	s_barrier
	s_and_saveexec_b64 s[2:3], s[0:1]
	s_cbranch_execz .LBB122_156
; %bb.155:
	ds_read_b128 v[0:3], v177 offset:1072
	ds_read_b128 v[4:7], v177
	s_waitcnt lgkmcnt(0)
	v_add_f64 v[8:9], v[0:1], v[4:5]
	v_add_f64 v[10:11], v[2:3], v[6:7]
	ds_read_b128 v[0:3], v177 offset:2144
	ds_read_b128 v[4:7], v177 offset:3216
	s_waitcnt lgkmcnt(1)
	v_add_f64 v[0:1], v[8:9], v[0:1]
	v_add_f64 v[2:3], v[10:11], v[2:3]
	s_waitcnt lgkmcnt(0)
	v_add_f64 v[0:1], v[0:1], v[4:5]
	v_add_f64 v[2:3], v[2:3], v[6:7]
	v_lshlrev_b64 v[4:5], 4, v[175:176]
	v_mov_b32_e32 v6, s21
	v_add_co_u32_e32 v4, vcc, s7, v4
	v_addc_co_u32_e32 v5, vcc, v6, v5, vcc
	global_store_dwordx4 v[4:5], v[0:3], off
.LBB122_156:
	s_endpgm
	.section	.rodata,"a",@progbits
	.p2align	6, 0x0
	.amdhsa_kernel _ZL26rocblas_hemvn_kernel_upperILb0ELi64ELi4ELi33ELi32ELi16ElPK19rocblas_complex_numIdES3_PS1_EviT6_lT7_lT5_lS6_lS7_lS5_lT8_i
		.amdhsa_group_segment_fixed_size 19200
		.amdhsa_private_segment_fixed_size 0
		.amdhsa_kernarg_size 376
		.amdhsa_user_sgpr_count 6
		.amdhsa_user_sgpr_private_segment_buffer 1
		.amdhsa_user_sgpr_dispatch_ptr 0
		.amdhsa_user_sgpr_queue_ptr 0
		.amdhsa_user_sgpr_kernarg_segment_ptr 1
		.amdhsa_user_sgpr_dispatch_id 0
		.amdhsa_user_sgpr_flat_scratch_init 0
		.amdhsa_user_sgpr_private_segment_size 0
		.amdhsa_uses_dynamic_stack 0
		.amdhsa_system_sgpr_private_segment_wavefront_offset 0
		.amdhsa_system_sgpr_workgroup_id_x 1
		.amdhsa_system_sgpr_workgroup_id_y 0
		.amdhsa_system_sgpr_workgroup_id_z 1
		.amdhsa_system_sgpr_workgroup_info 0
		.amdhsa_system_vgpr_workitem_id 1
		.amdhsa_next_free_vgpr 256
		.amdhsa_next_free_sgpr 98
		.amdhsa_reserve_vcc 1
		.amdhsa_reserve_flat_scratch 0
		.amdhsa_float_round_mode_32 0
		.amdhsa_float_round_mode_16_64 0
		.amdhsa_float_denorm_mode_32 3
		.amdhsa_float_denorm_mode_16_64 3
		.amdhsa_dx10_clamp 1
		.amdhsa_ieee_mode 1
		.amdhsa_fp16_overflow 0
		.amdhsa_exception_fp_ieee_invalid_op 0
		.amdhsa_exception_fp_denorm_src 0
		.amdhsa_exception_fp_ieee_div_zero 0
		.amdhsa_exception_fp_ieee_overflow 0
		.amdhsa_exception_fp_ieee_underflow 0
		.amdhsa_exception_fp_ieee_inexact 0
		.amdhsa_exception_int_div_zero 0
	.end_amdhsa_kernel
	.section	.text._ZL26rocblas_hemvn_kernel_upperILb0ELi64ELi4ELi33ELi32ELi16ElPK19rocblas_complex_numIdES3_PS1_EviT6_lT7_lT5_lS6_lS7_lS5_lT8_i,"axG",@progbits,_ZL26rocblas_hemvn_kernel_upperILb0ELi64ELi4ELi33ELi32ELi16ElPK19rocblas_complex_numIdES3_PS1_EviT6_lT7_lT5_lS6_lS7_lS5_lT8_i,comdat
.Lfunc_end122:
	.size	_ZL26rocblas_hemvn_kernel_upperILb0ELi64ELi4ELi33ELi32ELi16ElPK19rocblas_complex_numIdES3_PS1_EviT6_lT7_lT5_lS6_lS7_lS5_lT8_i, .Lfunc_end122-_ZL26rocblas_hemvn_kernel_upperILb0ELi64ELi4ELi33ELi32ELi16ElPK19rocblas_complex_numIdES3_PS1_EviT6_lT7_lT5_lS6_lS7_lS5_lT8_i
                                        ; -- End function
	.set _ZL26rocblas_hemvn_kernel_upperILb0ELi64ELi4ELi33ELi32ELi16ElPK19rocblas_complex_numIdES3_PS1_EviT6_lT7_lT5_lS6_lS7_lS5_lT8_i.num_vgpr, 256
	.set _ZL26rocblas_hemvn_kernel_upperILb0ELi64ELi4ELi33ELi32ELi16ElPK19rocblas_complex_numIdES3_PS1_EviT6_lT7_lT5_lS6_lS7_lS5_lT8_i.num_agpr, 0
	.set _ZL26rocblas_hemvn_kernel_upperILb0ELi64ELi4ELi33ELi32ELi16ElPK19rocblas_complex_numIdES3_PS1_EviT6_lT7_lT5_lS6_lS7_lS5_lT8_i.numbered_sgpr, 42
	.set _ZL26rocblas_hemvn_kernel_upperILb0ELi64ELi4ELi33ELi32ELi16ElPK19rocblas_complex_numIdES3_PS1_EviT6_lT7_lT5_lS6_lS7_lS5_lT8_i.num_named_barrier, 0
	.set _ZL26rocblas_hemvn_kernel_upperILb0ELi64ELi4ELi33ELi32ELi16ElPK19rocblas_complex_numIdES3_PS1_EviT6_lT7_lT5_lS6_lS7_lS5_lT8_i.private_seg_size, 0
	.set _ZL26rocblas_hemvn_kernel_upperILb0ELi64ELi4ELi33ELi32ELi16ElPK19rocblas_complex_numIdES3_PS1_EviT6_lT7_lT5_lS6_lS7_lS5_lT8_i.uses_vcc, 1
	.set _ZL26rocblas_hemvn_kernel_upperILb0ELi64ELi4ELi33ELi32ELi16ElPK19rocblas_complex_numIdES3_PS1_EviT6_lT7_lT5_lS6_lS7_lS5_lT8_i.uses_flat_scratch, 0
	.set _ZL26rocblas_hemvn_kernel_upperILb0ELi64ELi4ELi33ELi32ELi16ElPK19rocblas_complex_numIdES3_PS1_EviT6_lT7_lT5_lS6_lS7_lS5_lT8_i.has_dyn_sized_stack, 0
	.set _ZL26rocblas_hemvn_kernel_upperILb0ELi64ELi4ELi33ELi32ELi16ElPK19rocblas_complex_numIdES3_PS1_EviT6_lT7_lT5_lS6_lS7_lS5_lT8_i.has_recursion, 0
	.set _ZL26rocblas_hemvn_kernel_upperILb0ELi64ELi4ELi33ELi32ELi16ElPK19rocblas_complex_numIdES3_PS1_EviT6_lT7_lT5_lS6_lS7_lS5_lT8_i.has_indirect_call, 0
	.section	.AMDGPU.csdata,"",@progbits
; Kernel info:
; codeLenInByte = 10760
; TotalNumSgprs: 46
; NumVgprs: 256
; ScratchSize: 0
; MemoryBound: 1
; FloatMode: 240
; IeeeMode: 1
; LDSByteSize: 19200 bytes/workgroup (compile time only)
; SGPRBlocks: 12
; VGPRBlocks: 63
; NumSGPRsForWavesPerEU: 102
; NumVGPRsForWavesPerEU: 256
; Occupancy: 1
; WaveLimiterHint : 0
; COMPUTE_PGM_RSRC2:SCRATCH_EN: 0
; COMPUTE_PGM_RSRC2:USER_SGPR: 6
; COMPUTE_PGM_RSRC2:TRAP_HANDLER: 0
; COMPUTE_PGM_RSRC2:TGID_X_EN: 1
; COMPUTE_PGM_RSRC2:TGID_Y_EN: 0
; COMPUTE_PGM_RSRC2:TGID_Z_EN: 1
; COMPUTE_PGM_RSRC2:TIDIG_COMP_CNT: 1
	.section	.text._ZL26rocblas_hemvn_kernel_upperILb0ELi64ELi4ELi33ELi32ELi16EiPK19rocblas_complex_numIdES3_PS1_EviT6_lT7_lT5_lS6_lS7_lS5_lT8_i,"axG",@progbits,_ZL26rocblas_hemvn_kernel_upperILb0ELi64ELi4ELi33ELi32ELi16EiPK19rocblas_complex_numIdES3_PS1_EviT6_lT7_lT5_lS6_lS7_lS5_lT8_i,comdat
	.globl	_ZL26rocblas_hemvn_kernel_upperILb0ELi64ELi4ELi33ELi32ELi16EiPK19rocblas_complex_numIdES3_PS1_EviT6_lT7_lT5_lS6_lS7_lS5_lT8_i ; -- Begin function _ZL26rocblas_hemvn_kernel_upperILb0ELi64ELi4ELi33ELi32ELi16EiPK19rocblas_complex_numIdES3_PS1_EviT6_lT7_lT5_lS6_lS7_lS5_lT8_i
	.p2align	8
	.type	_ZL26rocblas_hemvn_kernel_upperILb0ELi64ELi4ELi33ELi32ELi16EiPK19rocblas_complex_numIdES3_PS1_EviT6_lT7_lT5_lS6_lS7_lS5_lT8_i,@function
_ZL26rocblas_hemvn_kernel_upperILb0ELi64ELi4ELi33ELi32ELi16EiPK19rocblas_complex_numIdES3_PS1_EviT6_lT7_lT5_lS6_lS7_lS5_lT8_i: ; @_ZL26rocblas_hemvn_kernel_upperILb0ELi64ELi4ELi33ELi32ELi16EiPK19rocblas_complex_numIdES3_PS1_EviT6_lT7_lT5_lS6_lS7_lS5_lT8_i
; %bb.0:
	s_load_dwordx2 s[2:3], s[4:5], 0x84
	s_add_u32 s0, s4, 0x78
	s_addc_u32 s1, s5, 0
	s_waitcnt lgkmcnt(0)
	s_lshr_b32 s8, s2, 16
	s_and_b32 s2, s2, 0xffff
	s_and_b32 s3, s3, 0xffff
	s_mul_i32 s2, s8, s2
	s_mul_i32 s2, s2, s3
	s_cmpk_lg_i32 s2, 0x100
	s_cbranch_scc1 .LBB123_156
; %bb.1:
	s_load_dwordx8 s[16:23], s[4:5], 0x8
	s_waitcnt lgkmcnt(0)
	s_mul_i32 s3, s19, s7
	s_mul_hi_u32 s8, s18, s7
	s_mul_i32 s2, s18, s7
	s_add_i32 s3, s8, s3
	s_lshl_b64 s[2:3], s[2:3], 4
	s_add_u32 s2, s16, s2
	s_addc_u32 s3, s17, s3
	s_load_dwordx4 s[8:11], s[2:3], 0x0
	s_load_dwordx8 s[12:19], s[4:5], 0x50
	s_waitcnt lgkmcnt(0)
	v_cmp_neq_f64_e64 s[2:3], s[8:9], 0
	v_cmp_neq_f64_e64 s[8:9], s[10:11], 0
	s_or_b64 s[2:3], s[2:3], s[8:9]
	s_mov_b64 s[8:9], -1
	s_and_b64 vcc, exec, s[2:3]
	s_cbranch_vccnz .LBB123_3
; %bb.2:
	s_mul_i32 s8, s17, s7
	s_mul_hi_u32 s9, s16, s7
	s_add_i32 s9, s9, s8
	s_mul_i32 s8, s16, s7
	s_lshl_b64 s[8:9], s[8:9], 4
	s_add_u32 s14, s14, s8
	s_addc_u32 s15, s15, s9
	s_load_dwordx4 s[8:11], s[14:15], 0x0
	s_waitcnt lgkmcnt(0)
	v_cmp_neq_f64_e64 s[8:9], s[8:9], 1.0
	v_cmp_neq_f64_e64 s[10:11], s[10:11], 0
	s_or_b64 s[8:9], s[8:9], s[10:11]
.LBB123_3:
	s_andn2_b64 vcc, exec, s[8:9]
	s_cbranch_vccnz .LBB123_156
; %bb.4:
	s_andn2_b64 vcc, exec, s[2:3]
	s_cbranch_vccnz .LBB123_156
; %bb.5:
	s_load_dword s33, s[0:1], 0x0
	s_load_dword s40, s[4:5], 0x0
	s_load_dwordx4 s[8:11], s[4:5], 0x30
	s_load_dwordx2 s[2:3], s[4:5], 0x40
	s_load_dword s39, s[4:5], 0x48
	s_mul_i32 s0, s13, s7
	s_mul_hi_u32 s1, s12, s7
	s_add_i32 s1, s1, s0
	s_mul_i32 s0, s12, s7
	s_lshl_b64 s[0:1], s[0:1], 4
	s_waitcnt lgkmcnt(0)
	s_add_u32 s10, s10, s0
	s_addc_u32 s11, s11, s1
	s_lshl_b64 s[0:1], s[2:3], 4
	s_add_u32 s0, s10, s0
	s_addc_u32 s1, s11, s1
	s_lshl_b32 s24, s6, 6
	v_add_u32_e32 v167, s24, v0
	v_mul_lo_u32 v2, s39, v167
	s_ashr_i32 s41, s40, 31
	s_lshr_b32 s3, s41, 26
	s_add_i32 s3, s40, s3
	v_ashrrev_i32_e32 v3, 31, v2
	s_andn2_b32 s3, s3, 63
	v_lshlrev_b64 v[2:3], 4, v[2:3]
	s_add_i32 s2, s33, -1
	s_sub_i32 s38, s40, s3
	s_cmp_eq_u32 s6, s2
	v_mov_b32_e32 v4, s1
	v_add_co_u32_e32 v38, vcc, s0, v2
	s_cselect_b32 s16, s38, 0
	v_addc_co_u32_e32 v39, vcc, v4, v3, vcc
	v_cmp_eq_u32_e64 s[0:1], 0, v1
	s_and_saveexec_b64 s[2:3], s[0:1]
	s_cbranch_execz .LBB123_10
; %bb.6:
	s_cmp_lg_u32 s16, 0
	s_cselect_b64 s[10:11], -1, 0
	v_cmp_le_i32_e32 vcc, s16, v0
	v_mov_b32_e32 v2, 0x4700
	s_and_b64 s[10:11], s[10:11], vcc
	v_lshl_add_u32 v2, v0, 4, v2
	s_and_saveexec_b64 s[12:13], s[10:11]
	s_xor_b64 s[10:11], exec, s[12:13]
; %bb.7:
	v_mov_b32_e32 v3, 0
	v_mov_b32_e32 v4, v3
	;; [unrolled: 1-line block ×4, first 2 shown]
	ds_write_b128 v2, v[3:6]
                                        ; implicit-def: $vgpr2
; %bb.8:
	s_andn2_saveexec_b64 s[10:11], s[10:11]
	s_cbranch_execz .LBB123_10
; %bb.9:
	global_load_dwordx4 v[3:6], v[38:39], off
	s_waitcnt vmcnt(0)
	ds_write2_b64 v2, v[3:4], v[5:6] offset1:1
.LBB123_10:
	s_or_b64 exec, exec, s[2:3]
	s_mul_i32 s2, s9, s7
	s_mul_hi_u32 s3, s8, s7
	s_add_i32 s3, s3, s2
	s_mul_i32 s2, s8, s7
	s_lshl_b64 s[2:3], s[2:3], 4
	s_add_u32 s8, s20, s2
	s_addc_u32 s9, s21, s3
	s_lshl_b64 s[2:3], s[22:23], 4
	s_load_dword s22, s[4:5], 0x28
	v_lshl_add_u32 v44, v1, 6, v0
	v_and_b32_e32 v6, 31, v0
	v_lshrrev_b32_e32 v13, 5, v44
	s_add_u32 s4, s8, s2
	s_addc_u32 s5, s9, s3
	s_waitcnt lgkmcnt(0)
	v_mad_u64_u32 v[2:3], s[2:3], s22, v13, v[6:7]
	s_ashr_i32 s25, s24, 31
	s_lshl_b64 s[2:3], s[24:25], 4
	v_ashrrev_i32_e32 v3, 31, v2
	v_lshlrev_b64 v[40:41], 4, v[2:3]
	s_add_u32 s2, s4, s2
	s_addc_u32 s3, s5, s3
	v_add_co_u32_e32 v3, vcc, s2, v40
	s_mul_i32 s2, s22, s24
	v_mov_b32_e32 v2, s3
	s_ashr_i32 s3, s2, 31
	s_lshl_b64 s[2:3], s[2:3], 4
	v_addc_co_u32_e32 v4, vcc, v2, v41, vcc
	s_cmp_eq_u32 s16, 0
	v_mov_b32_e32 v5, s3
	v_add_co_u32_e32 v2, vcc, s2, v3
	s_cselect_b64 s[20:21], -1, 0
	s_cmp_lg_u32 s16, 0
	v_addc_co_u32_e32 v3, vcc, v4, v5, vcc
	s_cselect_b64 s[30:31], -1, 0
	s_and_b64 vcc, exec, s[30:31]
	v_cmp_gt_i32_e64 s[2:3], s16, v6
	v_lshlrev_b32_e32 v14, 4, v6
	s_cbranch_vccz .LBB123_28
; %bb.11:
	v_sub_co_u32_e32 v4, vcc, v2, v14
	s_ashr_i32 s17, s16, 31
	v_subbrev_co_u32_e32 v5, vcc, 0, v3, vcc
	s_lshl_b64 s[4:5], s[16:17], 4
	v_mov_b32_e32 v7, s5
	v_add_co_u32_e32 v4, vcc, s4, v4
	v_addc_co_u32_e32 v5, vcc, v5, v7, vcc
	v_add_co_u32_e32 v4, vcc, -16, v4
	v_addc_co_u32_e32 v5, vcc, -1, v5, vcc
	s_movk_i32 s8, 0x210
	v_cndmask_b32_e64 v5, v5, v3, s[2:3]
	v_cndmask_b32_e64 v4, v4, v2, s[2:3]
	v_cmp_le_i32_e32 vcc, s16, v13
	v_mad_u32_u24 v8, v13, s8, v14
	s_and_saveexec_b64 s[8:9], vcc
	s_xor_b64 s[8:9], exec, s[8:9]
; %bb.12:
	v_mov_b32_e32 v9, 0
	v_mov_b32_e32 v10, v9
	v_mov_b32_e32 v11, v9
	v_mov_b32_e32 v12, v9
	ds_write_b128 v8, v[9:12]
                                        ; implicit-def: $vgpr8
; %bb.13:
	s_or_saveexec_b64 s[8:9], s[8:9]
	v_mul_u32_u24_e32 v7, 0x210, v13
	s_xor_b64 exec, exec, s[8:9]
	s_cbranch_execz .LBB123_15
; %bb.14:
	global_load_dwordx4 v[9:12], v[4:5], off
	s_waitcnt vmcnt(0)
	ds_write2_b64 v8, v[9:10], v[11:12] offset1:1
.LBB123_15:
	s_or_b64 exec, exec, s[8:9]
	v_add_u32_e32 v8, 8, v13
	v_cmp_le_i32_e32 vcc, s16, v8
	v_add_u32_e32 v8, v7, v14
	s_and_saveexec_b64 s[8:9], vcc
	s_xor_b64 s[8:9], exec, s[8:9]
; %bb.16:
	v_mov_b32_e32 v9, 0
	v_mov_b32_e32 v10, v9
	;; [unrolled: 1-line block ×4, first 2 shown]
	ds_write_b128 v8, v[9:12] offset:4224
; %bb.17:
	s_andn2_saveexec_b64 s[8:9], s[8:9]
	s_cbranch_execz .LBB123_19
; %bb.18:
	s_lshl_b32 s10, s22, 3
	s_ashr_i32 s11, s10, 31
	s_lshl_b64 s[10:11], s[10:11], 4
	v_mov_b32_e32 v10, s11
	v_add_co_u32_e32 v9, vcc, s10, v4
	v_addc_co_u32_e32 v10, vcc, v5, v10, vcc
	global_load_dwordx4 v[9:12], v[9:10], off
	s_movk_i32 s10, 0x1080
	v_add3_u32 v15, v7, v14, s10
	s_waitcnt vmcnt(0)
	ds_write2_b64 v15, v[9:10], v[11:12] offset1:1
.LBB123_19:
	s_or_b64 exec, exec, s[8:9]
	v_add_u32_e32 v9, 16, v13
	v_cmp_le_i32_e32 vcc, s16, v9
	s_and_saveexec_b64 s[8:9], vcc
	s_xor_b64 s[8:9], exec, s[8:9]
; %bb.20:
	v_mov_b32_e32 v9, 0
	v_mov_b32_e32 v10, v9
	;; [unrolled: 1-line block ×4, first 2 shown]
	ds_write_b128 v8, v[9:12] offset:8448
; %bb.21:
	s_andn2_saveexec_b64 s[8:9], s[8:9]
	s_cbranch_execz .LBB123_23
; %bb.22:
	s_lshl_b32 s10, s22, 4
	s_ashr_i32 s11, s10, 31
	s_lshl_b64 s[10:11], s[10:11], 4
	v_mov_b32_e32 v10, s11
	v_add_co_u32_e32 v9, vcc, s10, v4
	v_addc_co_u32_e32 v10, vcc, v5, v10, vcc
	global_load_dwordx4 v[9:12], v[9:10], off
	s_movk_i32 s10, 0x2100
	v_add3_u32 v15, v7, v14, s10
	s_waitcnt vmcnt(0)
	ds_write2_b64 v15, v[9:10], v[11:12] offset1:1
.LBB123_23:
	s_or_b64 exec, exec, s[8:9]
	v_add_u32_e32 v9, 24, v13
	v_cmp_le_i32_e32 vcc, s16, v9
	s_and_saveexec_b64 s[8:9], vcc
	s_xor_b64 s[8:9], exec, s[8:9]
; %bb.24:
	v_mov_b32_e32 v9, 0
	v_mov_b32_e32 v10, v9
	;; [unrolled: 1-line block ×4, first 2 shown]
	ds_write_b128 v8, v[9:12] offset:12672
                                        ; implicit-def: $vgpr7
; %bb.25:
	s_andn2_saveexec_b64 s[8:9], s[8:9]
	s_cbranch_execz .LBB123_27
; %bb.26:
	s_mul_i32 s10, s22, 24
	s_ashr_i32 s11, s10, 31
	s_lshl_b64 s[10:11], s[10:11], 4
	v_mov_b32_e32 v9, s11
	v_add_co_u32_e32 v8, vcc, s10, v4
	v_addc_co_u32_e32 v9, vcc, v5, v9, vcc
	global_load_dwordx4 v[8:11], v[8:9], off
	s_movk_i32 s10, 0x3180
	v_add3_u32 v7, v7, v14, s10
	s_waitcnt vmcnt(0)
	ds_write2_b64 v7, v[8:9], v[10:11] offset1:1
.LBB123_27:
	s_or_b64 exec, exec, s[8:9]
	v_add_co_u32_e32 v4, vcc, v4, v14
	v_addc_co_u32_e32 v5, vcc, 0, v5, vcc
	v_mov_b32_e32 v7, s5
	v_subrev_co_u32_e32 v4, vcc, s4, v4
	v_subb_co_u32_e32 v5, vcc, v5, v7, vcc
	v_add_co_u32_e32 v4, vcc, 16, v4
	v_addc_co_u32_e32 v5, vcc, 0, v5, vcc
	v_cndmask_b32_e64 v8, v5, v3, s[2:3]
	v_cndmask_b32_e64 v7, v4, v2, s[2:3]
	s_branch .LBB123_30
.LBB123_28:
                                        ; implicit-def: $vgpr7_vgpr8
	s_cbranch_execz .LBB123_30
; %bb.29:
	s_lshl_b32 s2, s22, 3
	s_ashr_i32 s3, s2, 31
	s_lshl_b64 s[2:3], s[2:3], 4
	v_mov_b32_e32 v5, s3
	v_add_co_u32_e32 v4, vcc, s2, v2
	s_ashr_i32 s23, s22, 31
	v_addc_co_u32_e32 v5, vcc, v3, v5, vcc
	s_lshl_b64 s[2:3], s[22:23], 7
	global_load_dwordx4 v[7:10], v[2:3], off
	global_load_dwordx4 v[15:18], v[4:5], off
	v_mov_b32_e32 v12, s3
	v_add_co_u32_e32 v4, vcc, s2, v4
	v_addc_co_u32_e32 v5, vcc, v5, v12, vcc
	v_add_co_u32_e32 v11, vcc, s2, v4
	v_addc_co_u32_e32 v12, vcc, v5, v12, vcc
	global_load_dwordx4 v[19:22], v[4:5], off
	global_load_dwordx4 v[23:26], v[11:12], off
	v_mul_u32_u24_e32 v4, 0x210, v13
	v_lshl_add_u32 v4, v6, 4, v4
	v_add_u32_e32 v5, 0x1080, v4
	v_add_u32_e32 v11, 0x2100, v4
	;; [unrolled: 1-line block ×3, first 2 shown]
	s_waitcnt vmcnt(3)
	ds_write2_b64 v4, v[7:8], v[9:10] offset1:1
	s_waitcnt vmcnt(2)
	ds_write2_b64 v5, v[15:16], v[17:18] offset1:1
	s_waitcnt vmcnt(1)
	ds_write2_b64 v11, v[19:20], v[21:22] offset1:1
	s_waitcnt vmcnt(0)
	ds_write2_b64 v12, v[23:24], v[25:26] offset1:1
	v_mov_b32_e32 v8, v3
	v_mov_b32_e32 v7, v2
.LBB123_30:
	v_lshlrev_b32_e32 v11, 2, v13
	v_lshl_or_b32 v2, v6, 9, v14
	v_cmp_gt_u32_e64 s[4:5], v11, v6
	v_lshl_add_u32 v4, v11, 4, v2
	s_waitcnt lgkmcnt(0)
	s_barrier
	s_and_saveexec_b64 s[2:3], s[4:5]
	s_cbranch_execz .LBB123_32
; %bb.31:
	s_movk_i32 s8, 0x840
	v_mad_u32_u24 v2, v13, s8, v14
	ds_read_b128 v[15:18], v2
	s_waitcnt lgkmcnt(0)
	ds_write_b128 v4, v[15:18]
.LBB123_32:
	s_or_b64 exec, exec, s[2:3]
	v_or_b32_e32 v2, 1, v11
	v_cmp_ge_u32_e64 s[14:15], v11, v6
	s_and_saveexec_b64 s[2:3], s[14:15]
	s_cbranch_execz .LBB123_34
; %bb.33:
	s_movk_i32 s8, 0x210
	v_mad_u32_u24 v3, v2, s8, v14
	ds_read_b128 v[15:18], v3
	s_waitcnt lgkmcnt(0)
	ds_write_b128 v4, v[15:18] offset:16
.LBB123_34:
	s_or_b64 exec, exec, s[2:3]
	v_or_b32_e32 v3, 2, v11
	v_cmp_gt_u32_e64 s[8:9], v3, v6
	s_and_saveexec_b64 s[2:3], s[8:9]
	s_cbranch_execz .LBB123_36
; %bb.35:
	s_movk_i32 s10, 0x210
	v_mad_u32_u24 v3, v3, s10, v14
	ds_read_b128 v[15:18], v3
	s_waitcnt lgkmcnt(0)
	ds_write_b128 v4, v[15:18] offset:32
.LBB123_36:
	s_or_b64 exec, exec, s[2:3]
	v_or_b32_e32 v5, 3, v11
	v_cmp_gt_u32_e64 s[10:11], v5, v6
	v_cmp_le_u32_e32 vcc, v5, v6
                                        ; implicit-def: $vgpr3
	s_and_saveexec_b64 s[2:3], vcc
	s_xor_b64 s[2:3], exec, s[2:3]
; %bb.37:
	v_mul_u32_u24_e32 v3, 0x210, v5
                                        ; implicit-def: $vgpr5
                                        ; implicit-def: $vgpr4
; %bb.38:
	s_andn2_saveexec_b64 s[2:3], s[2:3]
	s_cbranch_execz .LBB123_40
; %bb.39:
	s_movk_i32 s12, 0x210
	v_mad_u32_u24 v3, v5, s12, v14
	ds_read_b128 v[15:18], v3
	v_mul_u32_u24_e32 v3, 0x210, v5
	s_waitcnt lgkmcnt(0)
	ds_write_b128 v4, v[15:18] offset:48
.LBB123_40:
	s_or_b64 exec, exec, s[2:3]
	s_movk_i32 s2, 0x840
	v_mad_u32_u24 v15, v13, s2, v14
	s_waitcnt lgkmcnt(0)
	s_barrier
	v_lshlrev_b32_e32 v12, 4, v11
	ds_read_b128 v[18:21], v15
	ds_read_b128 v[22:25], v12 offset:18176
	ds_read_b128 v[26:29], v12 offset:18192
	s_movk_i32 s2, 0x210
	v_mad_u32_u24 v16, v2, s2, v14
	ds_read_b128 v[30:33], v16
	s_waitcnt lgkmcnt(2)
	v_mul_f64 v[4:5], v[24:25], v[20:21]
	v_mul_f64 v[9:10], v[22:23], v[20:21]
	v_add_u32_e32 v17, v14, v3
	v_cmp_gt_u32_e64 s[2:3], 32, v44
	v_fma_f64 v[36:37], v[22:23], v[18:19], -v[4:5]
	ds_read_b128 v[2:5], v12 offset:18208
	s_waitcnt lgkmcnt(1)
	v_mul_f64 v[42:43], v[28:29], v[32:33]
	v_mul_f64 v[49:50], v[26:27], v[32:33]
	v_fma_f64 v[9:10], v[24:25], v[18:19], v[9:10]
	ds_read_b128 v[20:23], v16 offset:528
	ds_read_b128 v[32:35], v12 offset:18224
	ds_read_b128 v[45:48], v17
	s_waitcnt lgkmcnt(0)
	v_add_f64 v[18:19], v[36:37], 0
	s_barrier
	v_mul_f64 v[24:25], v[4:5], v[22:23]
	v_fma_f64 v[26:27], v[26:27], v[30:31], -v[42:43]
	v_fma_f64 v[28:29], v[28:29], v[30:31], v[49:50]
	v_mul_f64 v[22:23], v[2:3], v[22:23]
	v_add_f64 v[9:10], v[9:10], 0
	v_mul_f64 v[30:31], v[34:35], v[47:48]
	v_fma_f64 v[2:3], v[2:3], v[20:21], -v[24:25]
	v_add_f64 v[18:19], v[18:19], v[26:27]
	v_mul_f64 v[24:25], v[32:33], v[47:48]
	v_fma_f64 v[4:5], v[4:5], v[20:21], v[22:23]
	v_add_f64 v[9:10], v[9:10], v[28:29]
	v_fma_f64 v[20:21], v[32:33], v[45:46], -v[30:31]
	v_add_f64 v[18:19], v[18:19], v[2:3]
	v_fma_f64 v[22:23], v[34:35], v[45:46], v[24:25]
	v_mov_b32_e32 v2, 0
	v_add_f64 v[4:5], v[9:10], v[4:5]
	v_mul_u32_u24_e32 v9, 33, v6
	v_lshlrev_b32_e32 v45, 4, v9
	v_mov_b32_e32 v3, 0
	v_lshl_add_u32 v46, v13, 4, v45
	v_add_f64 v[18:19], v[18:19], v[20:21]
	v_add_f64 v[20:21], v[4:5], v[22:23]
	v_mov_b32_e32 v4, 0
	v_mov_b32_e32 v5, 0
	ds_write_b128 v46, v[18:21]
	s_waitcnt lgkmcnt(0)
	s_barrier
	s_and_saveexec_b64 s[12:13], s[2:3]
	s_cbranch_execz .LBB123_42
; %bb.41:
	ds_read_b128 v[2:5], v45
	ds_read_b128 v[18:21], v45 offset:16
	s_waitcnt lgkmcnt(0)
	v_add_f64 v[9:10], v[18:19], v[2:3]
	v_add_f64 v[22:23], v[20:21], v[4:5]
	ds_read_b128 v[2:5], v45 offset:32
	ds_read_b128 v[18:21], v45 offset:48
	s_waitcnt lgkmcnt(1)
	v_add_f64 v[2:3], v[9:10], v[2:3]
	v_add_f64 v[4:5], v[22:23], v[4:5]
	s_waitcnt lgkmcnt(0)
	v_add_f64 v[9:10], v[2:3], v[18:19]
	v_add_f64 v[22:23], v[4:5], v[20:21]
	ds_read_b128 v[2:5], v45 offset:64
	ds_read_b128 v[18:21], v45 offset:80
	s_waitcnt lgkmcnt(1)
	v_add_f64 v[2:3], v[9:10], v[2:3]
	v_add_f64 v[4:5], v[22:23], v[4:5]
	;; [unrolled: 8-line block ×3, first 2 shown]
	s_waitcnt lgkmcnt(0)
	v_add_f64 v[2:3], v[2:3], v[18:19]
	v_add_f64 v[4:5], v[4:5], v[20:21]
.LBB123_42:
	s_or_b64 exec, exec, s[12:13]
	s_lshl_b32 s28, s22, 5
	s_ashr_i32 s29, s28, 31
	s_lshl_b64 s[26:27], s[28:29], 4
	v_mov_b32_e32 v9, s27
	v_add_co_u32_e32 v18, vcc, s26, v7
	v_addc_co_u32_e32 v19, vcc, v8, v9, vcc
	v_add_co_u32_e32 v9, vcc, 0x200, v18
	v_addc_co_u32_e32 v10, vcc, 0, v19, vcc
	s_and_b64 vcc, exec, s[30:31]
	s_barrier
	s_cbranch_vccz .LBB123_60
; %bb.43:
	v_sub_co_u32_e32 v8, vcc, v18, v14
	s_ashr_i32 s17, s16, 31
	v_subbrev_co_u32_e32 v20, vcc, 0, v19, vcc
	s_lshl_b64 s[34:35], s[16:17], 4
	v_mov_b32_e32 v21, s35
	v_add_co_u32_e32 v8, vcc, s34, v8
	v_addc_co_u32_e32 v20, vcc, v20, v21, vcc
	v_or_b32_e32 v7, 32, v6
	v_add_co_u32_e32 v21, vcc, -16, v8
	v_addc_co_u32_e32 v8, vcc, -1, v20, vcc
	v_cmp_gt_i32_e64 s[12:13], s16, v7
	s_sub_i32 s17, s16, 32
	s_movk_i32 s23, 0x210
	v_cndmask_b32_e64 v8, v8, v10, s[12:13]
	v_cndmask_b32_e64 v7, v21, v9, s[12:13]
	v_cmp_le_i32_e32 vcc, s17, v13
	v_mad_u32_u24 v21, v13, s23, v14
	s_and_saveexec_b64 s[36:37], vcc
	s_xor_b64 s[36:37], exec, s[36:37]
; %bb.44:
	v_mov_b32_e32 v22, 0
	v_mov_b32_e32 v23, v22
	;; [unrolled: 1-line block ×4, first 2 shown]
	ds_write_b128 v21, v[22:25]
                                        ; implicit-def: $vgpr21
; %bb.45:
	s_or_saveexec_b64 s[36:37], s[36:37]
	v_mul_u32_u24_e32 v20, 0x210, v13
	s_xor_b64 exec, exec, s[36:37]
	s_cbranch_execz .LBB123_47
; %bb.46:
	global_load_dwordx4 v[22:25], v[7:8], off
	s_waitcnt vmcnt(0)
	ds_write2_b64 v21, v[22:23], v[24:25] offset1:1
.LBB123_47:
	s_or_b64 exec, exec, s[36:37]
	v_add_u32_e32 v21, 8, v13
	v_cmp_le_i32_e32 vcc, s17, v21
	v_add_u32_e32 v21, v20, v14
	s_and_saveexec_b64 s[36:37], vcc
	s_xor_b64 s[36:37], exec, s[36:37]
; %bb.48:
	v_mov_b32_e32 v22, 0
	v_mov_b32_e32 v23, v22
	;; [unrolled: 1-line block ×4, first 2 shown]
	ds_write_b128 v21, v[22:25] offset:4224
; %bb.49:
	s_andn2_saveexec_b64 s[36:37], s[36:37]
	s_cbranch_execz .LBB123_51
; %bb.50:
	s_lshl_b32 s42, s22, 3
	s_ashr_i32 s43, s42, 31
	s_lshl_b64 s[42:43], s[42:43], 4
	v_mov_b32_e32 v23, s43
	v_add_co_u32_e32 v22, vcc, s42, v7
	v_addc_co_u32_e32 v23, vcc, v8, v23, vcc
	global_load_dwordx4 v[22:25], v[22:23], off
	s_movk_i32 s23, 0x1080
	v_add3_u32 v26, v20, v14, s23
	s_waitcnt vmcnt(0)
	ds_write2_b64 v26, v[22:23], v[24:25] offset1:1
.LBB123_51:
	s_or_b64 exec, exec, s[36:37]
	v_add_u32_e32 v22, 16, v13
	v_cmp_le_i32_e32 vcc, s17, v22
	s_and_saveexec_b64 s[36:37], vcc
	s_xor_b64 s[36:37], exec, s[36:37]
; %bb.52:
	v_mov_b32_e32 v22, 0
	v_mov_b32_e32 v23, v22
	;; [unrolled: 1-line block ×4, first 2 shown]
	ds_write_b128 v21, v[22:25] offset:8448
; %bb.53:
	s_andn2_saveexec_b64 s[36:37], s[36:37]
	s_cbranch_execz .LBB123_55
; %bb.54:
	s_lshl_b32 s42, s22, 4
	s_ashr_i32 s43, s42, 31
	s_lshl_b64 s[42:43], s[42:43], 4
	v_mov_b32_e32 v23, s43
	v_add_co_u32_e32 v22, vcc, s42, v7
	v_addc_co_u32_e32 v23, vcc, v8, v23, vcc
	global_load_dwordx4 v[22:25], v[22:23], off
	s_movk_i32 s23, 0x2100
	v_add3_u32 v26, v20, v14, s23
	s_waitcnt vmcnt(0)
	ds_write2_b64 v26, v[22:23], v[24:25] offset1:1
.LBB123_55:
	s_or_b64 exec, exec, s[36:37]
	v_add_u32_e32 v22, 24, v13
	v_cmp_le_i32_e32 vcc, s17, v22
	s_and_saveexec_b64 s[36:37], vcc
	s_xor_b64 s[36:37], exec, s[36:37]
; %bb.56:
	v_mov_b32_e32 v22, 0
	v_mov_b32_e32 v23, v22
	;; [unrolled: 1-line block ×4, first 2 shown]
	ds_write_b128 v21, v[22:25] offset:12672
                                        ; implicit-def: $vgpr20
; %bb.57:
	s_andn2_saveexec_b64 s[36:37], s[36:37]
	s_cbranch_execz .LBB123_59
; %bb.58:
	s_mul_i32 s42, s22, 24
	s_ashr_i32 s43, s42, 31
	s_lshl_b64 s[42:43], s[42:43], 4
	v_mov_b32_e32 v22, s43
	v_add_co_u32_e32 v21, vcc, s42, v7
	v_addc_co_u32_e32 v22, vcc, v8, v22, vcc
	global_load_dwordx4 v[21:24], v[21:22], off
	s_movk_i32 s17, 0x3180
	v_add3_u32 v20, v20, v14, s17
	s_waitcnt vmcnt(0)
	ds_write2_b64 v20, v[21:22], v[23:24] offset1:1
.LBB123_59:
	s_or_b64 exec, exec, s[36:37]
	v_add_co_u32_e32 v7, vcc, v7, v14
	v_addc_co_u32_e32 v8, vcc, 0, v8, vcc
	v_mov_b32_e32 v20, s35
	v_subrev_co_u32_e32 v7, vcc, s34, v7
	v_subb_co_u32_e32 v8, vcc, v8, v20, vcc
	v_add_co_u32_e32 v7, vcc, 0x210, v7
	v_addc_co_u32_e32 v8, vcc, 0, v8, vcc
	v_cndmask_b32_e64 v8, v8, v10, s[12:13]
	v_cndmask_b32_e64 v7, v7, v9, s[12:13]
	s_branch .LBB123_62
.LBB123_60:
                                        ; implicit-def: $vgpr7_vgpr8
	s_cbranch_execz .LBB123_62
; %bb.61:
	s_lshl_b32 s12, s22, 3
	s_ashr_i32 s13, s12, 31
	s_lshl_b64 s[12:13], s[12:13], 4
	v_mov_b32_e32 v8, s13
	v_add_co_u32_e32 v7, vcc, s12, v18
	s_ashr_i32 s23, s22, 31
	v_addc_co_u32_e32 v8, vcc, v19, v8, vcc
	s_lshl_b64 s[12:13], s[22:23], 7
	global_load_dwordx4 v[18:21], v[9:10], off
	global_load_dwordx4 v[22:25], v[7:8], off offset:512
	v_mov_b32_e32 v26, s13
	v_add_co_u32_e32 v7, vcc, s12, v7
	v_addc_co_u32_e32 v8, vcc, v8, v26, vcc
	v_add_co_u32_e32 v34, vcc, s12, v7
	v_addc_co_u32_e32 v35, vcc, v8, v26, vcc
	global_load_dwordx4 v[26:29], v[7:8], off offset:512
	global_load_dwordx4 v[30:33], v[34:35], off offset:512
	s_movk_i32 s12, 0x210
	v_mad_u32_u24 v7, v13, s12, v14
	v_add_u32_e32 v8, 0x1080, v7
	v_add_u32_e32 v34, 0x2100, v7
	v_add_u32_e32 v35, 0x3180, v7
	s_waitcnt vmcnt(3)
	ds_write2_b64 v7, v[18:19], v[20:21] offset1:1
	s_waitcnt vmcnt(2)
	ds_write2_b64 v8, v[22:23], v[24:25] offset1:1
	;; [unrolled: 2-line block ×4, first 2 shown]
	v_mov_b32_e32 v7, v9
	v_mov_b32_e32 v8, v10
.LBB123_62:
	v_lshl_add_u32 v9, v11, 4, v45
	s_waitcnt lgkmcnt(0)
	s_barrier
	s_and_saveexec_b64 s[12:13], s[4:5]
	s_cbranch_execnz .LBB123_87
; %bb.63:
	s_or_b64 exec, exec, s[12:13]
	s_and_saveexec_b64 s[4:5], s[14:15]
	s_cbranch_execnz .LBB123_88
.LBB123_64:
	s_or_b64 exec, exec, s[4:5]
	v_add_u32_e32 v18, 0x210, v16
	s_and_saveexec_b64 s[4:5], s[8:9]
	s_cbranch_execnz .LBB123_89
.LBB123_65:
	s_or_b64 exec, exec, s[4:5]
	v_add_u32_e32 v19, 0x4700, v12
	s_and_saveexec_b64 s[4:5], s[10:11]
	s_cbranch_execz .LBB123_67
.LBB123_66:
	ds_read_b128 v[20:23], v17
	s_waitcnt lgkmcnt(0)
	ds_write_b128 v9, v[20:23] offset:48
.LBB123_67:
	s_or_b64 exec, exec, s[4:5]
	s_waitcnt lgkmcnt(0)
	s_barrier
	ds_read_b128 v[9:12], v19 offset:512
	ds_read_b128 v[20:23], v15
	v_cmp_eq_u32_e64 s[4:5], 1, v13
	s_waitcnt lgkmcnt(0)
	v_mul_f64 v[42:43], v[11:12], v[22:23]
	v_mul_f64 v[47:48], v[9:10], v[22:23]
	ds_read_b128 v[22:25], v16
	ds_read_b128 v[26:29], v19 offset:528
	ds_read_b128 v[30:33], v19 offset:544
	ds_read_b128 v[34:37], v18
	s_waitcnt lgkmcnt(2)
	v_mul_f64 v[51:52], v[28:29], v[24:25]
	v_mul_f64 v[24:25], v[26:27], v[24:25]
	s_waitcnt lgkmcnt(0)
	v_mul_f64 v[53:54], v[32:33], v[36:37]
	v_fma_f64 v[42:43], v[9:10], v[20:21], -v[42:43]
	v_fma_f64 v[20:21], v[11:12], v[20:21], v[47:48]
	v_mul_f64 v[36:37], v[30:31], v[36:37]
	ds_read_b128 v[9:12], v19 offset:560
	ds_read_b128 v[47:50], v17
	s_waitcnt lgkmcnt(0)
	v_fma_f64 v[26:27], v[26:27], v[22:23], -v[51:52]
	v_fma_f64 v[22:23], v[28:29], v[22:23], v[24:25]
	v_fma_f64 v[30:31], v[30:31], v[34:35], -v[53:54]
	v_add_f64 v[24:25], v[42:43], 0
	v_add_f64 v[20:21], v[20:21], 0
	v_mul_f64 v[28:29], v[11:12], v[49:50]
	v_mul_f64 v[42:43], v[9:10], v[49:50]
	v_fma_f64 v[32:33], v[32:33], v[34:35], v[36:37]
	s_barrier
	v_add_f64 v[24:25], v[24:25], v[26:27]
	v_add_f64 v[20:21], v[20:21], v[22:23]
	v_fma_f64 v[9:10], v[9:10], v[47:48], -v[28:29]
	v_fma_f64 v[11:12], v[11:12], v[47:48], v[42:43]
	v_add_f64 v[22:23], v[24:25], v[30:31]
	v_add_f64 v[20:21], v[20:21], v[32:33]
	v_add_f64 v[9:10], v[22:23], v[9:10]
	v_add_f64 v[11:12], v[20:21], v[11:12]
	ds_write_b128 v46, v[9:12]
	s_waitcnt lgkmcnt(0)
	s_barrier
	s_and_saveexec_b64 s[8:9], s[4:5]
	s_cbranch_execz .LBB123_69
; %bb.68:
	ds_read_b128 v[2:5], v45
	ds_read_b128 v[9:12], v45 offset:16
	s_waitcnt lgkmcnt(0)
	v_add_f64 v[20:21], v[9:10], v[2:3]
	v_add_f64 v[22:23], v[11:12], v[4:5]
	ds_read_b128 v[2:5], v45 offset:32
	ds_read_b128 v[9:12], v45 offset:48
	s_waitcnt lgkmcnt(1)
	v_add_f64 v[2:3], v[20:21], v[2:3]
	v_add_f64 v[4:5], v[22:23], v[4:5]
	s_waitcnt lgkmcnt(0)
	v_add_f64 v[20:21], v[2:3], v[9:10]
	v_add_f64 v[22:23], v[4:5], v[11:12]
	ds_read_b128 v[2:5], v45 offset:64
	ds_read_b128 v[9:12], v45 offset:80
	s_waitcnt lgkmcnt(1)
	v_add_f64 v[2:3], v[20:21], v[2:3]
	v_add_f64 v[4:5], v[22:23], v[4:5]
	;; [unrolled: 8-line block ×3, first 2 shown]
	s_waitcnt lgkmcnt(0)
	v_add_f64 v[2:3], v[2:3], v[9:10]
	v_add_f64 v[4:5], v[4:5], v[11:12]
.LBB123_69:
	s_or_b64 exec, exec, s[8:9]
	v_add_co_u32_e32 v9, vcc, 0xfffffe00, v7
	v_addc_co_u32_e32 v10, vcc, -1, v8, vcc
	s_and_b64 vcc, exec, s[30:31]
	s_barrier
	s_cbranch_vccz .LBB123_90
; %bb.70:
	v_sub_co_u32_e32 v11, vcc, v7, v14
	s_ashr_i32 s17, s16, 31
	v_subbrev_co_u32_e32 v12, vcc, 0, v8, vcc
	s_lshl_b64 s[10:11], s[16:17], 4
	v_mov_b32_e32 v20, s11
	v_add_co_u32_e32 v11, vcc, s10, v11
	v_addc_co_u32_e32 v12, vcc, v12, v20, vcc
	v_add_co_u32_e32 v11, vcc, 0xfffffdf0, v11
	v_addc_co_u32_e32 v12, vcc, -1, v12, vcc
	v_cmp_gt_i32_e32 vcc, s16, v6
	s_sub_i32 s14, s16, 32
	s_movk_i32 s12, 0x210
	v_cndmask_b32_e32 v12, v12, v10, vcc
	v_cndmask_b32_e32 v11, v11, v9, vcc
	v_cmp_le_i32_e64 s[8:9], s14, v13
	v_mad_u32_u24 v6, v13, s12, v14
	s_and_saveexec_b64 s[12:13], s[8:9]
	s_xor_b64 s[8:9], exec, s[12:13]
; %bb.71:
	v_mov_b32_e32 v20, 0
	v_mov_b32_e32 v21, v20
	;; [unrolled: 1-line block ×4, first 2 shown]
	ds_write_b128 v6, v[20:23]
                                        ; implicit-def: $vgpr6
; %bb.72:
	s_or_saveexec_b64 s[8:9], s[8:9]
	v_mul_u32_u24_e32 v22, 0x210, v13
	s_xor_b64 exec, exec, s[8:9]
	s_cbranch_execz .LBB123_74
; %bb.73:
	global_load_dwordx4 v[23:26], v[11:12], off
	s_waitcnt vmcnt(0)
	ds_write2_b64 v6, v[23:24], v[25:26] offset1:1
.LBB123_74:
	s_or_b64 exec, exec, s[8:9]
	v_add_u32_e32 v6, 8, v13
	v_cmp_le_i32_e64 s[8:9], s14, v6
	v_add_u32_e32 v23, v22, v14
	s_and_saveexec_b64 s[12:13], s[8:9]
	s_xor_b64 s[8:9], exec, s[12:13]
; %bb.75:
	v_mov_b32_e32 v24, 0
	v_mov_b32_e32 v25, v24
	;; [unrolled: 1-line block ×4, first 2 shown]
	ds_write_b128 v23, v[24:27] offset:4224
; %bb.76:
	s_andn2_saveexec_b64 s[12:13], s[8:9]
	s_cbranch_execz .LBB123_78
; %bb.77:
	s_lshl_b32 s8, s22, 3
	s_ashr_i32 s9, s8, 31
	s_lshl_b64 s[8:9], s[8:9], 4
	v_mov_b32_e32 v21, s9
	v_add_co_u32_e64 v20, s[8:9], s8, v11
	v_addc_co_u32_e64 v21, s[8:9], v12, v21, s[8:9]
	global_load_dwordx4 v[24:27], v[20:21], off
	s_movk_i32 s8, 0x1080
	v_add3_u32 v20, v22, v14, s8
	s_waitcnt vmcnt(0)
	ds_write2_b64 v20, v[24:25], v[26:27] offset1:1
.LBB123_78:
	s_or_b64 exec, exec, s[12:13]
	v_add_u32_e32 v21, 16, v13
	v_cmp_le_i32_e64 s[8:9], s14, v21
	s_and_saveexec_b64 s[12:13], s[8:9]
	s_xor_b64 s[8:9], exec, s[12:13]
; %bb.79:
	v_mov_b32_e32 v24, 0
	v_mov_b32_e32 v25, v24
	;; [unrolled: 1-line block ×4, first 2 shown]
	ds_write_b128 v23, v[24:27] offset:8448
; %bb.80:
	s_andn2_saveexec_b64 s[12:13], s[8:9]
	s_cbranch_execz .LBB123_82
; %bb.81:
	s_lshl_b32 s8, s22, 4
	s_ashr_i32 s9, s8, 31
	s_lshl_b64 s[8:9], s[8:9], 4
	v_mov_b32_e32 v20, s9
	v_add_co_u32_e64 v24, s[8:9], s8, v11
	v_addc_co_u32_e64 v25, s[8:9], v12, v20, s[8:9]
	global_load_dwordx4 v[24:27], v[24:25], off
	s_movk_i32 s8, 0x2100
	v_add3_u32 v20, v22, v14, s8
	s_waitcnt vmcnt(0)
	ds_write2_b64 v20, v[24:25], v[26:27] offset1:1
.LBB123_82:
	s_or_b64 exec, exec, s[12:13]
	v_add_u32_e32 v20, 24, v13
	v_cmp_le_i32_e64 s[8:9], s14, v20
	s_and_saveexec_b64 s[12:13], s[8:9]
	s_xor_b64 s[8:9], exec, s[12:13]
; %bb.83:
	v_mov_b32_e32 v24, 0
	v_mov_b32_e32 v25, v24
	v_mov_b32_e32 v26, v24
	v_mov_b32_e32 v27, v24
	ds_write_b128 v23, v[24:27] offset:12672
                                        ; implicit-def: $vgpr22
; %bb.84:
	s_andn2_saveexec_b64 s[12:13], s[8:9]
	s_cbranch_execz .LBB123_86
; %bb.85:
	s_mul_i32 s8, s22, 24
	s_ashr_i32 s9, s8, 31
	s_lshl_b64 s[8:9], s[8:9], 4
	v_mov_b32_e32 v24, s9
	v_add_co_u32_e64 v23, s[8:9], s8, v11
	v_addc_co_u32_e64 v24, s[8:9], v12, v24, s[8:9]
	global_load_dwordx4 v[23:26], v[23:24], off
	s_movk_i32 s8, 0x3180
	v_add3_u32 v22, v22, v14, s8
	s_waitcnt vmcnt(0)
	ds_write2_b64 v22, v[23:24], v[25:26] offset1:1
.LBB123_86:
	s_or_b64 exec, exec, s[12:13]
	v_add_co_u32_e64 v11, s[8:9], v11, v14
	v_addc_co_u32_e64 v12, s[8:9], 0, v12, s[8:9]
	v_mov_b32_e32 v22, s11
	v_subrev_co_u32_e64 v11, s[8:9], s10, v11
	v_subb_co_u32_e64 v12, s[8:9], v12, v22, s[8:9]
	v_add_co_u32_e64 v11, s[8:9], 16, v11
	v_addc_co_u32_e64 v12, s[8:9], 0, v12, s[8:9]
	v_cndmask_b32_e32 v43, v12, v10, vcc
	v_cndmask_b32_e32 v42, v11, v9, vcc
	s_branch .LBB123_92
.LBB123_87:
	ds_read_b128 v[18:21], v15
	s_waitcnt lgkmcnt(0)
	ds_write_b128 v9, v[18:21]
	s_or_b64 exec, exec, s[12:13]
	s_and_saveexec_b64 s[4:5], s[14:15]
	s_cbranch_execz .LBB123_64
.LBB123_88:
	ds_read_b128 v[18:21], v16
	s_waitcnt lgkmcnt(0)
	ds_write_b128 v9, v[18:21] offset:16
	s_or_b64 exec, exec, s[4:5]
	v_add_u32_e32 v18, 0x210, v16
	s_and_saveexec_b64 s[4:5], s[8:9]
	s_cbranch_execz .LBB123_65
.LBB123_89:
	ds_read_b128 v[19:22], v18
	s_waitcnt lgkmcnt(0)
	ds_write_b128 v9, v[19:22] offset:32
	s_or_b64 exec, exec, s[4:5]
	v_add_u32_e32 v19, 0x4700, v12
	s_and_saveexec_b64 s[4:5], s[10:11]
	s_cbranch_execnz .LBB123_66
	s_branch .LBB123_67
.LBB123_90:
                                        ; implicit-def: $vgpr42_vgpr43
                                        ; implicit-def: $vgpr6
                                        ; implicit-def: $vgpr21
                                        ; implicit-def: $vgpr20
	s_cbranch_execz .LBB123_92
; %bb.91:
	s_lshl_b32 s8, s22, 3
	s_ashr_i32 s9, s8, 31
	s_lshl_b64 s[8:9], s[8:9], 4
	v_mov_b32_e32 v11, s9
	v_add_co_u32_e32 v6, vcc, s8, v7
	s_ashr_i32 s23, s22, 31
	v_addc_co_u32_e32 v7, vcc, v8, v11, vcc
	s_lshl_b64 s[8:9], s[22:23], 7
	global_load_dwordx4 v[22:25], v[9:10], off
	global_load_dwordx4 v[26:29], v[6:7], off offset:-512
	v_mov_b32_e32 v8, s9
	v_add_co_u32_e32 v6, vcc, s8, v6
	v_addc_co_u32_e32 v7, vcc, v7, v8, vcc
	v_add_co_u32_e32 v11, vcc, s8, v6
	v_addc_co_u32_e32 v12, vcc, v7, v8, vcc
	global_load_dwordx4 v[30:33], v[6:7], off offset:-512
	global_load_dwordx4 v[34:37], v[11:12], off offset:-512
	s_movk_i32 s8, 0x210
	v_mov_b32_e32 v43, v10
	v_add_u32_e32 v6, 8, v13
	v_add_u32_e32 v21, 16, v13
	;; [unrolled: 1-line block ×3, first 2 shown]
	v_mad_u32_u24 v7, v13, s8, v14
	v_mov_b32_e32 v42, v9
	v_add_u32_e32 v8, 0x1080, v7
	v_add_u32_e32 v11, 0x2100, v7
	;; [unrolled: 1-line block ×3, first 2 shown]
	s_waitcnt vmcnt(3)
	ds_write2_b64 v7, v[22:23], v[24:25] offset1:1
	s_waitcnt vmcnt(2)
	ds_write2_b64 v8, v[26:27], v[28:29] offset1:1
	;; [unrolled: 2-line block ×4, first 2 shown]
.LBB123_92:
	v_lshlrev_b32_e32 v11, 4, v13
	v_lshlrev_b32_e32 v6, 4, v6
	v_add_u32_e32 v7, v45, v11
	v_add_u32_e32 v22, v45, v6
	s_waitcnt lgkmcnt(0)
	s_barrier
	ds_read_b128 v[7:10], v7
	ds_read_b128 v[11:14], v11 offset:18176
	ds_read_b128 v[22:25], v22
	ds_read_b128 v[26:29], v6 offset:18176
	v_lshlrev_b32_e32 v6, 4, v21
	v_add_u32_e32 v21, v45, v6
	ds_read_b128 v[30:33], v21
	ds_read_b128 v[34:37], v6 offset:18176
	s_waitcnt lgkmcnt(4)
	v_mul_f64 v[47:48], v[9:10], v[13:14]
	v_mul_f64 v[13:14], v[7:8], v[13:14]
	s_waitcnt lgkmcnt(2)
	v_mul_f64 v[49:50], v[24:25], v[28:29]
	v_mul_f64 v[28:29], v[22:23], v[28:29]
	v_fma_f64 v[6:7], v[7:8], v[11:12], -v[47:48]
	s_waitcnt lgkmcnt(0)
	v_mul_f64 v[47:48], v[32:33], v[36:37]
	v_fma_f64 v[21:22], v[22:23], v[26:27], -v[49:50]
	v_fma_f64 v[49:50], v[9:10], v[11:12], v[13:14]
	v_mul_f64 v[36:37], v[30:31], v[36:37]
	v_fma_f64 v[23:24], v[24:25], v[26:27], v[28:29]
	v_lshlrev_b32_e32 v10, 4, v20
	v_add_f64 v[51:52], v[6:7], 0
	v_add_u32_e32 v6, v45, v10
	ds_read_b128 v[6:9], v6
	ds_read_b128 v[10:13], v10 offset:18176
	v_add_f64 v[25:26], v[49:50], 0
	v_fma_f64 v[27:28], v[30:31], v[34:35], -v[47:48]
	v_fma_f64 v[31:32], v[32:33], v[34:35], v[36:37]
	s_waitcnt lgkmcnt(0)
	v_mul_f64 v[29:30], v[8:9], v[12:13]
	v_add_f64 v[20:21], v[51:52], v[21:22]
	v_mul_f64 v[12:13], v[6:7], v[12:13]
	v_add_f64 v[22:23], v[25:26], v[23:24]
	v_fma_f64 v[47:48], v[6:7], v[10:11], -v[29:30]
	v_fma_f64 v[10:11], v[8:9], v[10:11], v[12:13]
	v_add_f64 v[12:13], v[20:21], v[27:28]
	v_add_f64 v[20:21], v[22:23], v[31:32]
	ds_read_b128 v[22:25], v19 offset:528
	ds_read_b128 v[6:9], v19 offset:544
	;; [unrolled: 1-line block ×3, first 2 shown]
	ds_read_b128 v[34:37], v15
	v_add_f64 v[47:48], v[12:13], v[47:48]
	v_add_f64 v[49:50], v[20:21], v[10:11]
	ds_read_b128 v[10:13], v19 offset:560
	ds_read_b128 v[26:29], v16
	ds_read_b128 v[18:21], v18
	;; [unrolled: 1-line block ×3, first 2 shown]
	s_waitcnt lgkmcnt(0)
	s_barrier
	ds_write_b128 v46, v[47:50]
	s_waitcnt lgkmcnt(0)
	s_barrier
	s_and_saveexec_b64 s[8:9], s[4:5]
	s_cbranch_execz .LBB123_94
; %bb.93:
	ds_read_b128 v[47:50], v45
	ds_read_b128 v[51:54], v45 offset:16
	s_waitcnt lgkmcnt(1)
	v_add_f64 v[2:3], v[2:3], v[47:48]
	v_add_f64 v[4:5], v[4:5], v[49:50]
	s_waitcnt lgkmcnt(0)
	v_add_f64 v[51:52], v[2:3], v[51:52]
	v_add_f64 v[53:54], v[4:5], v[53:54]
	ds_read_b128 v[2:5], v45 offset:32
	ds_read_b128 v[47:50], v45 offset:48
	s_waitcnt lgkmcnt(1)
	v_add_f64 v[2:3], v[51:52], v[2:3]
	v_add_f64 v[4:5], v[53:54], v[4:5]
	s_waitcnt lgkmcnt(0)
	v_add_f64 v[51:52], v[2:3], v[47:48]
	v_add_f64 v[53:54], v[4:5], v[49:50]
	ds_read_b128 v[2:5], v45 offset:64
	;; [unrolled: 8-line block ×3, first 2 shown]
	ds_read_b128 v[47:50], v45 offset:112
	s_waitcnt lgkmcnt(1)
	v_add_f64 v[2:3], v[51:52], v[2:3]
	v_add_f64 v[4:5], v[53:54], v[4:5]
	s_waitcnt lgkmcnt(0)
	v_add_f64 v[2:3], v[2:3], v[47:48]
	v_add_f64 v[4:5], v[4:5], v[49:50]
.LBB123_94:
	s_or_b64 exec, exec, s[8:9]
	v_mul_f64 v[47:48], v[32:33], v[36:37]
	v_mul_f64 v[36:37], v[30:31], v[36:37]
	;; [unrolled: 1-line block ×4, first 2 shown]
	s_barrier
	v_fma_f64 v[30:31], v[30:31], v[34:35], -v[47:48]
	v_fma_f64 v[32:33], v[32:33], v[34:35], v[36:37]
	v_mul_f64 v[34:35], v[8:9], v[20:21]
	v_mul_f64 v[20:21], v[6:7], v[20:21]
	v_fma_f64 v[22:23], v[22:23], v[26:27], -v[49:50]
	v_fma_f64 v[24:25], v[24:25], v[26:27], v[28:29]
	v_add_f64 v[26:27], v[30:31], 0
	v_add_f64 v[28:29], v[32:33], 0
	v_mul_f64 v[30:31], v[12:13], v[16:17]
	v_mul_f64 v[16:17], v[10:11], v[16:17]
	v_fma_f64 v[6:7], v[6:7], v[18:19], -v[34:35]
	v_fma_f64 v[8:9], v[8:9], v[18:19], v[20:21]
	v_add_f64 v[18:19], v[26:27], v[22:23]
	v_add_f64 v[20:21], v[28:29], v[24:25]
	v_fma_f64 v[10:11], v[10:11], v[14:15], -v[30:31]
	v_fma_f64 v[12:13], v[12:13], v[14:15], v[16:17]
	v_add_f64 v[6:7], v[18:19], v[6:7]
	v_add_f64 v[8:9], v[20:21], v[8:9]
	;; [unrolled: 1-line block ×4, first 2 shown]
	ds_write_b128 v46, v[6:9]
	s_waitcnt lgkmcnt(0)
	s_barrier
	s_and_saveexec_b64 s[4:5], s[2:3]
	s_cbranch_execz .LBB123_96
; %bb.95:
	ds_read_b128 v[6:9], v45
	ds_read_b128 v[10:13], v45 offset:16
	s_waitcnt lgkmcnt(1)
	v_add_f64 v[2:3], v[2:3], v[6:7]
	v_add_f64 v[4:5], v[4:5], v[8:9]
	s_waitcnt lgkmcnt(0)
	v_add_f64 v[10:11], v[2:3], v[10:11]
	v_add_f64 v[12:13], v[4:5], v[12:13]
	ds_read_b128 v[2:5], v45 offset:32
	ds_read_b128 v[6:9], v45 offset:48
	s_waitcnt lgkmcnt(1)
	v_add_f64 v[2:3], v[10:11], v[2:3]
	v_add_f64 v[4:5], v[12:13], v[4:5]
	s_waitcnt lgkmcnt(0)
	v_add_f64 v[10:11], v[2:3], v[6:7]
	v_add_f64 v[12:13], v[4:5], v[8:9]
	ds_read_b128 v[2:5], v45 offset:64
	;; [unrolled: 8-line block ×3, first 2 shown]
	ds_read_b128 v[6:9], v45 offset:112
	s_waitcnt lgkmcnt(1)
	v_add_f64 v[2:3], v[10:11], v[2:3]
	v_add_f64 v[4:5], v[12:13], v[4:5]
	s_waitcnt lgkmcnt(0)
	v_add_f64 v[2:3], v[2:3], v[6:7]
	v_add_f64 v[4:5], v[4:5], v[8:9]
.LBB123_96:
	s_or_b64 exec, exec, s[4:5]
	s_mul_hi_u32 s2, s40, s7
	s_mul_i32 s41, s41, s7
	s_add_i32 s2, s2, s41
	s_mul_i32 s4, s40, s7
	s_mul_i32 s2, s2, s33
	s_mul_hi_u32 s3, s4, s33
	s_add_i32 s3, s3, s2
	s_mul_i32 s2, s4, s33
	s_lshl_b64 s[2:3], s[2:3], 4
	s_add_u32 s4, s18, s2
	s_addc_u32 s5, s19, s3
	s_mul_hi_i32 s3, s40, s6
	s_mul_i32 s2, s40, s6
	s_lshl_b64 s[2:3], s[2:3], 4
	s_add_u32 s7, s4, s2
	s_addc_u32 s17, s5, s3
	s_add_i32 s8, s6, 1
	s_cmp_ge_u32 s8, s33
	v_lshlrev_b32_e32 v170, 4, v0
	s_barrier
	s_cbranch_scc1 .LBB123_154
; %bb.97:
	s_mul_i32 s2, s39, s24
	s_ashr_i32 s3, s2, 31
	v_lshlrev_b32_e32 v171, 2, v1
	s_lshl_b64 s[2:3], s[2:3], 4
	v_mov_b32_e32 v8, s3
	v_mad_u64_u32 v[6:7], s[4:5], s22, v171, v[0:1]
	v_subrev_co_u32_e32 v172, vcc, s2, v38
	v_subb_co_u32_e32 v173, vcc, v39, v8, vcc
	v_lshrrev_b32_e32 v8, 4, v44
	v_mov_b32_e32 v10, 0x4300
	v_lshl_add_u32 v175, v1, 6, v10
	v_lshlrev_b32_e32 v10, 6, v8
	v_mul_i32_i24_e32 v12, 0xffffffd0, v8
	v_and_b32_e32 v8, 48, v0
	v_and_b32_e32 v9, 15, v0
	s_movk_i32 s4, 0x430
	v_lshlrev_b32_e32 v8, 4, v8
	v_ashrrev_i32_e32 v7, 31, v6
	v_mad_u32_u24 v179, v9, s4, v8
	v_or_b32_e32 v8, 0xf0, v170
	v_mad_u32_u24 v178, v9, s4, v10
	v_mad_u32_u24 v180, v9, s4, v8
	v_sub_co_u32_e32 v196, vcc, 0, v40
	v_lshlrev_b64 v[8:9], 4, v[6:7]
	v_subb_co_u32_e32 v197, vcc, 0, v41, vcc
	v_mov_b32_e32 v10, s27
	v_add_co_u32_e32 v11, vcc, s26, v8
	v_addc_co_u32_e32 v10, vcc, v10, v9, vcc
	v_add_co_u32_e32 v11, vcc, v42, v11
	v_addc_co_u32_e32 v10, vcc, v43, v10, vcc
	;; [unrolled: 2-line block ×3, first 2 shown]
	v_mov_b32_e32 v10, s29
	v_add_co_u32_e32 v6, vcc, s28, v6
	v_addc_co_u32_e32 v7, vcc, v10, v7, vcc
	v_lshlrev_b64 v[6:7], 4, v[6:7]
	s_lshl_b32 s14, s22, 4
	s_lshl_b32 s25, s39, 6
	s_mul_i32 s39, s39, s8
	v_mad_i64_i32 v[10:11], s[8:9], s14, 48, v[6:7]
	s_mul_i32 s30, s22, 3
	s_ashr_i32 s31, s30, 31
	s_lshl_b64 s[8:9], s[30:31], 4
	s_ashr_i32 s15, s14, 31
	s_ashr_i32 s23, s22, 31
	s_lshl_b32 s18, s22, 1
	v_mov_b32_e32 v13, s9
	v_add_co_u32_e32 v14, vcc, s8, v10
	s_add_i32 s24, s33, -2
	s_ashr_i32 s19, s18, 31
	s_lshl_b64 s[4:5], s[22:23], 4
	s_lshl_b32 s10, s39, 6
	s_lshl_b64 s[12:13], s[14:15], 6
	s_mul_i32 s11, s22, 0x300
	v_addc_co_u32_e32 v13, vcc, v11, v13, vcc
	s_lshl_b64 s[22:23], s[22:23], 5
	v_add_co_u32_e32 v200, vcc, v42, v14
	s_add_u32 s28, s22, s26
	v_addc_co_u32_e32 v201, vcc, v43, v13, vcc
	s_addc_u32 s29, s23, s27
	v_mov_b32_e32 v13, s29
	v_add_co_u32_e32 v14, vcc, s28, v8
	v_addc_co_u32_e32 v13, vcc, v13, v9, vcc
	s_mul_hi_i32 s34, s14, 48
	v_add_co_u32_e32 v202, vcc, v42, v14
	s_add_u32 s11, s11, s22
	v_addc_co_u32_e32 v203, vcc, v43, v13, vcc
	s_addc_u32 s22, s34, s23
	v_mov_b32_e32 v13, s22
	v_add_co_u32_e32 v6, vcc, s11, v6
	v_addc_co_u32_e32 v7, vcc, v13, v7, vcc
	v_add_co_u32_e32 v6, vcc, v42, v6
	v_addc_co_u32_e32 v7, vcc, v43, v7, vcc
	v_add_co_u32_e32 v204, vcc, 8, v6
	s_add_u32 s11, s4, s26
	v_addc_co_u32_e32 v205, vcc, 0, v7, vcc
	s_addc_u32 s30, s5, s27
	v_mov_b32_e32 v6, s30
	v_add_co_u32_e32 v7, vcc, s11, v8
	v_addc_co_u32_e32 v6, vcc, v6, v9, vcc
	v_add_co_u32_e32 v7, vcc, v42, v7
	v_addc_co_u32_e32 v6, vcc, v43, v6, vcc
	;; [unrolled: 2-line block ×3, first 2 shown]
	s_lshl_b64 s[18:19], s[18:19], 4
	v_mov_b32_e32 v6, s19
	v_add_co_u32_e32 v7, vcc, s18, v10
	v_addc_co_u32_e32 v6, vcc, v11, v6, vcc
	v_add_co_u32_e32 v208, vcc, v42, v7
	s_add_u32 s22, s26, s18
	v_addc_co_u32_e32 v209, vcc, v43, v6, vcc
	s_addc_u32 s23, s27, s19
	v_mov_b32_e32 v6, s23
	v_add_co_u32_e32 v7, vcc, s22, v8
	v_addc_co_u32_e32 v6, vcc, v6, v9, vcc
	v_add_co_u32_e32 v7, vcc, v42, v7
	v_addc_co_u32_e32 v6, vcc, v43, v6, vcc
	;; [unrolled: 2-line block ×3, first 2 shown]
	v_mov_b32_e32 v6, s5
	v_add_co_u32_e32 v7, vcc, s4, v10
	v_addc_co_u32_e32 v6, vcc, v11, v6, vcc
	v_add_co_u32_e32 v212, vcc, v42, v7
	s_add_u32 s22, s26, s8
	v_addc_co_u32_e32 v213, vcc, v43, v6, vcc
	s_addc_u32 s23, s27, s9
	v_mov_b32_e32 v6, s23
	v_add_co_u32_e32 v7, vcc, s22, v8
	v_addc_co_u32_e32 v6, vcc, v6, v9, vcc
	v_add_co_u32_e32 v7, vcc, v42, v7
	v_addc_co_u32_e32 v6, vcc, v43, v6, vcc
	;; [unrolled: 2-line block ×3, first 2 shown]
	s_lshl_b64 s[22:23], s[14:15], 4
	v_add_co_u32_e32 v216, vcc, v42, v10
	s_add_u32 s31, s26, s22
	v_addc_co_u32_e32 v217, vcc, v43, v11, vcc
	s_addc_u32 s34, s27, s23
	v_mov_b32_e32 v6, s34
	v_add_co_u32_e32 v7, vcc, s31, v8
	v_addc_co_u32_e32 v6, vcc, v6, v9, vcc
	s_lshl_b64 s[14:15], s[14:15], 5
	v_add_co_u32_e32 v7, vcc, v42, v7
	s_add_u32 s26, s14, s26
	v_addc_co_u32_e32 v6, vcc, v43, v6, vcc
	s_addc_u32 s27, s15, s27
	v_add_co_u32_e32 v218, vcc, 8, v7
	s_add_u32 s35, s26, s8
	v_addc_co_u32_e32 v219, vcc, 0, v6, vcc
	s_addc_u32 s36, s27, s9
	v_mov_b32_e32 v6, s36
	v_add_co_u32_e32 v7, vcc, s35, v8
	v_addc_co_u32_e32 v6, vcc, v6, v9, vcc
	v_add_co_u32_e32 v220, vcc, v42, v7
	s_add_u32 s11, s11, s22
	v_addc_co_u32_e32 v221, vcc, v43, v6, vcc
	s_addc_u32 s30, s30, s23
	v_mov_b32_e32 v6, s30
	v_add_co_u32_e32 v7, vcc, s11, v8
	v_addc_co_u32_e32 v6, vcc, v6, v9, vcc
	v_add_co_u32_e32 v7, vcc, v42, v7
	v_addc_co_u32_e32 v6, vcc, v43, v6, vcc
	v_add_co_u32_e32 v222, vcc, 8, v7
	s_add_u32 s11, s28, s14
	v_addc_co_u32_e32 v223, vcc, 0, v6, vcc
	s_addc_u32 s14, s29, s15
	v_mov_b32_e32 v6, s14
	v_add_co_u32_e32 v7, vcc, s11, v8
	v_addc_co_u32_e32 v6, vcc, v6, v9, vcc
	;; [unrolled: 9-line block ×4, first 2 shown]
	v_add_co_u32_e32 v228, vcc, v42, v7
	s_add_u32 s11, s28, s22
	v_addc_co_u32_e32 v229, vcc, v43, v6, vcc
	s_addc_u32 s14, s29, s23
	v_mov_b32_e32 v6, s14
	v_add_co_u32_e32 v7, vcc, s11, v8
	v_addc_co_u32_e32 v6, vcc, v6, v9, vcc
	v_add_co_u32_e32 v230, vcc, v42, v7
	s_add_u32 s4, s26, s4
	v_addc_co_u32_e32 v231, vcc, v43, v6, vcc
	s_addc_u32 s5, s27, s5
	v_mov_b32_e32 v6, s5
	v_add_co_u32_e32 v7, vcc, s4, v8
	v_addc_co_u32_e32 v6, vcc, v6, v9, vcc
	;; [unrolled: 7-line block ×3, first 2 shown]
	v_add_co_u32_e32 v7, vcc, v42, v7
	v_addc_co_u32_e32 v6, vcc, v43, v6, vcc
	v_add_co_u32_e32 v234, vcc, 8, v7
	v_addc_co_u32_e32 v235, vcc, 0, v6, vcc
	v_mov_b32_e32 v6, s27
	v_add_co_u32_e32 v7, vcc, s26, v8
	v_addc_co_u32_e32 v6, vcc, v6, v9, vcc
	v_add_co_u32_e32 v7, vcc, v42, v7
	v_addc_co_u32_e32 v6, vcc, v43, v6, vcc
	s_movk_i32 s2, 0x10c0
	v_add_co_u32_e32 v236, vcc, 8, v7
	v_add_u32_e32 v174, 0x4300, v170
	v_add_u32_e32 v176, 0x4700, v170
	v_mad_u32_u24 v177, v1, s2, v170
	v_cmp_gt_u32_e64 s[2:3], 64, v44
	v_or_b32_e32 v181, 1, v171
	v_or_b32_e32 v182, 2, v171
	;; [unrolled: 1-line block ×3, first 2 shown]
	v_add_u32_e32 v184, 16, v171
	v_add_u32_e32 v185, 17, v171
	;; [unrolled: 1-line block ×13, first 2 shown]
	v_addc_co_u32_e32 v237, vcc, 0, v6, vcc
	v_add_u32_e32 v238, v178, v12
	v_mov_b32_e32 v6, 0
	s_cmp_eq_u32 s24, s6
	s_cselect_b32 s22, s38, 0
	s_and_saveexec_b64 s[4:5], s[0:1]
	s_cbranch_execz .LBB123_102
.LBB123_98:
	s_cmp_lg_u32 s22, 0
	s_cselect_b64 s[8:9], -1, 0
	v_cmp_le_i32_e32 vcc, s22, v0
	s_and_b64 s[8:9], s[8:9], vcc
	s_and_saveexec_b64 s[14:15], s[8:9]
	s_xor_b64 s[8:9], exec, s[14:15]
; %bb.99:
	v_mov_b32_e32 v7, v6
	v_mov_b32_e32 v8, v6
	;; [unrolled: 1-line block ×3, first 2 shown]
	ds_write_b128 v174, v[6:9]
; %bb.100:
	s_andn2_saveexec_b64 s[8:9], s[8:9]
	s_cbranch_execz .LBB123_102
; %bb.101:
	s_ashr_i32 s11, s10, 31
	s_lshl_b64 s[8:9], s[10:11], 4
	v_mov_b32_e32 v8, s9
	v_add_co_u32_e32 v7, vcc, s8, v172
	v_addc_co_u32_e32 v8, vcc, v173, v8, vcc
	global_load_dwordx4 v[7:10], v[7:8], off
	s_waitcnt vmcnt(0)
	ds_write2_b64 v174, v[7:8], v[9:10] offset1:1
.LBB123_102:                            ; =>This Inner Loop Header: Depth=1
	s_or_b64 exec, exec, s[4:5]
	s_cmp_eq_u32 s22, 0
	v_add_co_u32_e32 v19, vcc, v198, v196
	s_cselect_b64 s[14:15], -1, 0
	s_cmp_lg_u32 s22, 0
	v_addc_co_u32_e32 v20, vcc, v199, v197, vcc
	s_cselect_b64 s[8:9], -1, 0
	s_and_b64 vcc, exec, s[8:9]
	s_waitcnt lgkmcnt(0)
	s_barrier
	s_cbranch_vccz .LBB123_110
; %bb.103:                              ;   in Loop: Header=BB123_102 Depth=1
	v_mov_b32_e32 v11, 0
	v_mov_b32_e32 v7, 0
	;; [unrolled: 1-line block ×6, first 2 shown]
	v_cmp_gt_i32_e32 vcc, s22, v171
	s_and_saveexec_b64 s[4:5], vcc
	s_cbranch_execz .LBB123_105
; %bb.104:                              ;   in Loop: Header=BB123_102 Depth=1
	global_load_dwordx4 v[7:10], v[19:20], off offset:-8
.LBB123_105:                            ;   in Loop: Header=BB123_102 Depth=1
	s_or_b64 exec, exec, s[4:5]
	v_mov_b32_e32 v13, 0
	v_mov_b32_e32 v14, 0
	v_cmp_gt_i32_e32 vcc, s22, v181
	s_and_saveexec_b64 s[4:5], vcc
	s_cbranch_execz .LBB123_107
; %bb.106:                              ;   in Loop: Header=BB123_102 Depth=1
	v_add_co_u32_e32 v11, vcc, v206, v196
	v_addc_co_u32_e32 v12, vcc, v207, v197, vcc
	global_load_dwordx4 v[11:14], v[11:12], off offset:-8
.LBB123_107:                            ;   in Loop: Header=BB123_102 Depth=1
	s_or_b64 exec, exec, s[4:5]
	v_mov_b32_e32 v15, 0
	v_mov_b32_e32 v17, 0
	;; [unrolled: 1-line block ×4, first 2 shown]
	v_cmp_gt_i32_e32 vcc, s22, v182
	s_and_saveexec_b64 s[4:5], vcc
	s_cbranch_execz .LBB123_109
; %bb.108:                              ;   in Loop: Header=BB123_102 Depth=1
	v_add_co_u32_e32 v15, vcc, v210, v196
	v_addc_co_u32_e32 v16, vcc, v211, v197, vcc
	global_load_dwordx4 v[15:18], v[15:16], off offset:-8
.LBB123_109:                            ;   in Loop: Header=BB123_102 Depth=1
	s_or_b64 exec, exec, s[4:5]
	v_cmp_gt_i32_e64 s[4:5], s22, v183
	s_branch .LBB123_112
.LBB123_110:                            ;   in Loop: Header=BB123_102 Depth=1
	s_mov_b64 s[4:5], 0
                                        ; implicit-def: $vgpr17_vgpr18
                                        ; implicit-def: $vgpr13_vgpr14
                                        ; implicit-def: $vgpr9_vgpr10
	s_cbranch_execz .LBB123_112
; %bb.111:                              ;   in Loop: Header=BB123_102 Depth=1
	s_waitcnt vmcnt(0)
	v_add_co_u32_e32 v11, vcc, v206, v196
	v_addc_co_u32_e32 v12, vcc, v207, v197, vcc
	v_add_co_u32_e32 v15, vcc, v202, v196
	v_addc_co_u32_e32 v16, vcc, v203, v197, vcc
	global_load_dwordx4 v[7:10], v[19:20], off offset:-8
	s_or_b64 s[4:5], s[4:5], exec
	global_load_dwordx4 v[11:14], v[11:12], off offset:-8
	s_nop 0
	global_load_dwordx4 v[15:18], v[15:16], off
.LBB123_112:                            ;   in Loop: Header=BB123_102 Depth=1
	v_mov_b32_e32 v19, 0
	v_mov_b32_e32 v21, 0
	;; [unrolled: 1-line block ×4, first 2 shown]
	s_and_saveexec_b64 s[18:19], s[4:5]
	s_cbranch_execz .LBB123_114
; %bb.113:                              ;   in Loop: Header=BB123_102 Depth=1
	v_add_co_u32_e32 v19, vcc, v214, v196
	v_addc_co_u32_e32 v20, vcc, v215, v197, vcc
	global_load_dwordx4 v[19:22], v[19:20], off offset:-8
.LBB123_114:                            ;   in Loop: Header=BB123_102 Depth=1
	s_or_b64 exec, exec, s[18:19]
	ds_read_b128 v[23:26], v176
	s_andn2_b64 vcc, exec, s[8:9]
	s_waitcnt vmcnt(0) lgkmcnt(0)
	v_mul_f64 v[27:28], v[9:10], v[25:26]
	v_mul_f64 v[29:30], v[7:8], v[25:26]
	;; [unrolled: 1-line block ×8, first 2 shown]
	v_fma_f64 v[27:28], v[7:8], v[23:24], -v[27:28]
	v_fma_f64 v[29:30], v[9:10], v[23:24], v[29:30]
	v_fma_f64 v[31:32], v[11:12], v[23:24], -v[31:32]
	v_fma_f64 v[33:34], v[13:14], v[23:24], v[33:34]
	;; [unrolled: 2-line block ×4, first 2 shown]
	ds_read_b128 v[47:50], v175
	ds_read_b128 v[43:46], v175 offset:16
	ds_read_b128 v[35:38], v175 offset:32
	;; [unrolled: 1-line block ×3, first 2 shown]
	ds_write_b128 v177, v[27:30]
	ds_write_b128 v177, v[31:34] offset:1072
	ds_write_b128 v177, v[39:42] offset:2144
	;; [unrolled: 1-line block ×3, first 2 shown]
	s_waitcnt lgkmcnt(0)
	s_barrier
	ds_read_b128 v[131:134], v178
	ds_read_b128 v[127:130], v178 offset:16
	ds_read_b128 v[123:126], v178 offset:32
	;; [unrolled: 1-line block ×3, first 2 shown]
	v_cndmask_b32_e64 v27, 0, 1, s[8:9]
	v_add_co_u32_e64 v51, s[8:9], v218, v196
	v_cmp_ne_u32_e64 s[4:5], 1, v27
	v_addc_co_u32_e64 v52, s[8:9], v219, v197, s[8:9]
	s_waitcnt lgkmcnt(0)
	s_barrier
	s_cbranch_vccnz .LBB123_122
; %bb.115:                              ;   in Loop: Header=BB123_102 Depth=1
	v_mov_b32_e32 v27, 0
	v_mov_b32_e32 v31, 0
	v_mov_b32_e32 v33, 0
	v_mov_b32_e32 v28, 0
	v_mov_b32_e32 v32, 0
	v_mov_b32_e32 v34, 0
	v_cmp_gt_i32_e32 vcc, s22, v184
	s_and_saveexec_b64 s[8:9], vcc
	s_cbranch_execz .LBB123_117
; %bb.116:                              ;   in Loop: Header=BB123_102 Depth=1
	global_load_dwordx4 v[31:34], v[51:52], off offset:-8
.LBB123_117:                            ;   in Loop: Header=BB123_102 Depth=1
	s_or_b64 exec, exec, s[8:9]
	v_mov_b32_e32 v29, 0
	v_mov_b32_e32 v30, 0
	v_cmp_gt_i32_e32 vcc, s22, v185
	s_and_saveexec_b64 s[8:9], vcc
	s_cbranch_execz .LBB123_119
; %bb.118:                              ;   in Loop: Header=BB123_102 Depth=1
	v_add_co_u32_e32 v27, vcc, v222, v196
	v_addc_co_u32_e32 v28, vcc, v223, v197, vcc
	global_load_dwordx4 v[27:30], v[27:28], off offset:-8
.LBB123_119:                            ;   in Loop: Header=BB123_102 Depth=1
	s_or_b64 exec, exec, s[8:9]
	v_mov_b32_e32 v39, 0
	v_mov_b32_e32 v41, 0
	;; [unrolled: 1-line block ×4, first 2 shown]
	v_cmp_gt_i32_e32 vcc, s22, v186
	s_and_saveexec_b64 s[8:9], vcc
	s_cbranch_execz .LBB123_121
; %bb.120:                              ;   in Loop: Header=BB123_102 Depth=1
	v_add_co_u32_e32 v39, vcc, v226, v196
	v_addc_co_u32_e32 v40, vcc, v227, v197, vcc
	global_load_dwordx4 v[39:42], v[39:40], off offset:-8
.LBB123_121:                            ;   in Loop: Header=BB123_102 Depth=1
	s_or_b64 exec, exec, s[8:9]
	v_cmp_gt_i32_e64 s[8:9], s22, v187
	s_branch .LBB123_124
.LBB123_122:                            ;   in Loop: Header=BB123_102 Depth=1
	s_mov_b64 s[8:9], 0
                                        ; implicit-def: $vgpr41_vgpr42
                                        ; implicit-def: $vgpr29_vgpr30
                                        ; implicit-def: $vgpr33_vgpr34
	s_cbranch_execz .LBB123_124
; %bb.123:                              ;   in Loop: Header=BB123_102 Depth=1
	s_waitcnt vmcnt(0)
	v_add_co_u32_e32 v27, vcc, v222, v196
	v_addc_co_u32_e32 v28, vcc, v223, v197, vcc
	v_add_co_u32_e32 v39, vcc, v230, v196
	v_addc_co_u32_e32 v40, vcc, v231, v197, vcc
	global_load_dwordx4 v[31:34], v[51:52], off offset:-8
	s_or_b64 s[8:9], s[8:9], exec
	global_load_dwordx4 v[27:30], v[27:28], off offset:-8
	s_nop 0
	global_load_dwordx4 v[39:42], v[39:40], off
.LBB123_124:                            ;   in Loop: Header=BB123_102 Depth=1
	v_mov_b32_e32 v51, 0
	v_mov_b32_e32 v53, 0
	;; [unrolled: 1-line block ×4, first 2 shown]
	s_and_saveexec_b64 s[18:19], s[8:9]
	s_cbranch_execz .LBB123_126
; %bb.125:                              ;   in Loop: Header=BB123_102 Depth=1
	v_add_co_u32_e32 v51, vcc, v234, v196
	v_addc_co_u32_e32 v52, vcc, v235, v197, vcc
	global_load_dwordx4 v[51:54], v[51:52], off offset:-8
.LBB123_126:                            ;   in Loop: Header=BB123_102 Depth=1
	s_or_b64 exec, exec, s[18:19]
	ds_read_b128 v[55:58], v176
	s_and_b64 vcc, exec, s[4:5]
	s_waitcnt vmcnt(0) lgkmcnt(0)
	v_mul_f64 v[59:60], v[33:34], v[57:58]
	v_mul_f64 v[61:62], v[31:32], v[57:58]
	;; [unrolled: 1-line block ×8, first 2 shown]
	v_fma_f64 v[63:64], v[31:32], v[55:56], -v[59:60]
	v_fma_f64 v[65:66], v[33:34], v[55:56], v[61:62]
	v_fma_f64 v[67:68], v[27:28], v[55:56], -v[67:68]
	v_fma_f64 v[69:70], v[29:30], v[55:56], v[69:70]
	v_fma_f64 v[79:80], v[39:40], v[55:56], -v[71:72]
	v_fma_f64 v[81:82], v[41:42], v[55:56], v[73:74]
	v_fma_f64 v[83:84], v[51:52], v[55:56], -v[75:76]
	v_fma_f64 v[85:86], v[53:54], v[55:56], v[57:58]
	ds_read_b128 v[75:78], v175 offset:256
	ds_read_b128 v[71:74], v175 offset:272
	;; [unrolled: 1-line block ×4, first 2 shown]
	ds_write_b128 v177, v[63:66]
	ds_write_b128 v177, v[67:70] offset:1072
	ds_write_b128 v177, v[79:82] offset:2144
	ds_write_b128 v177, v[83:86] offset:3216
	s_waitcnt lgkmcnt(0)
	s_barrier
	ds_read_b128 v[147:150], v178
	ds_read_b128 v[143:146], v178 offset:16
	ds_read_b128 v[139:142], v178 offset:32
	;; [unrolled: 1-line block ×3, first 2 shown]
	v_add_co_u32_e64 v83, s[8:9], v236, v196
	v_addc_co_u32_e64 v84, s[8:9], v237, v197, s[8:9]
	s_waitcnt lgkmcnt(0)
	s_barrier
	s_cbranch_vccnz .LBB123_134
; %bb.127:                              ;   in Loop: Header=BB123_102 Depth=1
	v_mov_b32_e32 v67, 0
	v_mov_b32_e32 v63, 0
	;; [unrolled: 1-line block ×6, first 2 shown]
	v_cmp_gt_i32_e32 vcc, s22, v188
	s_and_saveexec_b64 s[8:9], vcc
	s_cbranch_execz .LBB123_129
; %bb.128:                              ;   in Loop: Header=BB123_102 Depth=1
	global_load_dwordx4 v[63:66], v[83:84], off offset:-8
.LBB123_129:                            ;   in Loop: Header=BB123_102 Depth=1
	s_or_b64 exec, exec, s[8:9]
	v_mov_b32_e32 v69, 0
	v_mov_b32_e32 v70, 0
	v_cmp_gt_i32_e32 vcc, s22, v189
	s_and_saveexec_b64 s[8:9], vcc
	s_cbranch_execz .LBB123_131
; %bb.130:                              ;   in Loop: Header=BB123_102 Depth=1
	v_add_co_u32_e32 v67, vcc, v232, v196
	v_addc_co_u32_e32 v68, vcc, v233, v197, vcc
	global_load_dwordx4 v[67:70], v[67:68], off
.LBB123_131:                            ;   in Loop: Header=BB123_102 Depth=1
	s_or_b64 exec, exec, s[8:9]
	v_mov_b32_e32 v79, 0
	v_mov_b32_e32 v81, 0
	;; [unrolled: 1-line block ×4, first 2 shown]
	v_cmp_gt_i32_e32 vcc, s22, v190
	s_and_saveexec_b64 s[8:9], vcc
	s_cbranch_execz .LBB123_133
; %bb.132:                              ;   in Loop: Header=BB123_102 Depth=1
	v_add_co_u32_e32 v79, vcc, v228, v196
	v_addc_co_u32_e32 v80, vcc, v229, v197, vcc
	global_load_dwordx4 v[79:82], v[79:80], off
.LBB123_133:                            ;   in Loop: Header=BB123_102 Depth=1
	s_or_b64 exec, exec, s[8:9]
	v_cmp_gt_i32_e64 s[8:9], s22, v191
	s_branch .LBB123_136
.LBB123_134:                            ;   in Loop: Header=BB123_102 Depth=1
	s_mov_b64 s[8:9], 0
                                        ; implicit-def: $vgpr81_vgpr82
                                        ; implicit-def: $vgpr69_vgpr70
                                        ; implicit-def: $vgpr65_vgpr66
	s_cbranch_execz .LBB123_136
; %bb.135:                              ;   in Loop: Header=BB123_102 Depth=1
	s_waitcnt vmcnt(0)
	v_add_co_u32_e32 v67, vcc, v232, v196
	v_addc_co_u32_e32 v68, vcc, v233, v197, vcc
	v_add_co_u32_e32 v79, vcc, v224, v196
	v_addc_co_u32_e32 v80, vcc, v225, v197, vcc
	global_load_dwordx4 v[63:66], v[83:84], off offset:-8
	s_or_b64 s[8:9], s[8:9], exec
	global_load_dwordx4 v[67:70], v[67:68], off
	s_nop 0
	global_load_dwordx4 v[79:82], v[79:80], off offset:-8
.LBB123_136:                            ;   in Loop: Header=BB123_102 Depth=1
	v_mov_b32_e32 v83, 0
	v_mov_b32_e32 v85, 0
	;; [unrolled: 1-line block ×4, first 2 shown]
	s_and_saveexec_b64 s[18:19], s[8:9]
	s_cbranch_execz .LBB123_138
; %bb.137:                              ;   in Loop: Header=BB123_102 Depth=1
	v_add_co_u32_e32 v83, vcc, v220, v196
	v_addc_co_u32_e32 v84, vcc, v221, v197, vcc
	global_load_dwordx4 v[83:86], v[83:84], off
.LBB123_138:                            ;   in Loop: Header=BB123_102 Depth=1
	s_or_b64 exec, exec, s[18:19]
	ds_read_b128 v[87:90], v176
	s_and_b64 vcc, exec, s[4:5]
	s_waitcnt vmcnt(0) lgkmcnt(0)
	v_mul_f64 v[91:92], v[65:66], v[89:90]
	v_mul_f64 v[93:94], v[63:64], v[89:90]
	v_mul_f64 v[95:96], v[69:70], v[89:90]
	v_mul_f64 v[97:98], v[67:68], v[89:90]
	v_mul_f64 v[99:100], v[81:82], v[89:90]
	v_mul_f64 v[101:102], v[79:80], v[89:90]
	v_mul_f64 v[115:116], v[85:86], v[89:90]
	v_mul_f64 v[89:90], v[83:84], v[89:90]
	v_fma_f64 v[103:104], v[63:64], v[87:88], -v[91:92]
	v_fma_f64 v[105:106], v[65:66], v[87:88], v[93:94]
	v_fma_f64 v[107:108], v[67:68], v[87:88], -v[95:96]
	v_fma_f64 v[109:110], v[69:70], v[87:88], v[97:98]
	;; [unrolled: 2-line block ×4, first 2 shown]
	ds_read_b128 v[99:102], v175 offset:512
	ds_read_b128 v[95:98], v175 offset:528
	;; [unrolled: 1-line block ×4, first 2 shown]
	ds_write_b128 v177, v[103:106]
	ds_write_b128 v177, v[107:110] offset:1072
	ds_write_b128 v177, v[111:114] offset:2144
	;; [unrolled: 1-line block ×3, first 2 shown]
	s_waitcnt lgkmcnt(0)
	s_barrier
	ds_read_b128 v[163:166], v178
	ds_read_b128 v[159:162], v178 offset:16
	ds_read_b128 v[155:158], v178 offset:32
	;; [unrolled: 1-line block ×3, first 2 shown]
	v_add_co_u32_e64 v115, s[4:5], v216, v196
	v_addc_co_u32_e64 v116, s[4:5], v217, v197, s[4:5]
	s_waitcnt lgkmcnt(0)
	s_barrier
	s_cbranch_vccnz .LBB123_146
; %bb.139:                              ;   in Loop: Header=BB123_102 Depth=1
	v_mov_b32_e32 v107, 0
	v_mov_b32_e32 v103, 0
	v_mov_b32_e32 v105, 0
	v_mov_b32_e32 v108, 0
	v_mov_b32_e32 v104, 0
	v_mov_b32_e32 v106, 0
	v_cmp_gt_i32_e32 vcc, s22, v192
	s_and_saveexec_b64 s[4:5], vcc
	s_cbranch_execz .LBB123_141
; %bb.140:                              ;   in Loop: Header=BB123_102 Depth=1
	global_load_dwordx4 v[103:106], v[115:116], off
.LBB123_141:                            ;   in Loop: Header=BB123_102 Depth=1
	s_or_b64 exec, exec, s[4:5]
	v_mov_b32_e32 v109, 0
	v_mov_b32_e32 v110, 0
	v_cmp_gt_i32_e32 vcc, s22, v193
	s_and_saveexec_b64 s[4:5], vcc
	s_cbranch_execz .LBB123_143
; %bb.142:                              ;   in Loop: Header=BB123_102 Depth=1
	v_add_co_u32_e32 v107, vcc, v212, v196
	v_addc_co_u32_e32 v108, vcc, v213, v197, vcc
	global_load_dwordx4 v[107:110], v[107:108], off
.LBB123_143:                            ;   in Loop: Header=BB123_102 Depth=1
	s_or_b64 exec, exec, s[4:5]
	v_mov_b32_e32 v111, 0
	v_mov_b32_e32 v113, 0
	;; [unrolled: 1-line block ×4, first 2 shown]
	v_cmp_gt_i32_e32 vcc, s22, v194
	s_and_saveexec_b64 s[4:5], vcc
	s_cbranch_execz .LBB123_145
; %bb.144:                              ;   in Loop: Header=BB123_102 Depth=1
	v_add_co_u32_e32 v111, vcc, v208, v196
	v_addc_co_u32_e32 v112, vcc, v209, v197, vcc
	global_load_dwordx4 v[111:114], v[111:112], off
.LBB123_145:                            ;   in Loop: Header=BB123_102 Depth=1
	s_or_b64 exec, exec, s[4:5]
	v_cmp_gt_i32_e64 s[4:5], s22, v195
	s_branch .LBB123_148
.LBB123_146:                            ;   in Loop: Header=BB123_102 Depth=1
	s_mov_b64 s[4:5], 0
                                        ; implicit-def: $vgpr113_vgpr114
                                        ; implicit-def: $vgpr109_vgpr110
                                        ; implicit-def: $vgpr105_vgpr106
	s_cbranch_execz .LBB123_148
; %bb.147:                              ;   in Loop: Header=BB123_102 Depth=1
	s_waitcnt vmcnt(0)
	v_add_co_u32_e32 v107, vcc, v212, v196
	v_addc_co_u32_e32 v108, vcc, v213, v197, vcc
	v_add_co_u32_e32 v111, vcc, v204, v196
	v_addc_co_u32_e32 v112, vcc, v205, v197, vcc
	global_load_dwordx4 v[103:106], v[115:116], off
	s_or_b64 s[4:5], s[4:5], exec
	global_load_dwordx4 v[107:110], v[107:108], off
	s_nop 0
	global_load_dwordx4 v[111:114], v[111:112], off offset:-8
.LBB123_148:                            ;   in Loop: Header=BB123_102 Depth=1
	v_mov_b32_e32 v115, 0
	v_mov_b32_e32 v117, 0
	;; [unrolled: 1-line block ×4, first 2 shown]
	s_and_saveexec_b64 s[8:9], s[4:5]
	s_cbranch_execz .LBB123_150
; %bb.149:                              ;   in Loop: Header=BB123_102 Depth=1
	v_add_co_u32_e32 v115, vcc, v200, v196
	v_addc_co_u32_e32 v116, vcc, v201, v197, vcc
	global_load_dwordx4 v[115:118], v[115:116], off
.LBB123_150:                            ;   in Loop: Header=BB123_102 Depth=1
	s_or_b64 exec, exec, s[8:9]
	v_add_f64 v[147:148], v[147:148], 0
	v_add_f64 v[149:150], v[149:150], 0
	;; [unrolled: 1-line block ×6, first 2 shown]
	v_cmp_gt_i32_e32 vcc, s22, v0
	s_or_b64 s[4:5], s[14:15], vcc
	v_add_f64 v[143:144], v[147:148], v[143:144]
	v_add_f64 v[145:146], v[149:150], v[145:146]
	;; [unrolled: 1-line block ×6, first 2 shown]
	s_and_b64 s[8:9], s[2:3], s[4:5]
	v_add_f64 v[139:140], v[143:144], v[139:140]
	v_add_f64 v[141:142], v[145:146], v[141:142]
	;; [unrolled: 1-line block ×10, first 2 shown]
	ds_read_b128 v[143:146], v176
	ds_read_b128 v[131:134], v175 offset:768
	ds_read_b128 v[127:130], v175 offset:784
	;; [unrolled: 1-line block ×4, first 2 shown]
	s_waitcnt vmcnt(0) lgkmcnt(4)
	v_mul_f64 v[147:148], v[105:106], v[145:146]
	v_mul_f64 v[149:150], v[103:104], v[145:146]
	v_add_f64 v[151:152], v[155:156], v[151:152]
	v_add_f64 v[153:154], v[157:158], v[153:154]
	v_fma_f64 v[147:148], v[103:104], v[143:144], -v[147:148]
	v_fma_f64 v[149:150], v[105:106], v[143:144], v[149:150]
	ds_write_b128 v177, v[147:150]
	v_mul_f64 v[147:148], v[109:110], v[145:146]
	v_mul_f64 v[149:150], v[107:108], v[145:146]
	v_fma_f64 v[147:148], v[107:108], v[143:144], -v[147:148]
	v_fma_f64 v[149:150], v[109:110], v[143:144], v[149:150]
	ds_write_b128 v177, v[147:150] offset:1072
	v_mul_f64 v[147:148], v[113:114], v[145:146]
	v_mul_f64 v[149:150], v[111:112], v[145:146]
	v_fma_f64 v[147:148], v[111:112], v[143:144], -v[147:148]
	v_fma_f64 v[149:150], v[113:114], v[143:144], v[149:150]
	ds_write_b128 v177, v[147:150] offset:2144
	;; [unrolled: 5-line block ×3, first 2 shown]
	s_waitcnt lgkmcnt(0)
	s_barrier
	ds_read_b128 v[143:146], v178
	ds_read_b128 v[147:150], v178 offset:16
	ds_read_b128 v[155:158], v178 offset:32
	;; [unrolled: 1-line block ×3, first 2 shown]
	s_waitcnt lgkmcnt(0)
	v_add_f64 v[143:144], v[143:144], 0
	v_add_f64 v[145:146], v[145:146], 0
	s_barrier
	v_add_f64 v[143:144], v[143:144], v[147:148]
	v_add_f64 v[145:146], v[145:146], v[149:150]
	;; [unrolled: 1-line block ×6, first 2 shown]
	ds_write_b128 v238, v[139:142]
	ds_write_b128 v238, v[135:138] offset:256
	ds_write_b128 v238, v[151:154] offset:512
	;; [unrolled: 1-line block ×3, first 2 shown]
	s_waitcnt lgkmcnt(0)
	s_barrier
	s_and_saveexec_b64 s[4:5], s[8:9]
	s_cbranch_execz .LBB123_152
; %bb.151:                              ;   in Loop: Header=BB123_102 Depth=1
	ds_read_b128 v[135:138], v179
	ds_read_b128 v[139:142], v179 offset:16
	v_ashrrev_i32_e32 v169, 31, v168
	s_waitcnt lgkmcnt(0)
	v_add_f64 v[143:144], v[139:140], v[135:136]
	v_add_f64 v[145:146], v[141:142], v[137:138]
	ds_read_b128 v[135:138], v179 offset:32
	ds_read_b128 v[139:142], v179 offset:48
	s_waitcnt lgkmcnt(1)
	v_add_f64 v[135:136], v[143:144], v[135:136]
	v_add_f64 v[137:138], v[145:146], v[137:138]
	s_waitcnt lgkmcnt(0)
	v_add_f64 v[143:144], v[135:136], v[139:140]
	v_add_f64 v[145:146], v[137:138], v[141:142]
	ds_read_b128 v[135:138], v179 offset:64
	ds_read_b128 v[139:142], v179 offset:80
	s_waitcnt lgkmcnt(1)
	v_add_f64 v[135:136], v[143:144], v[135:136]
	v_add_f64 v[137:138], v[145:146], v[137:138]
	s_waitcnt lgkmcnt(0)
	v_add_f64 v[143:144], v[135:136], v[139:140]
	v_add_f64 v[145:146], v[137:138], v[141:142]
	ds_read_b128 v[135:138], v179 offset:96
	ds_read_b128 v[139:142], v179 offset:112
	s_waitcnt lgkmcnt(1)
	v_add_f64 v[135:136], v[143:144], v[135:136]
	v_add_f64 v[137:138], v[145:146], v[137:138]
	s_waitcnt lgkmcnt(0)
	v_add_f64 v[143:144], v[135:136], v[139:140]
	v_add_f64 v[145:146], v[137:138], v[141:142]
	ds_read_b128 v[135:138], v179 offset:128
	ds_read_b128 v[139:142], v179 offset:144
	s_waitcnt lgkmcnt(1)
	v_add_f64 v[135:136], v[143:144], v[135:136]
	v_add_f64 v[137:138], v[145:146], v[137:138]
	s_waitcnt lgkmcnt(0)
	v_add_f64 v[143:144], v[135:136], v[139:140]
	v_add_f64 v[145:146], v[137:138], v[141:142]
	ds_read_b128 v[135:138], v179 offset:160
	ds_read_b128 v[139:142], v179 offset:176
	s_waitcnt lgkmcnt(1)
	v_add_f64 v[135:136], v[143:144], v[135:136]
	v_add_f64 v[137:138], v[145:146], v[137:138]
	s_waitcnt lgkmcnt(0)
	v_add_f64 v[143:144], v[135:136], v[139:140]
	v_add_f64 v[145:146], v[137:138], v[141:142]
	ds_read_b128 v[135:138], v179 offset:192
	ds_read_b128 v[139:142], v179 offset:208
	s_waitcnt lgkmcnt(1)
	v_add_f64 v[135:136], v[143:144], v[135:136]
	v_add_f64 v[137:138], v[145:146], v[137:138]
	s_waitcnt lgkmcnt(0)
	v_add_f64 v[143:144], v[135:136], v[139:140]
	v_add_f64 v[145:146], v[137:138], v[141:142]
	ds_read_b128 v[135:138], v179 offset:224
	ds_read_b128 v[139:142], v180
	s_waitcnt lgkmcnt(1)
	v_add_f64 v[135:136], v[143:144], v[135:136]
	v_add_f64 v[137:138], v[145:146], v[137:138]
	s_waitcnt lgkmcnt(0)
	v_add_f64 v[135:136], v[135:136], v[139:140]
	v_add_f64 v[137:138], v[137:138], v[141:142]
	v_lshlrev_b64 v[139:140], 4, v[168:169]
	v_mov_b32_e32 v141, s17
	v_add_co_u32_e32 v139, vcc, s7, v139
	v_addc_co_u32_e32 v140, vcc, v141, v140, vcc
	global_store_dwordx4 v[139:140], v[135:138], off
.LBB123_152:                            ;   in Loop: Header=BB123_102 Depth=1
	s_or_b64 exec, exec, s[4:5]
	v_mul_f64 v[135:136], v[9:10], v[49:50]
	v_mul_f64 v[49:50], v[7:8], v[49:50]
	;; [unrolled: 1-line block ×4, first 2 shown]
	v_add_co_u32_e32 v198, vcc, s12, v198
	s_add_i32 s4, s6, 1
	s_add_i32 s10, s10, s25
	v_fma_f64 v[7:8], v[7:8], v[47:48], -v[135:136]
	v_fma_f64 v[9:10], v[9:10], v[47:48], v[49:50]
	v_mul_f64 v[47:48], v[17:18], v[37:38]
	v_mul_f64 v[37:38], v[15:16], v[37:38]
	v_fma_f64 v[11:12], v[11:12], v[43:44], -v[137:138]
	v_fma_f64 v[13:14], v[13:14], v[43:44], v[45:46]
	v_mul_f64 v[49:50], v[21:22], v[25:26]
	v_mul_f64 v[25:26], v[19:20], v[25:26]
	v_add_f64 v[2:3], v[2:3], v[7:8]
	v_add_f64 v[4:5], v[4:5], v[9:10]
	v_fma_f64 v[15:16], v[15:16], v[35:36], -v[47:48]
	v_fma_f64 v[17:18], v[17:18], v[35:36], v[37:38]
	v_mul_f64 v[7:8], v[33:34], v[77:78]
	v_mul_f64 v[9:10], v[31:32], v[77:78]
	v_fma_f64 v[19:20], v[19:20], v[23:24], -v[49:50]
	v_fma_f64 v[21:22], v[21:22], v[23:24], v[25:26]
	v_add_f64 v[2:3], v[2:3], v[11:12]
	v_add_f64 v[4:5], v[4:5], v[13:14]
	v_mul_f64 v[43:44], v[29:30], v[73:74]
	v_mul_f64 v[45:46], v[27:28], v[73:74]
	v_fma_f64 v[7:8], v[31:32], v[75:76], -v[7:8]
	v_fma_f64 v[9:10], v[33:34], v[75:76], v[9:10]
	v_mul_f64 v[11:12], v[41:42], v[61:62]
	v_mul_f64 v[13:14], v[39:40], v[61:62]
	v_add_f64 v[2:3], v[2:3], v[15:16]
	v_add_f64 v[4:5], v[4:5], v[17:18]
	v_fma_f64 v[27:28], v[27:28], v[71:72], -v[43:44]
	v_fma_f64 v[29:30], v[29:30], v[71:72], v[45:46]
	v_mul_f64 v[35:36], v[53:54], v[57:58]
	v_mul_f64 v[37:38], v[51:52], v[57:58]
	v_fma_f64 v[11:12], v[39:40], v[59:60], -v[11:12]
	v_fma_f64 v[13:14], v[41:42], v[59:60], v[13:14]
	v_add_f64 v[2:3], v[2:3], v[19:20]
	v_add_f64 v[4:5], v[4:5], v[21:22]
	v_mul_f64 v[15:16], v[65:66], v[101:102]
	v_mul_f64 v[17:18], v[63:64], v[101:102]
	v_fma_f64 v[35:36], v[51:52], v[55:56], -v[35:36]
	v_fma_f64 v[37:38], v[53:54], v[55:56], v[37:38]
	v_mul_f64 v[23:24], v[69:70], v[97:98]
	v_mul_f64 v[25:26], v[67:68], v[97:98]
	v_add_f64 v[2:3], v[2:3], v[7:8]
	v_add_f64 v[4:5], v[4:5], v[9:10]
	v_mul_f64 v[19:20], v[81:82], v[93:94]
	v_mul_f64 v[21:22], v[79:80], v[93:94]
	;; [unrolled: 1-line block ×6, first 2 shown]
	v_add_f64 v[2:3], v[2:3], v[27:28]
	v_add_f64 v[4:5], v[4:5], v[29:30]
	v_mul_f64 v[43:44], v[109:110], v[129:130]
	v_mul_f64 v[45:46], v[107:108], v[129:130]
	;; [unrolled: 1-line block ×4, first 2 shown]
	v_fma_f64 v[7:8], v[103:104], v[131:132], -v[7:8]
	v_fma_f64 v[9:10], v[105:106], v[131:132], v[9:10]
	v_add_f64 v[2:3], v[2:3], v[11:12]
	v_add_f64 v[4:5], v[4:5], v[13:14]
	v_fma_f64 v[11:12], v[63:64], v[99:100], -v[15:16]
	v_fma_f64 v[13:14], v[65:66], v[99:100], v[17:18]
	v_fma_f64 v[15:16], v[67:68], v[95:96], -v[23:24]
	v_fma_f64 v[17:18], v[69:70], v[95:96], v[25:26]
	v_mul_f64 v[39:40], v[117:118], v[121:122]
	v_mul_f64 v[41:42], v[115:116], v[121:122]
	v_add_f64 v[2:3], v[2:3], v[35:36]
	v_add_f64 v[4:5], v[4:5], v[37:38]
	v_mov_b32_e32 v35, s13
	v_addc_co_u32_e32 v199, vcc, v199, v35, vcc
	v_add_co_u32_e32 v200, vcc, s12, v200
	v_addc_co_u32_e32 v201, vcc, v201, v35, vcc
	v_add_f64 v[2:3], v[2:3], v[11:12]
	v_add_f64 v[4:5], v[4:5], v[13:14]
	v_fma_f64 v[11:12], v[79:80], v[91:92], -v[19:20]
	v_fma_f64 v[13:14], v[81:82], v[91:92], v[21:22]
	v_add_co_u32_e32 v202, vcc, s12, v202
	v_addc_co_u32_e32 v203, vcc, v203, v35, vcc
	v_add_f64 v[2:3], v[2:3], v[15:16]
	v_add_f64 v[4:5], v[4:5], v[17:18]
	v_fma_f64 v[15:16], v[83:84], v[87:88], -v[31:32]
	v_fma_f64 v[17:18], v[85:86], v[87:88], v[33:34]
	;; [unrolled: 6-line block ×3, first 2 shown]
	v_add_co_u32_e32 v206, vcc, s12, v206
	v_addc_co_u32_e32 v207, vcc, v207, v35, vcc
	v_add_f64 v[2:3], v[2:3], v[15:16]
	v_add_f64 v[4:5], v[4:5], v[17:18]
	v_add_co_u32_e32 v208, vcc, s12, v208
	v_addc_co_u32_e32 v209, vcc, v209, v35, vcc
	v_add_co_u32_e32 v210, vcc, s12, v210
	v_add_f64 v[2:3], v[2:3], v[7:8]
	v_add_f64 v[4:5], v[4:5], v[9:10]
	v_addc_co_u32_e32 v211, vcc, v211, v35, vcc
	v_add_co_u32_e32 v212, vcc, s12, v212
	v_addc_co_u32_e32 v213, vcc, v213, v35, vcc
	v_fma_f64 v[7:8], v[111:112], v[123:124], -v[27:28]
	v_fma_f64 v[9:10], v[113:114], v[123:124], v[29:30]
	v_add_f64 v[2:3], v[2:3], v[11:12]
	v_add_f64 v[4:5], v[4:5], v[13:14]
	v_add_co_u32_e32 v214, vcc, s12, v214
	v_addc_co_u32_e32 v215, vcc, v215, v35, vcc
	v_add_co_u32_e32 v216, vcc, s12, v216
	v_addc_co_u32_e32 v217, vcc, v217, v35, vcc
	v_add_co_u32_e32 v218, vcc, s12, v218
	v_addc_co_u32_e32 v219, vcc, v219, v35, vcc
	v_add_co_u32_e32 v220, vcc, s12, v220
	v_addc_co_u32_e32 v221, vcc, v221, v35, vcc
	v_fma_f64 v[11:12], v[115:116], v[119:120], -v[39:40]
	v_fma_f64 v[13:14], v[117:118], v[119:120], v[41:42]
	v_add_f64 v[2:3], v[2:3], v[7:8]
	v_add_f64 v[4:5], v[4:5], v[9:10]
	v_add_co_u32_e32 v222, vcc, s12, v222
	v_addc_co_u32_e32 v223, vcc, v223, v35, vcc
	v_add_co_u32_e32 v224, vcc, s12, v224
	v_addc_co_u32_e32 v225, vcc, v225, v35, vcc
	;; [unrolled: 2-line block ×4, first 2 shown]
	v_add_f64 v[2:3], v[2:3], v[11:12]
	v_add_f64 v[4:5], v[4:5], v[13:14]
	v_add_co_u32_e32 v230, vcc, s12, v230
	v_addc_co_u32_e32 v231, vcc, v231, v35, vcc
	v_add_co_u32_e32 v232, vcc, s12, v232
	v_addc_co_u32_e32 v233, vcc, v233, v35, vcc
	v_add_co_u32_e32 v234, vcc, s12, v234
	v_addc_co_u32_e32 v235, vcc, v235, v35, vcc
	s_add_i32 s5, s6, 2
	v_add_co_u32_e32 v236, vcc, s12, v236
	v_add_u32_e32 v168, 64, v168
	s_cmp_ge_u32 s5, s33
	v_addc_co_u32_e32 v237, vcc, v237, v35, vcc
	s_waitcnt vmcnt(0)
	s_barrier
	s_cbranch_scc1 .LBB123_154
; %bb.153:                              ;   in Loop: Header=BB123_102 Depth=1
	s_mov_b32 s6, s4
	s_cmp_eq_u32 s24, s6
	s_cselect_b32 s22, s38, 0
	s_and_saveexec_b64 s[4:5], s[0:1]
	s_cbranch_execnz .LBB123_98
	s_branch .LBB123_102
.LBB123_154:
	s_movk_i32 s2, 0x430
	v_cmp_gt_i32_e32 vcc, s16, v0
	v_mad_u32_u24 v1, v1, s2, v170
	s_or_b64 s[2:3], s[20:21], vcc
	s_and_b64 s[0:1], s[0:1], s[2:3]
	ds_write_b128 v1, v[2:5]
	s_waitcnt lgkmcnt(0)
	s_barrier
	s_and_saveexec_b64 s[2:3], s[0:1]
	s_cbranch_execz .LBB123_156
; %bb.155:
	ds_read_b128 v[0:3], v170 offset:1072
	ds_read_b128 v[4:7], v170
	v_ashrrev_i32_e32 v168, 31, v167
	s_waitcnt lgkmcnt(0)
	v_add_f64 v[8:9], v[0:1], v[4:5]
	v_add_f64 v[10:11], v[2:3], v[6:7]
	ds_read_b128 v[0:3], v170 offset:2144
	ds_read_b128 v[4:7], v170 offset:3216
	s_waitcnt lgkmcnt(1)
	v_add_f64 v[0:1], v[8:9], v[0:1]
	v_add_f64 v[2:3], v[10:11], v[2:3]
	s_waitcnt lgkmcnt(0)
	v_add_f64 v[0:1], v[0:1], v[4:5]
	v_add_f64 v[2:3], v[2:3], v[6:7]
	v_lshlrev_b64 v[4:5], 4, v[167:168]
	v_mov_b32_e32 v6, s17
	v_add_co_u32_e32 v4, vcc, s7, v4
	v_addc_co_u32_e32 v5, vcc, v6, v5, vcc
	global_store_dwordx4 v[4:5], v[0:3], off
.LBB123_156:
	s_endpgm
	.section	.rodata,"a",@progbits
	.p2align	6, 0x0
	.amdhsa_kernel _ZL26rocblas_hemvn_kernel_upperILb0ELi64ELi4ELi33ELi32ELi16EiPK19rocblas_complex_numIdES3_PS1_EviT6_lT7_lT5_lS6_lS7_lS5_lT8_i
		.amdhsa_group_segment_fixed_size 19200
		.amdhsa_private_segment_fixed_size 0
		.amdhsa_kernarg_size 376
		.amdhsa_user_sgpr_count 6
		.amdhsa_user_sgpr_private_segment_buffer 1
		.amdhsa_user_sgpr_dispatch_ptr 0
		.amdhsa_user_sgpr_queue_ptr 0
		.amdhsa_user_sgpr_kernarg_segment_ptr 1
		.amdhsa_user_sgpr_dispatch_id 0
		.amdhsa_user_sgpr_flat_scratch_init 0
		.amdhsa_user_sgpr_private_segment_size 0
		.amdhsa_uses_dynamic_stack 0
		.amdhsa_system_sgpr_private_segment_wavefront_offset 0
		.amdhsa_system_sgpr_workgroup_id_x 1
		.amdhsa_system_sgpr_workgroup_id_y 0
		.amdhsa_system_sgpr_workgroup_id_z 1
		.amdhsa_system_sgpr_workgroup_info 0
		.amdhsa_system_vgpr_workitem_id 1
		.amdhsa_next_free_vgpr 239
		.amdhsa_next_free_sgpr 98
		.amdhsa_reserve_vcc 1
		.amdhsa_reserve_flat_scratch 0
		.amdhsa_float_round_mode_32 0
		.amdhsa_float_round_mode_16_64 0
		.amdhsa_float_denorm_mode_32 3
		.amdhsa_float_denorm_mode_16_64 3
		.amdhsa_dx10_clamp 1
		.amdhsa_ieee_mode 1
		.amdhsa_fp16_overflow 0
		.amdhsa_exception_fp_ieee_invalid_op 0
		.amdhsa_exception_fp_denorm_src 0
		.amdhsa_exception_fp_ieee_div_zero 0
		.amdhsa_exception_fp_ieee_overflow 0
		.amdhsa_exception_fp_ieee_underflow 0
		.amdhsa_exception_fp_ieee_inexact 0
		.amdhsa_exception_int_div_zero 0
	.end_amdhsa_kernel
	.section	.text._ZL26rocblas_hemvn_kernel_upperILb0ELi64ELi4ELi33ELi32ELi16EiPK19rocblas_complex_numIdES3_PS1_EviT6_lT7_lT5_lS6_lS7_lS5_lT8_i,"axG",@progbits,_ZL26rocblas_hemvn_kernel_upperILb0ELi64ELi4ELi33ELi32ELi16EiPK19rocblas_complex_numIdES3_PS1_EviT6_lT7_lT5_lS6_lS7_lS5_lT8_i,comdat
.Lfunc_end123:
	.size	_ZL26rocblas_hemvn_kernel_upperILb0ELi64ELi4ELi33ELi32ELi16EiPK19rocblas_complex_numIdES3_PS1_EviT6_lT7_lT5_lS6_lS7_lS5_lT8_i, .Lfunc_end123-_ZL26rocblas_hemvn_kernel_upperILb0ELi64ELi4ELi33ELi32ELi16EiPK19rocblas_complex_numIdES3_PS1_EviT6_lT7_lT5_lS6_lS7_lS5_lT8_i
                                        ; -- End function
	.set _ZL26rocblas_hemvn_kernel_upperILb0ELi64ELi4ELi33ELi32ELi16EiPK19rocblas_complex_numIdES3_PS1_EviT6_lT7_lT5_lS6_lS7_lS5_lT8_i.num_vgpr, 239
	.set _ZL26rocblas_hemvn_kernel_upperILb0ELi64ELi4ELi33ELi32ELi16EiPK19rocblas_complex_numIdES3_PS1_EviT6_lT7_lT5_lS6_lS7_lS5_lT8_i.num_agpr, 0
	.set _ZL26rocblas_hemvn_kernel_upperILb0ELi64ELi4ELi33ELi32ELi16EiPK19rocblas_complex_numIdES3_PS1_EviT6_lT7_lT5_lS6_lS7_lS5_lT8_i.numbered_sgpr, 44
	.set _ZL26rocblas_hemvn_kernel_upperILb0ELi64ELi4ELi33ELi32ELi16EiPK19rocblas_complex_numIdES3_PS1_EviT6_lT7_lT5_lS6_lS7_lS5_lT8_i.num_named_barrier, 0
	.set _ZL26rocblas_hemvn_kernel_upperILb0ELi64ELi4ELi33ELi32ELi16EiPK19rocblas_complex_numIdES3_PS1_EviT6_lT7_lT5_lS6_lS7_lS5_lT8_i.private_seg_size, 0
	.set _ZL26rocblas_hemvn_kernel_upperILb0ELi64ELi4ELi33ELi32ELi16EiPK19rocblas_complex_numIdES3_PS1_EviT6_lT7_lT5_lS6_lS7_lS5_lT8_i.uses_vcc, 1
	.set _ZL26rocblas_hemvn_kernel_upperILb0ELi64ELi4ELi33ELi32ELi16EiPK19rocblas_complex_numIdES3_PS1_EviT6_lT7_lT5_lS6_lS7_lS5_lT8_i.uses_flat_scratch, 0
	.set _ZL26rocblas_hemvn_kernel_upperILb0ELi64ELi4ELi33ELi32ELi16EiPK19rocblas_complex_numIdES3_PS1_EviT6_lT7_lT5_lS6_lS7_lS5_lT8_i.has_dyn_sized_stack, 0
	.set _ZL26rocblas_hemvn_kernel_upperILb0ELi64ELi4ELi33ELi32ELi16EiPK19rocblas_complex_numIdES3_PS1_EviT6_lT7_lT5_lS6_lS7_lS5_lT8_i.has_recursion, 0
	.set _ZL26rocblas_hemvn_kernel_upperILb0ELi64ELi4ELi33ELi32ELi16EiPK19rocblas_complex_numIdES3_PS1_EviT6_lT7_lT5_lS6_lS7_lS5_lT8_i.has_indirect_call, 0
	.section	.AMDGPU.csdata,"",@progbits
; Kernel info:
; codeLenInByte = 10860
; TotalNumSgprs: 48
; NumVgprs: 239
; ScratchSize: 0
; MemoryBound: 1
; FloatMode: 240
; IeeeMode: 1
; LDSByteSize: 19200 bytes/workgroup (compile time only)
; SGPRBlocks: 12
; VGPRBlocks: 59
; NumSGPRsForWavesPerEU: 102
; NumVGPRsForWavesPerEU: 239
; Occupancy: 1
; WaveLimiterHint : 1
; COMPUTE_PGM_RSRC2:SCRATCH_EN: 0
; COMPUTE_PGM_RSRC2:USER_SGPR: 6
; COMPUTE_PGM_RSRC2:TRAP_HANDLER: 0
; COMPUTE_PGM_RSRC2:TGID_X_EN: 1
; COMPUTE_PGM_RSRC2:TGID_Y_EN: 0
; COMPUTE_PGM_RSRC2:TGID_Z_EN: 1
; COMPUTE_PGM_RSRC2:TIDIG_COMP_CNT: 1
	.section	.text._ZL26rocblas_hemvn_kernel_upperILb0ELi64ELi4ELi33ELi32ELi16El19rocblas_complex_numIdEPKS1_PS1_EviT6_lT7_lT5_lS6_lS7_lS5_lT8_i,"axG",@progbits,_ZL26rocblas_hemvn_kernel_upperILb0ELi64ELi4ELi33ELi32ELi16El19rocblas_complex_numIdEPKS1_PS1_EviT6_lT7_lT5_lS6_lS7_lS5_lT8_i,comdat
	.globl	_ZL26rocblas_hemvn_kernel_upperILb0ELi64ELi4ELi33ELi32ELi16El19rocblas_complex_numIdEPKS1_PS1_EviT6_lT7_lT5_lS6_lS7_lS5_lT8_i ; -- Begin function _ZL26rocblas_hemvn_kernel_upperILb0ELi64ELi4ELi33ELi32ELi16El19rocblas_complex_numIdEPKS1_PS1_EviT6_lT7_lT5_lS6_lS7_lS5_lT8_i
	.p2align	8
	.type	_ZL26rocblas_hemvn_kernel_upperILb0ELi64ELi4ELi33ELi32ELi16El19rocblas_complex_numIdEPKS1_PS1_EviT6_lT7_lT5_lS6_lS7_lS5_lT8_i,@function
_ZL26rocblas_hemvn_kernel_upperILb0ELi64ELi4ELi33ELi32ELi16El19rocblas_complex_numIdEPKS1_PS1_EviT6_lT7_lT5_lS6_lS7_lS5_lT8_i: ; @_ZL26rocblas_hemvn_kernel_upperILb0ELi64ELi4ELi33ELi32ELi16El19rocblas_complex_numIdEPKS1_PS1_EviT6_lT7_lT5_lS6_lS7_lS5_lT8_i
; %bb.0:
	s_load_dwordx2 s[2:3], s[4:5], 0x94
	s_add_u32 s0, s4, 0x88
	s_addc_u32 s1, s5, 0
	s_waitcnt lgkmcnt(0)
	s_lshr_b32 s8, s2, 16
	s_and_b32 s2, s2, 0xffff
	s_and_b32 s3, s3, 0xffff
	s_mul_i32 s2, s8, s2
	s_mul_i32 s2, s2, s3
	s_cmpk_lg_i32 s2, 0x100
	s_cbranch_scc1 .LBB124_156
; %bb.1:
	s_load_dwordx4 s[8:11], s[4:5], 0x8
	s_waitcnt lgkmcnt(0)
	v_cmp_neq_f64_e64 s[2:3], s[8:9], 0
	v_cmp_neq_f64_e64 s[8:9], s[10:11], 0
	s_or_b64 s[2:3], s[2:3], s[8:9]
	s_mov_b64 s[8:9], -1
	s_and_b64 vcc, exec, s[2:3]
	s_cbranch_vccnz .LBB124_3
; %bb.2:
	s_load_dwordx4 s[8:11], s[4:5], 0x60
	s_waitcnt lgkmcnt(0)
	v_cmp_neq_f64_e64 s[8:9], s[8:9], 1.0
	v_cmp_neq_f64_e64 s[10:11], s[10:11], 0
	s_or_b64 s[8:9], s[8:9], s[10:11]
.LBB124_3:
	s_andn2_b64 vcc, exec, s[8:9]
	s_cbranch_vccnz .LBB124_156
; %bb.4:
	s_andn2_b64 vcc, exec, s[2:3]
	s_cbranch_vccnz .LBB124_156
; %bb.5:
	s_load_dwordx16 s[16:31], s[4:5], 0x20
	s_load_dword s33, s[0:1], 0x0
	s_load_dword s37, s[4:5], 0x0
	s_waitcnt lgkmcnt(0)
	s_mul_i32 s1, s31, s7
	s_mul_hi_u32 s2, s30, s7
	s_mul_i32 s0, s30, s7
	s_add_i32 s1, s2, s1
	s_lshl_b64 s[0:1], s[0:1], 4
	s_add_u32 s2, s24, s0
	s_addc_u32 s3, s25, s1
	s_lshl_b64 s[0:1], s[26:27], 4
	s_add_u32 s2, s2, s0
	s_addc_u32 s3, s3, s1
	s_lshl_b32 s26, s6, 6
	s_ashr_i32 s38, s37, 31
	s_lshr_b32 s0, s38, 26
	v_add_u32_e32 v175, s26, v0
	s_add_i32 s0, s37, s0
	v_ashrrev_i32_e32 v176, 31, v175
	s_and_b32 s9, s0, 0xffffffc0
	v_mul_lo_u32 v4, s28, v176
	v_mul_lo_u32 v5, s29, v175
	v_mad_u64_u32 v[2:3], s[0:1], s28, v175, 0
	s_add_i32 s8, s33, -1
	s_sub_i32 s36, s37, s9
	v_add3_u32 v3, v3, v4, v5
	v_lshlrev_b64 v[2:3], 4, v[2:3]
	s_cmp_eq_u32 s6, s8
	v_mov_b32_e32 v4, s3
	v_add_co_u32_e32 v40, vcc, s2, v2
	s_cselect_b32 s24, s36, 0
	v_addc_co_u32_e32 v41, vcc, v4, v3, vcc
	v_cmp_eq_u32_e64 s[0:1], 0, v1
	s_and_saveexec_b64 s[2:3], s[0:1]
	s_cbranch_execz .LBB124_10
; %bb.6:
	s_cmp_lg_u32 s24, 0
	s_cselect_b64 s[8:9], -1, 0
	v_cmp_le_i32_e32 vcc, s24, v0
	v_mov_b32_e32 v2, 0x4700
	s_and_b64 s[8:9], s[8:9], vcc
	v_lshl_add_u32 v2, v0, 4, v2
	s_and_saveexec_b64 s[10:11], s[8:9]
	s_xor_b64 s[8:9], exec, s[10:11]
; %bb.7:
	v_mov_b32_e32 v3, 0
	v_mov_b32_e32 v4, v3
	;; [unrolled: 1-line block ×4, first 2 shown]
	ds_write_b128 v2, v[3:6]
                                        ; implicit-def: $vgpr2
; %bb.8:
	s_andn2_saveexec_b64 s[8:9], s[8:9]
	s_cbranch_execz .LBB124_10
; %bb.9:
	global_load_dwordx4 v[3:6], v[40:41], off
	s_waitcnt vmcnt(0)
	ds_write2_b64 v2, v[3:4], v[5:6] offset1:1
.LBB124_10:
	s_or_b64 exec, exec, s[2:3]
	v_lshl_add_u32 v44, v1, 6, v0
	s_mul_i32 s2, s23, s7
	s_mul_hi_u32 s3, s22, s7
	v_and_b32_e32 v6, 31, v0
	v_lshrrev_b32_e32 v13, 5, v44
	s_add_i32 s3, s3, s2
	s_mul_i32 s2, s22, s7
	v_mov_b32_e32 v7, 0
	s_lshl_b64 s[2:3], s[2:3], 4
	v_mad_u64_u32 v[2:3], s[8:9], s20, v13, v[6:7]
	s_add_u32 s10, s16, s2
	s_addc_u32 s11, s17, s3
	s_lshl_b64 s[2:3], s[18:19], 4
	s_add_u32 s8, s10, s2
	s_addc_u32 s9, s11, s3
	v_mad_u64_u32 v[3:4], s[2:3], s21, v13, v[3:4]
	s_ashr_i32 s27, s26, 31
	s_lshl_b64 s[2:3], s[26:27], 4
	s_add_u32 s2, s8, s2
	v_lshlrev_b64 v[38:39], 4, v[2:3]
	s_addc_u32 s3, s9, s3
	v_mov_b32_e32 v2, s3
	v_add_co_u32_e32 v3, vcc, s2, v38
	s_mul_hi_u32 s2, s20, s26
	s_mul_i32 s3, s20, s27
	s_add_i32 s2, s2, s3
	s_mul_i32 s3, s21, s26
	s_add_i32 s3, s2, s3
	s_mul_i32 s2, s20, s26
	s_lshl_b64 s[2:3], s[2:3], 4
	v_addc_co_u32_e32 v4, vcc, v2, v39, vcc
	s_cmp_eq_u32 s24, 0
	v_mov_b32_e32 v5, s3
	v_add_co_u32_e32 v2, vcc, s2, v3
	s_cselect_b64 s[18:19], -1, 0
	s_cmp_lg_u32 s24, 0
	v_addc_co_u32_e32 v3, vcc, v4, v5, vcc
	s_cselect_b64 s[22:23], -1, 0
	s_and_b64 vcc, exec, s[22:23]
	v_cmp_gt_i32_e64 s[2:3], s24, v6
	v_lshlrev_b32_e32 v15, 4, v6
	v_lshlrev_b32_e32 v14, 4, v6
	s_cbranch_vccz .LBB124_28
; %bb.11:
	v_sub_co_u32_e32 v4, vcc, v2, v15
	s_ashr_i32 s25, s24, 31
	v_subbrev_co_u32_e32 v5, vcc, 0, v3, vcc
	s_lshl_b64 s[8:9], s[24:25], 4
	v_mov_b32_e32 v7, s9
	v_add_co_u32_e32 v4, vcc, s8, v4
	v_addc_co_u32_e32 v5, vcc, v5, v7, vcc
	v_add_co_u32_e32 v4, vcc, -16, v4
	v_addc_co_u32_e32 v5, vcc, -1, v5, vcc
	s_movk_i32 s10, 0x210
	v_cndmask_b32_e64 v5, v5, v3, s[2:3]
	v_cndmask_b32_e64 v4, v4, v2, s[2:3]
	v_cmp_le_i32_e32 vcc, s24, v13
	v_mad_u32_u24 v8, v13, s10, v14
	s_and_saveexec_b64 s[10:11], vcc
	s_xor_b64 s[10:11], exec, s[10:11]
; %bb.12:
	v_mov_b32_e32 v9, 0
	v_mov_b32_e32 v10, v9
	;; [unrolled: 1-line block ×4, first 2 shown]
	ds_write_b128 v8, v[9:12]
                                        ; implicit-def: $vgpr8
; %bb.13:
	s_or_saveexec_b64 s[10:11], s[10:11]
	v_mul_u32_u24_e32 v7, 0x210, v13
	s_xor_b64 exec, exec, s[10:11]
	s_cbranch_execz .LBB124_15
; %bb.14:
	global_load_dwordx4 v[9:12], v[4:5], off
	s_waitcnt vmcnt(0)
	ds_write2_b64 v8, v[9:10], v[11:12] offset1:1
.LBB124_15:
	s_or_b64 exec, exec, s[10:11]
	v_add_u32_e32 v8, 8, v13
	v_cmp_le_i32_e32 vcc, s24, v8
	v_add_u32_e32 v8, v7, v14
	s_and_saveexec_b64 s[10:11], vcc
	s_xor_b64 s[10:11], exec, s[10:11]
; %bb.16:
	v_mov_b32_e32 v9, 0
	v_mov_b32_e32 v10, v9
	;; [unrolled: 1-line block ×4, first 2 shown]
	ds_write_b128 v8, v[9:12] offset:4224
; %bb.17:
	s_andn2_saveexec_b64 s[10:11], s[10:11]
	s_cbranch_execz .LBB124_19
; %bb.18:
	s_lshl_b64 s[12:13], s[20:21], 7
	v_mov_b32_e32 v10, s13
	v_add_co_u32_e32 v9, vcc, s12, v4
	v_addc_co_u32_e32 v10, vcc, v5, v10, vcc
	global_load_dwordx4 v[9:12], v[9:10], off
	s_movk_i32 s12, 0x1080
	v_add3_u32 v16, v7, v14, s12
	s_waitcnt vmcnt(0)
	ds_write2_b64 v16, v[9:10], v[11:12] offset1:1
.LBB124_19:
	s_or_b64 exec, exec, s[10:11]
	v_add_u32_e32 v9, 16, v13
	v_cmp_le_i32_e32 vcc, s24, v9
	s_and_saveexec_b64 s[10:11], vcc
	s_xor_b64 s[10:11], exec, s[10:11]
; %bb.20:
	v_mov_b32_e32 v9, 0
	v_mov_b32_e32 v10, v9
	;; [unrolled: 1-line block ×4, first 2 shown]
	ds_write_b128 v8, v[9:12] offset:8448
; %bb.21:
	s_andn2_saveexec_b64 s[10:11], s[10:11]
	s_cbranch_execz .LBB124_23
; %bb.22:
	s_lshl_b64 s[12:13], s[20:21], 8
	v_mov_b32_e32 v10, s13
	v_add_co_u32_e32 v9, vcc, s12, v4
	v_addc_co_u32_e32 v10, vcc, v5, v10, vcc
	global_load_dwordx4 v[9:12], v[9:10], off
	s_movk_i32 s12, 0x2100
	v_add3_u32 v16, v7, v14, s12
	s_waitcnt vmcnt(0)
	ds_write2_b64 v16, v[9:10], v[11:12] offset1:1
.LBB124_23:
	s_or_b64 exec, exec, s[10:11]
	v_add_u32_e32 v9, 24, v13
	v_cmp_le_i32_e32 vcc, s24, v9
	s_and_saveexec_b64 s[10:11], vcc
	s_xor_b64 s[10:11], exec, s[10:11]
; %bb.24:
	v_mov_b32_e32 v9, 0
	v_mov_b32_e32 v10, v9
	;; [unrolled: 1-line block ×4, first 2 shown]
	ds_write_b128 v8, v[9:12] offset:12672
                                        ; implicit-def: $vgpr7
; %bb.25:
	s_andn2_saveexec_b64 s[10:11], s[10:11]
	s_cbranch_execz .LBB124_27
; %bb.26:
	v_mov_b32_e32 v8, 0x180
	v_mad_u64_u32 v[8:9], s[12:13], s20, v8, v[4:5]
	s_mul_i32 s12, s21, 0x180
	v_add_u32_e32 v9, s12, v9
	global_load_dwordx4 v[8:11], v[8:9], off
	s_movk_i32 s12, 0x3180
	v_add3_u32 v7, v7, v14, s12
	s_waitcnt vmcnt(0)
	ds_write2_b64 v7, v[8:9], v[10:11] offset1:1
.LBB124_27:
	s_or_b64 exec, exec, s[10:11]
	v_add_co_u32_e32 v4, vcc, v4, v15
	v_addc_co_u32_e32 v5, vcc, 0, v5, vcc
	v_mov_b32_e32 v7, s9
	v_subrev_co_u32_e32 v4, vcc, s8, v4
	v_subb_co_u32_e32 v5, vcc, v5, v7, vcc
	v_add_co_u32_e32 v4, vcc, 16, v4
	v_addc_co_u32_e32 v5, vcc, 0, v5, vcc
	v_cndmask_b32_e64 v8, v5, v3, s[2:3]
	v_cndmask_b32_e64 v7, v4, v2, s[2:3]
	s_branch .LBB124_30
.LBB124_28:
                                        ; implicit-def: $vgpr7_vgpr8
	s_cbranch_execz .LBB124_30
; %bb.29:
	s_lshl_b64 s[2:3], s[20:21], 7
	v_mov_b32_e32 v12, s3
	v_add_co_u32_e32 v4, vcc, s2, v2
	v_addc_co_u32_e32 v5, vcc, v3, v12, vcc
	global_load_dwordx4 v[7:10], v[2:3], off
	global_load_dwordx4 v[16:19], v[4:5], off
	v_add_co_u32_e32 v4, vcc, s2, v4
	v_addc_co_u32_e32 v5, vcc, v5, v12, vcc
	v_add_co_u32_e32 v11, vcc, s2, v4
	v_addc_co_u32_e32 v12, vcc, v5, v12, vcc
	global_load_dwordx4 v[20:23], v[4:5], off
	global_load_dwordx4 v[24:27], v[11:12], off
	v_mul_u32_u24_e32 v4, 0x210, v13
	v_lshl_add_u32 v4, v6, 4, v4
	v_add_u32_e32 v5, 0x1080, v4
	v_add_u32_e32 v11, 0x2100, v4
	;; [unrolled: 1-line block ×3, first 2 shown]
	s_waitcnt vmcnt(3)
	ds_write2_b64 v4, v[7:8], v[9:10] offset1:1
	s_waitcnt vmcnt(2)
	ds_write2_b64 v5, v[16:17], v[18:19] offset1:1
	s_waitcnt vmcnt(1)
	ds_write2_b64 v11, v[20:21], v[22:23] offset1:1
	s_waitcnt vmcnt(0)
	ds_write2_b64 v12, v[24:25], v[26:27] offset1:1
	v_mov_b32_e32 v8, v3
	v_mov_b32_e32 v7, v2
.LBB124_30:
	v_lshlrev_b32_e32 v11, 2, v13
	v_lshl_or_b32 v2, v6, 9, v14
	v_cmp_gt_u32_e64 s[16:17], v11, v6
	v_lshl_add_u32 v4, v11, 4, v2
	s_waitcnt lgkmcnt(0)
	s_barrier
	s_and_saveexec_b64 s[2:3], s[16:17]
	s_cbranch_execz .LBB124_32
; %bb.31:
	s_movk_i32 s8, 0x840
	v_mad_u32_u24 v2, v13, s8, v14
	ds_read_b128 v[16:19], v2
	s_waitcnt lgkmcnt(0)
	ds_write_b128 v4, v[16:19]
.LBB124_32:
	s_or_b64 exec, exec, s[2:3]
	v_or_b32_e32 v2, 1, v11
	v_cmp_ge_u32_e64 s[8:9], v11, v6
	s_and_saveexec_b64 s[2:3], s[8:9]
	s_cbranch_execz .LBB124_34
; %bb.33:
	s_movk_i32 s10, 0x210
	v_mad_u32_u24 v3, v2, s10, v14
	ds_read_b128 v[16:19], v3
	s_waitcnt lgkmcnt(0)
	ds_write_b128 v4, v[16:19] offset:16
.LBB124_34:
	s_or_b64 exec, exec, s[2:3]
	v_or_b32_e32 v3, 2, v11
	v_cmp_gt_u32_e64 s[10:11], v3, v6
	s_and_saveexec_b64 s[2:3], s[10:11]
	s_cbranch_execz .LBB124_36
; %bb.35:
	s_movk_i32 s12, 0x210
	v_mad_u32_u24 v3, v3, s12, v14
	ds_read_b128 v[16:19], v3
	s_waitcnt lgkmcnt(0)
	ds_write_b128 v4, v[16:19] offset:32
.LBB124_36:
	s_or_b64 exec, exec, s[2:3]
	v_or_b32_e32 v5, 3, v11
	v_cmp_gt_u32_e64 s[12:13], v5, v6
	v_cmp_le_u32_e32 vcc, v5, v6
                                        ; implicit-def: $vgpr3
	s_and_saveexec_b64 s[2:3], vcc
	s_xor_b64 s[2:3], exec, s[2:3]
; %bb.37:
	v_mul_u32_u24_e32 v3, 0x210, v5
                                        ; implicit-def: $vgpr5
                                        ; implicit-def: $vgpr4
; %bb.38:
	s_andn2_saveexec_b64 s[2:3], s[2:3]
	s_cbranch_execz .LBB124_40
; %bb.39:
	s_movk_i32 s14, 0x210
	v_mad_u32_u24 v3, v5, s14, v14
	ds_read_b128 v[16:19], v3
	v_mul_u32_u24_e32 v3, 0x210, v5
	s_waitcnt lgkmcnt(0)
	ds_write_b128 v4, v[16:19] offset:48
.LBB124_40:
	s_or_b64 exec, exec, s[2:3]
	s_movk_i32 s2, 0x840
	v_mad_u32_u24 v16, v13, s2, v14
	s_waitcnt lgkmcnt(0)
	s_barrier
	v_lshlrev_b32_e32 v12, 4, v11
	ds_read_b128 v[18:21], v16
	ds_read_b128 v[22:25], v12 offset:18176
	ds_read_b128 v[26:29], v12 offset:18192
	s_movk_i32 s25, 0x210
	v_mad_u32_u24 v17, v2, s25, v14
	ds_read_b128 v[30:33], v17
	s_waitcnt lgkmcnt(2)
	v_mul_f64 v[4:5], v[24:25], v[20:21]
	v_mul_f64 v[9:10], v[22:23], v[20:21]
	v_add_u32_e32 v47, v14, v3
	v_cmp_gt_u32_e64 s[2:3], 32, v44
	v_fma_f64 v[36:37], v[22:23], v[18:19], -v[4:5]
	ds_read_b128 v[2:5], v12 offset:18208
	s_waitcnt lgkmcnt(1)
	v_mul_f64 v[42:43], v[28:29], v[32:33]
	v_mul_f64 v[45:46], v[26:27], v[32:33]
	v_fma_f64 v[9:10], v[24:25], v[18:19], v[9:10]
	ds_read_b128 v[20:23], v17 offset:528
	ds_read_b128 v[32:35], v12 offset:18224
	ds_read_b128 v[48:51], v47
	s_waitcnt lgkmcnt(0)
	v_add_f64 v[18:19], v[36:37], 0
	s_barrier
	v_mul_f64 v[24:25], v[4:5], v[22:23]
	v_fma_f64 v[26:27], v[26:27], v[30:31], -v[42:43]
	v_fma_f64 v[28:29], v[28:29], v[30:31], v[45:46]
	v_mul_f64 v[22:23], v[2:3], v[22:23]
	v_add_f64 v[9:10], v[9:10], 0
	v_mul_f64 v[30:31], v[34:35], v[50:51]
	v_fma_f64 v[2:3], v[2:3], v[20:21], -v[24:25]
	v_add_f64 v[18:19], v[18:19], v[26:27]
	v_mul_f64 v[24:25], v[32:33], v[50:51]
	v_fma_f64 v[4:5], v[4:5], v[20:21], v[22:23]
	v_add_f64 v[9:10], v[9:10], v[28:29]
	v_fma_f64 v[20:21], v[32:33], v[48:49], -v[30:31]
	v_add_f64 v[18:19], v[18:19], v[2:3]
	v_fma_f64 v[22:23], v[34:35], v[48:49], v[24:25]
	v_mov_b32_e32 v2, 0
	v_add_f64 v[4:5], v[9:10], v[4:5]
	v_mul_u32_u24_e32 v9, 33, v6
	v_lshlrev_b32_e32 v45, 4, v9
	v_mov_b32_e32 v3, 0
	v_lshl_add_u32 v46, v13, 4, v45
	v_add_f64 v[18:19], v[18:19], v[20:21]
	v_add_f64 v[20:21], v[4:5], v[22:23]
	v_mov_b32_e32 v4, 0
	v_mov_b32_e32 v5, 0
	ds_write_b128 v46, v[18:21]
	s_waitcnt lgkmcnt(0)
	s_barrier
	s_and_saveexec_b64 s[14:15], s[2:3]
	s_cbranch_execz .LBB124_42
; %bb.41:
	ds_read_b128 v[2:5], v45
	ds_read_b128 v[18:21], v45 offset:16
	s_waitcnt lgkmcnt(0)
	v_add_f64 v[9:10], v[18:19], v[2:3]
	v_add_f64 v[22:23], v[20:21], v[4:5]
	ds_read_b128 v[2:5], v45 offset:32
	ds_read_b128 v[18:21], v45 offset:48
	s_waitcnt lgkmcnt(1)
	v_add_f64 v[2:3], v[9:10], v[2:3]
	v_add_f64 v[4:5], v[22:23], v[4:5]
	s_waitcnt lgkmcnt(0)
	v_add_f64 v[9:10], v[2:3], v[18:19]
	v_add_f64 v[22:23], v[4:5], v[20:21]
	ds_read_b128 v[2:5], v45 offset:64
	ds_read_b128 v[18:21], v45 offset:80
	s_waitcnt lgkmcnt(1)
	v_add_f64 v[2:3], v[9:10], v[2:3]
	v_add_f64 v[4:5], v[22:23], v[4:5]
	;; [unrolled: 8-line block ×3, first 2 shown]
	s_waitcnt lgkmcnt(0)
	v_add_f64 v[2:3], v[2:3], v[18:19]
	v_add_f64 v[4:5], v[4:5], v[20:21]
.LBB124_42:
	s_or_b64 exec, exec, s[14:15]
	s_lshl_b64 s[14:15], s[20:21], 9
	v_mov_b32_e32 v9, s15
	v_add_co_u32_e32 v19, vcc, s14, v7
	v_addc_co_u32_e32 v20, vcc, v8, v9, vcc
	v_add_co_u32_e32 v9, vcc, 0x200, v19
	v_addc_co_u32_e32 v10, vcc, 0, v20, vcc
	v_mad_u32_u24 v18, v13, s25, v14
	s_and_b64 vcc, exec, s[22:23]
	s_barrier
	s_cbranch_vccz .LBB124_60
; %bb.43:
	v_sub_co_u32_e32 v8, vcc, v19, v15
	s_ashr_i32 s25, s24, 31
	v_subbrev_co_u32_e32 v21, vcc, 0, v20, vcc
	s_lshl_b64 s[30:31], s[24:25], 4
	v_mov_b32_e32 v22, s31
	v_add_co_u32_e32 v8, vcc, s30, v8
	v_addc_co_u32_e32 v21, vcc, v21, v22, vcc
	v_or_b32_e32 v7, 32, v6
	v_add_co_u32_e32 v22, vcc, -16, v8
	v_addc_co_u32_e32 v8, vcc, -1, v21, vcc
	v_cmp_gt_i32_e64 s[14:15], s24, v7
	s_sub_i32 s25, s24, 32
	v_cndmask_b32_e64 v8, v8, v10, s[14:15]
	v_cndmask_b32_e64 v7, v22, v9, s[14:15]
	v_cmp_le_i32_e32 vcc, s25, v13
	s_and_saveexec_b64 s[34:35], vcc
	s_xor_b64 s[34:35], exec, s[34:35]
; %bb.44:
	v_mov_b32_e32 v21, 0
	v_mov_b32_e32 v22, v21
	;; [unrolled: 1-line block ×4, first 2 shown]
	ds_write_b128 v18, v[21:24]
; %bb.45:
	s_andn2_saveexec_b64 s[34:35], s[34:35]
	s_cbranch_execz .LBB124_47
; %bb.46:
	global_load_dwordx4 v[21:24], v[7:8], off
	s_waitcnt vmcnt(0)
	ds_write2_b64 v18, v[21:22], v[23:24] offset1:1
.LBB124_47:
	s_or_b64 exec, exec, s[34:35]
	v_add_u32_e32 v21, 8, v13
	v_cmp_le_i32_e32 vcc, s25, v21
	s_and_saveexec_b64 s[34:35], vcc
	s_xor_b64 s[34:35], exec, s[34:35]
	s_cbranch_execz .LBB124_49
; %bb.48:
	s_movk_i32 s39, 0x210
	v_mad_u32_u24 v25, v21, s39, v14
	v_mov_b32_e32 v21, 0
	v_mov_b32_e32 v22, v21
	v_mov_b32_e32 v23, v21
	v_mov_b32_e32 v24, v21
	ds_write_b128 v25, v[21:24]
                                        ; implicit-def: $vgpr21
.LBB124_49:
	s_andn2_saveexec_b64 s[34:35], s[34:35]
	s_cbranch_execz .LBB124_51
; %bb.50:
	s_lshl_b64 s[40:41], s[20:21], 7
	v_mov_b32_e32 v23, s41
	v_add_co_u32_e32 v22, vcc, s40, v7
	v_addc_co_u32_e32 v23, vcc, v8, v23, vcc
	global_load_dwordx4 v[22:25], v[22:23], off
	s_movk_i32 s39, 0x210
	v_mad_u32_u24 v21, v21, s39, v14
	s_waitcnt vmcnt(0)
	ds_write2_b64 v21, v[22:23], v[24:25] offset1:1
.LBB124_51:
	s_or_b64 exec, exec, s[34:35]
	v_add_u32_e32 v21, 16, v13
	v_cmp_le_i32_e32 vcc, s25, v21
	s_and_saveexec_b64 s[34:35], vcc
	s_xor_b64 s[34:35], exec, s[34:35]
	s_cbranch_execz .LBB124_53
; %bb.52:
	s_movk_i32 s39, 0x210
	v_mad_u32_u24 v25, v21, s39, v14
	v_mov_b32_e32 v21, 0
	v_mov_b32_e32 v22, v21
	;; [unrolled: 1-line block ×4, first 2 shown]
	ds_write_b128 v25, v[21:24]
                                        ; implicit-def: $vgpr21
.LBB124_53:
	s_andn2_saveexec_b64 s[34:35], s[34:35]
	s_cbranch_execz .LBB124_55
; %bb.54:
	s_lshl_b64 s[40:41], s[20:21], 8
	v_mov_b32_e32 v23, s41
	v_add_co_u32_e32 v22, vcc, s40, v7
	v_addc_co_u32_e32 v23, vcc, v8, v23, vcc
	global_load_dwordx4 v[22:25], v[22:23], off
	s_movk_i32 s39, 0x210
	v_mad_u32_u24 v21, v21, s39, v14
	s_waitcnt vmcnt(0)
	ds_write2_b64 v21, v[22:23], v[24:25] offset1:1
.LBB124_55:
	s_or_b64 exec, exec, s[34:35]
	v_add_u32_e32 v21, 24, v13
	v_cmp_le_i32_e32 vcc, s25, v21
	s_and_saveexec_b64 s[34:35], vcc
	s_xor_b64 s[34:35], exec, s[34:35]
	s_cbranch_execz .LBB124_57
; %bb.56:
	s_movk_i32 s25, 0x210
	v_mad_u32_u24 v25, v21, s25, v14
	v_mov_b32_e32 v21, 0
	v_mov_b32_e32 v22, v21
	;; [unrolled: 1-line block ×4, first 2 shown]
	ds_write_b128 v25, v[21:24]
                                        ; implicit-def: $vgpr21
.LBB124_57:
	s_andn2_saveexec_b64 s[34:35], s[34:35]
	s_cbranch_execz .LBB124_59
; %bb.58:
	v_mov_b32_e32 v22, 0x180
	v_mad_u64_u32 v[22:23], s[40:41], s20, v22, v[7:8]
	s_mul_i32 s25, s21, 0x180
	v_add_u32_e32 v23, s25, v23
	global_load_dwordx4 v[22:25], v[22:23], off
	s_movk_i32 s25, 0x210
	v_mad_u32_u24 v21, v21, s25, v14
	s_waitcnt vmcnt(0)
	ds_write2_b64 v21, v[22:23], v[24:25] offset1:1
.LBB124_59:
	s_or_b64 exec, exec, s[34:35]
	v_add_co_u32_e32 v7, vcc, v7, v15
	v_addc_co_u32_e32 v8, vcc, 0, v8, vcc
	v_mov_b32_e32 v21, s31
	v_subrev_co_u32_e32 v7, vcc, s30, v7
	v_subb_co_u32_e32 v8, vcc, v8, v21, vcc
	v_add_co_u32_e32 v7, vcc, 0x210, v7
	v_addc_co_u32_e32 v8, vcc, 0, v8, vcc
	v_cndmask_b32_e64 v8, v8, v10, s[14:15]
	v_cndmask_b32_e64 v7, v7, v9, s[14:15]
	s_branch .LBB124_62
.LBB124_60:
                                        ; implicit-def: $vgpr7_vgpr8
	s_cbranch_execz .LBB124_62
; %bb.61:
	s_lshl_b64 s[14:15], s[20:21], 7
	v_mov_b32_e32 v27, s15
	v_add_co_u32_e32 v7, vcc, s14, v19
	v_addc_co_u32_e32 v8, vcc, v20, v27, vcc
	global_load_dwordx4 v[19:22], v[9:10], off
	global_load_dwordx4 v[23:26], v[7:8], off offset:512
	v_add_co_u32_e32 v7, vcc, s14, v7
	v_addc_co_u32_e32 v8, vcc, v8, v27, vcc
	v_add_co_u32_e32 v35, vcc, s14, v7
	v_addc_co_u32_e32 v36, vcc, v8, v27, vcc
	global_load_dwordx4 v[27:30], v[7:8], off offset:512
	global_load_dwordx4 v[31:34], v[35:36], off offset:512
	v_add_u32_e32 v7, 0x1080, v18
	v_add_u32_e32 v8, 0x2100, v18
	;; [unrolled: 1-line block ×3, first 2 shown]
	s_waitcnt vmcnt(3)
	ds_write2_b64 v18, v[19:20], v[21:22] offset1:1
	s_waitcnt vmcnt(2)
	ds_write2_b64 v7, v[23:24], v[25:26] offset1:1
	;; [unrolled: 2-line block ×4, first 2 shown]
	v_mov_b32_e32 v7, v9
	v_mov_b32_e32 v8, v10
.LBB124_62:
	v_lshl_add_u32 v9, v11, 4, v45
	s_waitcnt lgkmcnt(0)
	s_barrier
	s_and_saveexec_b64 s[14:15], s[16:17]
	s_cbranch_execnz .LBB124_87
; %bb.63:
	s_or_b64 exec, exec, s[14:15]
	s_and_saveexec_b64 s[14:15], s[8:9]
	s_cbranch_execnz .LBB124_88
.LBB124_64:
	s_or_b64 exec, exec, s[14:15]
	v_add_u32_e32 v19, 0x210, v17
	s_and_saveexec_b64 s[8:9], s[10:11]
	s_cbranch_execnz .LBB124_89
.LBB124_65:
	s_or_b64 exec, exec, s[8:9]
	v_add_u32_e32 v20, 0x4700, v12
	s_and_saveexec_b64 s[8:9], s[12:13]
	s_cbranch_execz .LBB124_67
.LBB124_66:
	ds_read_b128 v[21:24], v47
	s_waitcnt lgkmcnt(0)
	ds_write_b128 v9, v[21:24] offset:48
.LBB124_67:
	s_or_b64 exec, exec, s[8:9]
	s_waitcnt lgkmcnt(0)
	s_barrier
	ds_read_b128 v[9:12], v20 offset:512
	ds_read_b128 v[21:24], v16
	v_cmp_eq_u32_e64 s[8:9], 1, v13
	s_waitcnt lgkmcnt(0)
	v_mul_f64 v[35:36], v[11:12], v[23:24]
	v_mul_f64 v[42:43], v[9:10], v[23:24]
	ds_read_b128 v[23:26], v17
	ds_read_b128 v[27:30], v20 offset:528
	ds_read_b128 v[31:34], v20 offset:544
	ds_read_b128 v[48:51], v19
	s_waitcnt lgkmcnt(2)
	v_mul_f64 v[56:57], v[29:30], v[25:26]
	v_mul_f64 v[25:26], v[27:28], v[25:26]
	v_fma_f64 v[35:36], v[9:10], v[21:22], -v[35:36]
	v_fma_f64 v[21:22], v[11:12], v[21:22], v[42:43]
	s_waitcnt lgkmcnt(0)
	v_mul_f64 v[42:43], v[33:34], v[50:51]
	v_mul_f64 v[50:51], v[31:32], v[50:51]
	ds_read_b128 v[9:12], v20 offset:560
	ds_read_b128 v[52:55], v47
	v_fma_f64 v[27:28], v[27:28], v[23:24], -v[56:57]
	v_fma_f64 v[23:24], v[29:30], v[23:24], v[25:26]
	s_waitcnt lgkmcnt(0)
	v_add_f64 v[25:26], v[35:36], 0
	v_add_f64 v[21:22], v[21:22], 0
	v_mul_f64 v[29:30], v[11:12], v[54:55]
	v_mul_f64 v[35:36], v[9:10], v[54:55]
	v_fma_f64 v[31:32], v[31:32], v[48:49], -v[42:43]
	v_fma_f64 v[33:34], v[33:34], v[48:49], v[50:51]
	s_barrier
	v_add_f64 v[25:26], v[25:26], v[27:28]
	v_add_f64 v[21:22], v[21:22], v[23:24]
	v_fma_f64 v[9:10], v[9:10], v[52:53], -v[29:30]
	v_fma_f64 v[11:12], v[11:12], v[52:53], v[35:36]
	v_add_f64 v[23:24], v[25:26], v[31:32]
	v_add_f64 v[21:22], v[21:22], v[33:34]
	;; [unrolled: 1-line block ×4, first 2 shown]
	ds_write_b128 v46, v[9:12]
	s_waitcnt lgkmcnt(0)
	s_barrier
	s_and_saveexec_b64 s[10:11], s[8:9]
	s_cbranch_execz .LBB124_69
; %bb.68:
	ds_read_b128 v[2:5], v45
	ds_read_b128 v[9:12], v45 offset:16
	s_waitcnt lgkmcnt(0)
	v_add_f64 v[21:22], v[9:10], v[2:3]
	v_add_f64 v[23:24], v[11:12], v[4:5]
	ds_read_b128 v[2:5], v45 offset:32
	ds_read_b128 v[9:12], v45 offset:48
	s_waitcnt lgkmcnt(1)
	v_add_f64 v[2:3], v[21:22], v[2:3]
	v_add_f64 v[4:5], v[23:24], v[4:5]
	s_waitcnt lgkmcnt(0)
	v_add_f64 v[21:22], v[2:3], v[9:10]
	v_add_f64 v[23:24], v[4:5], v[11:12]
	ds_read_b128 v[2:5], v45 offset:64
	ds_read_b128 v[9:12], v45 offset:80
	s_waitcnt lgkmcnt(1)
	v_add_f64 v[2:3], v[21:22], v[2:3]
	v_add_f64 v[4:5], v[23:24], v[4:5]
	;; [unrolled: 8-line block ×3, first 2 shown]
	s_waitcnt lgkmcnt(0)
	v_add_f64 v[2:3], v[2:3], v[9:10]
	v_add_f64 v[4:5], v[4:5], v[11:12]
.LBB124_69:
	s_or_b64 exec, exec, s[10:11]
	v_add_co_u32_e32 v9, vcc, 0xfffffe00, v7
	v_addc_co_u32_e32 v10, vcc, -1, v8, vcc
	s_and_b64 vcc, exec, s[22:23]
	s_barrier
	s_cbranch_vccz .LBB124_90
; %bb.70:
	v_sub_co_u32_e32 v11, vcc, v7, v15
	s_ashr_i32 s25, s24, 31
	v_subbrev_co_u32_e32 v12, vcc, 0, v8, vcc
	s_lshl_b64 s[12:13], s[24:25], 4
	v_mov_b32_e32 v21, s13
	v_add_co_u32_e32 v11, vcc, s12, v11
	v_addc_co_u32_e32 v12, vcc, v12, v21, vcc
	v_add_co_u32_e32 v11, vcc, 0xfffffdf0, v11
	v_addc_co_u32_e32 v12, vcc, -1, v12, vcc
	v_cmp_gt_i32_e32 vcc, s24, v6
	s_sub_i32 s16, s24, 32
	v_cndmask_b32_e32 v12, v12, v10, vcc
	v_cndmask_b32_e32 v11, v11, v9, vcc
	v_cmp_le_i32_e64 s[10:11], s16, v13
	s_and_saveexec_b64 s[14:15], s[10:11]
	s_xor_b64 s[10:11], exec, s[14:15]
; %bb.71:
	v_mov_b32_e32 v21, 0
	v_mov_b32_e32 v22, v21
	;; [unrolled: 1-line block ×4, first 2 shown]
	ds_write_b128 v18, v[21:24]
; %bb.72:
	s_andn2_saveexec_b64 s[10:11], s[10:11]
	s_cbranch_execz .LBB124_74
; %bb.73:
	global_load_dwordx4 v[21:24], v[11:12], off
	s_waitcnt vmcnt(0)
	ds_write2_b64 v18, v[21:22], v[23:24] offset1:1
.LBB124_74:
	s_or_b64 exec, exec, s[10:11]
	v_add_u32_e32 v6, 8, v13
	v_cmp_le_i32_e64 s[10:11], s16, v6
	s_and_saveexec_b64 s[14:15], s[10:11]
	s_xor_b64 s[10:11], exec, s[14:15]
	s_cbranch_execz .LBB124_76
; %bb.75:
	s_movk_i32 s14, 0x210
	v_mov_b32_e32 v21, 0
	v_mad_u32_u24 v25, v6, s14, v14
	v_mov_b32_e32 v22, v21
	v_mov_b32_e32 v23, v21
	;; [unrolled: 1-line block ×3, first 2 shown]
	ds_write_b128 v25, v[21:24]
.LBB124_76:
	s_andn2_saveexec_b64 s[14:15], s[10:11]
	s_cbranch_execz .LBB124_78
; %bb.77:
	s_lshl_b64 s[10:11], s[20:21], 7
	v_mov_b32_e32 v22, s11
	v_add_co_u32_e64 v21, s[10:11], s10, v11
	v_addc_co_u32_e64 v22, s[10:11], v12, v22, s[10:11]
	global_load_dwordx4 v[21:24], v[21:22], off
	s_movk_i32 s10, 0x210
	v_mad_u32_u24 v25, v6, s10, v14
	s_waitcnt vmcnt(0)
	ds_write2_b64 v25, v[21:22], v[23:24] offset1:1
.LBB124_78:
	s_or_b64 exec, exec, s[14:15]
	v_add_u32_e32 v22, 16, v13
	v_cmp_le_i32_e64 s[10:11], s16, v22
	s_and_saveexec_b64 s[14:15], s[10:11]
	s_xor_b64 s[10:11], exec, s[14:15]
	s_cbranch_execz .LBB124_80
; %bb.79:
	s_movk_i32 s14, 0x210
	v_mov_b32_e32 v23, 0
	v_mad_u32_u24 v21, v22, s14, v14
	v_mov_b32_e32 v24, v23
	v_mov_b32_e32 v25, v23
	;; [unrolled: 1-line block ×3, first 2 shown]
	ds_write_b128 v21, v[23:26]
.LBB124_80:
	s_andn2_saveexec_b64 s[14:15], s[10:11]
	s_cbranch_execz .LBB124_82
; %bb.81:
	s_lshl_b64 s[10:11], s[20:21], 8
	v_mov_b32_e32 v21, s11
	v_add_co_u32_e64 v23, s[10:11], s10, v11
	v_addc_co_u32_e64 v24, s[10:11], v12, v21, s[10:11]
	global_load_dwordx4 v[23:26], v[23:24], off
	s_movk_i32 s10, 0x210
	v_mad_u32_u24 v21, v22, s10, v14
	s_waitcnt vmcnt(0)
	ds_write2_b64 v21, v[23:24], v[25:26] offset1:1
.LBB124_82:
	s_or_b64 exec, exec, s[14:15]
	v_add_u32_e32 v21, 24, v13
	v_cmp_le_i32_e64 s[10:11], s16, v21
	s_and_saveexec_b64 s[14:15], s[10:11]
	s_xor_b64 s[10:11], exec, s[14:15]
	s_cbranch_execz .LBB124_84
; %bb.83:
	s_movk_i32 s14, 0x210
	v_mov_b32_e32 v23, 0
	v_mad_u32_u24 v27, v21, s14, v14
	v_mov_b32_e32 v24, v23
	v_mov_b32_e32 v25, v23
	;; [unrolled: 1-line block ×3, first 2 shown]
	ds_write_b128 v27, v[23:26]
.LBB124_84:
	s_andn2_saveexec_b64 s[10:11], s[10:11]
	s_cbranch_execz .LBB124_86
; %bb.85:
	v_mov_b32_e32 v23, 0x180
	v_mad_u64_u32 v[23:24], s[14:15], s20, v23, v[11:12]
	s_mul_i32 s14, s21, 0x180
	v_add_u32_e32 v24, s14, v24
	global_load_dwordx4 v[23:26], v[23:24], off
	s_movk_i32 s14, 0x210
	v_mad_u32_u24 v27, v21, s14, v14
	s_waitcnt vmcnt(0)
	ds_write2_b64 v27, v[23:24], v[25:26] offset1:1
.LBB124_86:
	s_or_b64 exec, exec, s[10:11]
	v_add_co_u32_e64 v11, s[10:11], v11, v15
	v_addc_co_u32_e64 v12, s[10:11], 0, v12, s[10:11]
	v_mov_b32_e32 v15, s13
	v_subrev_co_u32_e64 v11, s[10:11], s12, v11
	v_subb_co_u32_e64 v12, s[10:11], v12, v15, s[10:11]
	v_add_co_u32_e64 v11, s[10:11], 16, v11
	v_addc_co_u32_e64 v12, s[10:11], 0, v12, s[10:11]
	v_cndmask_b32_e32 v43, v12, v10, vcc
	v_cndmask_b32_e32 v42, v11, v9, vcc
	s_branch .LBB124_92
.LBB124_87:
	ds_read_b128 v[19:22], v16
	s_waitcnt lgkmcnt(0)
	ds_write_b128 v9, v[19:22]
	s_or_b64 exec, exec, s[14:15]
	s_and_saveexec_b64 s[14:15], s[8:9]
	s_cbranch_execz .LBB124_64
.LBB124_88:
	ds_read_b128 v[19:22], v17
	s_waitcnt lgkmcnt(0)
	ds_write_b128 v9, v[19:22] offset:16
	s_or_b64 exec, exec, s[14:15]
	v_add_u32_e32 v19, 0x210, v17
	s_and_saveexec_b64 s[8:9], s[10:11]
	s_cbranch_execz .LBB124_65
.LBB124_89:
	ds_read_b128 v[20:23], v19
	s_waitcnt lgkmcnt(0)
	ds_write_b128 v9, v[20:23] offset:32
	s_or_b64 exec, exec, s[8:9]
	v_add_u32_e32 v20, 0x4700, v12
	s_and_saveexec_b64 s[8:9], s[12:13]
	s_cbranch_execnz .LBB124_66
	s_branch .LBB124_67
.LBB124_90:
                                        ; implicit-def: $vgpr42_vgpr43
                                        ; implicit-def: $vgpr6
                                        ; implicit-def: $vgpr22
                                        ; implicit-def: $vgpr21
	s_cbranch_execz .LBB124_92
; %bb.91:
	s_lshl_b64 s[10:11], s[20:21], 7
	v_mov_b32_e32 v12, s11
	v_add_co_u32_e32 v6, vcc, s10, v7
	v_addc_co_u32_e32 v7, vcc, v8, v12, vcc
	global_load_dwordx4 v[23:26], v[9:10], off
	global_load_dwordx4 v[27:30], v[6:7], off offset:-512
	v_add_co_u32_e32 v6, vcc, s10, v6
	v_addc_co_u32_e32 v7, vcc, v7, v12, vcc
	v_add_co_u32_e32 v11, vcc, s10, v6
	v_addc_co_u32_e32 v12, vcc, v7, v12, vcc
	global_load_dwordx4 v[31:34], v[6:7], off offset:-512
	global_load_dwordx4 v[48:51], v[11:12], off offset:-512
	v_add_u32_e32 v6, 8, v13
	s_movk_i32 s10, 0x210
	v_mov_b32_e32 v43, v10
	v_add_u32_e32 v22, 16, v13
	v_add_u32_e32 v21, 24, v13
	v_mad_u32_u24 v7, v6, s10, v14
	v_mov_b32_e32 v42, v9
	v_add_u32_e32 v8, 0x1080, v7
	v_add_u32_e32 v11, 0x2100, v7
	s_waitcnt vmcnt(3)
	ds_write2_b64 v18, v[23:24], v[25:26] offset1:1
	s_waitcnt vmcnt(2)
	ds_write2_b64 v7, v[27:28], v[29:30] offset1:1
	;; [unrolled: 2-line block ×4, first 2 shown]
.LBB124_92:
	v_lshlrev_b32_e32 v11, 4, v13
	v_add_u32_e32 v7, v45, v11
	s_waitcnt lgkmcnt(0)
	s_barrier
	ds_read_b128 v[7:10], v7
	ds_read_b128 v[11:14], v11 offset:18176
	v_lshlrev_b32_e32 v6, 4, v6
	v_add_u32_e32 v15, v45, v6
	ds_read_b128 v[23:26], v15
	ds_read_b128 v[27:30], v6 offset:18176
	v_lshlrev_b32_e32 v6, 4, v22
	s_waitcnt lgkmcnt(2)
	v_mul_f64 v[35:36], v[9:10], v[13:14]
	v_mul_f64 v[13:14], v[7:8], v[13:14]
	v_add_u32_e32 v15, v45, v6
	s_waitcnt lgkmcnt(0)
	v_mul_f64 v[52:53], v[25:26], v[29:30]
	ds_read_b128 v[31:34], v15
	ds_read_b128 v[48:51], v6 offset:18176
	v_mul_f64 v[29:30], v[23:24], v[29:30]
	v_fma_f64 v[6:7], v[7:8], v[11:12], -v[35:36]
	v_fma_f64 v[14:15], v[9:10], v[11:12], v[13:14]
	s_waitcnt lgkmcnt(0)
	v_mul_f64 v[35:36], v[33:34], v[50:51]
	v_fma_f64 v[22:23], v[23:24], v[27:28], -v[52:53]
	v_mul_f64 v[50:51], v[31:32], v[50:51]
	v_fma_f64 v[24:25], v[25:26], v[27:28], v[29:30]
	v_lshlrev_b32_e32 v10, 4, v21
	v_add_f64 v[52:53], v[6:7], 0
	v_add_f64 v[14:15], v[14:15], 0
	v_add_u32_e32 v6, v45, v10
	ds_read_b128 v[6:9], v6
	ds_read_b128 v[10:13], v10 offset:18176
	v_fma_f64 v[26:27], v[31:32], v[48:49], -v[35:36]
	v_fma_f64 v[30:31], v[33:34], v[48:49], v[50:51]
	v_add_f64 v[21:22], v[52:53], v[22:23]
	s_waitcnt lgkmcnt(0)
	v_mul_f64 v[28:29], v[8:9], v[12:13]
	v_mul_f64 v[12:13], v[6:7], v[12:13]
	v_add_f64 v[14:15], v[14:15], v[24:25]
	v_fma_f64 v[28:29], v[6:7], v[10:11], -v[28:29]
	v_fma_f64 v[10:11], v[8:9], v[10:11], v[12:13]
	v_add_f64 v[12:13], v[21:22], v[26:27]
	v_add_f64 v[14:15], v[14:15], v[30:31]
	ds_read_b128 v[22:25], v20 offset:528
	ds_read_b128 v[6:9], v20 offset:544
	;; [unrolled: 1-line block ×3, first 2 shown]
	ds_read_b128 v[34:37], v16
	v_add_f64 v[48:49], v[12:13], v[28:29]
	v_add_f64 v[50:51], v[14:15], v[10:11]
	ds_read_b128 v[10:13], v20 offset:560
	ds_read_b128 v[26:29], v17
	ds_read_b128 v[18:21], v19
	;; [unrolled: 1-line block ×3, first 2 shown]
	s_waitcnt lgkmcnt(0)
	s_barrier
	ds_write_b128 v46, v[48:51]
	s_waitcnt lgkmcnt(0)
	s_barrier
	s_and_saveexec_b64 s[10:11], s[8:9]
	s_cbranch_execz .LBB124_94
; %bb.93:
	ds_read_b128 v[47:50], v45
	ds_read_b128 v[51:54], v45 offset:16
	s_waitcnt lgkmcnt(1)
	v_add_f64 v[2:3], v[2:3], v[47:48]
	v_add_f64 v[4:5], v[4:5], v[49:50]
	s_waitcnt lgkmcnt(0)
	v_add_f64 v[51:52], v[2:3], v[51:52]
	v_add_f64 v[53:54], v[4:5], v[53:54]
	ds_read_b128 v[2:5], v45 offset:32
	ds_read_b128 v[47:50], v45 offset:48
	s_waitcnt lgkmcnt(1)
	v_add_f64 v[2:3], v[51:52], v[2:3]
	v_add_f64 v[4:5], v[53:54], v[4:5]
	s_waitcnt lgkmcnt(0)
	v_add_f64 v[51:52], v[2:3], v[47:48]
	v_add_f64 v[53:54], v[4:5], v[49:50]
	ds_read_b128 v[2:5], v45 offset:64
	;; [unrolled: 8-line block ×3, first 2 shown]
	ds_read_b128 v[47:50], v45 offset:112
	s_waitcnt lgkmcnt(1)
	v_add_f64 v[2:3], v[51:52], v[2:3]
	v_add_f64 v[4:5], v[53:54], v[4:5]
	s_waitcnt lgkmcnt(0)
	v_add_f64 v[2:3], v[2:3], v[47:48]
	v_add_f64 v[4:5], v[4:5], v[49:50]
.LBB124_94:
	s_or_b64 exec, exec, s[10:11]
	v_mul_f64 v[47:48], v[32:33], v[36:37]
	v_mul_f64 v[36:37], v[30:31], v[36:37]
	;; [unrolled: 1-line block ×4, first 2 shown]
	s_barrier
	v_fma_f64 v[30:31], v[30:31], v[34:35], -v[47:48]
	v_fma_f64 v[32:33], v[32:33], v[34:35], v[36:37]
	v_mul_f64 v[34:35], v[8:9], v[20:21]
	v_mul_f64 v[20:21], v[6:7], v[20:21]
	v_fma_f64 v[22:23], v[22:23], v[26:27], -v[49:50]
	v_fma_f64 v[24:25], v[24:25], v[26:27], v[28:29]
	v_add_f64 v[26:27], v[30:31], 0
	v_add_f64 v[28:29], v[32:33], 0
	v_mul_f64 v[30:31], v[12:13], v[16:17]
	v_mul_f64 v[16:17], v[10:11], v[16:17]
	v_fma_f64 v[6:7], v[6:7], v[18:19], -v[34:35]
	v_fma_f64 v[8:9], v[8:9], v[18:19], v[20:21]
	v_add_f64 v[18:19], v[26:27], v[22:23]
	v_add_f64 v[20:21], v[28:29], v[24:25]
	v_fma_f64 v[10:11], v[10:11], v[14:15], -v[30:31]
	v_fma_f64 v[12:13], v[12:13], v[14:15], v[16:17]
	v_add_f64 v[6:7], v[18:19], v[6:7]
	v_add_f64 v[8:9], v[20:21], v[8:9]
	;; [unrolled: 1-line block ×4, first 2 shown]
	ds_write_b128 v46, v[6:9]
	s_waitcnt lgkmcnt(0)
	s_barrier
	s_and_saveexec_b64 s[8:9], s[2:3]
	s_cbranch_execz .LBB124_96
; %bb.95:
	ds_read_b128 v[6:9], v45
	ds_read_b128 v[10:13], v45 offset:16
	s_waitcnt lgkmcnt(1)
	v_add_f64 v[2:3], v[2:3], v[6:7]
	v_add_f64 v[4:5], v[4:5], v[8:9]
	s_waitcnt lgkmcnt(0)
	v_add_f64 v[10:11], v[2:3], v[10:11]
	v_add_f64 v[12:13], v[4:5], v[12:13]
	ds_read_b128 v[2:5], v45 offset:32
	ds_read_b128 v[6:9], v45 offset:48
	s_waitcnt lgkmcnt(1)
	v_add_f64 v[2:3], v[10:11], v[2:3]
	v_add_f64 v[4:5], v[12:13], v[4:5]
	s_waitcnt lgkmcnt(0)
	v_add_f64 v[10:11], v[2:3], v[6:7]
	v_add_f64 v[12:13], v[4:5], v[8:9]
	ds_read_b128 v[2:5], v45 offset:64
	;; [unrolled: 8-line block ×3, first 2 shown]
	ds_read_b128 v[6:9], v45 offset:112
	s_waitcnt lgkmcnt(1)
	v_add_f64 v[2:3], v[10:11], v[2:3]
	v_add_f64 v[4:5], v[12:13], v[4:5]
	s_waitcnt lgkmcnt(0)
	v_add_f64 v[2:3], v[2:3], v[6:7]
	v_add_f64 v[4:5], v[4:5], v[8:9]
.LBB124_96:
	s_or_b64 exec, exec, s[8:9]
	s_load_dwordx2 s[2:3], s[4:5], 0x78
	s_mul_hi_u32 s4, s37, s7
	s_mul_i32 s38, s38, s7
	s_add_i32 s4, s4, s38
	s_mul_i32 s7, s37, s7
	s_mul_i32 s4, s4, s33
	s_mul_hi_u32 s5, s7, s33
	s_add_i32 s5, s5, s4
	s_mul_i32 s4, s7, s33
	s_lshl_b64 s[4:5], s[4:5], 4
	s_waitcnt lgkmcnt(0)
	s_add_u32 s4, s2, s4
	s_addc_u32 s5, s3, s5
	s_mul_hi_i32 s3, s37, s6
	s_mul_i32 s2, s37, s6
	s_lshl_b64 s[2:3], s[2:3], 4
	s_add_u32 s7, s4, s2
	s_addc_u32 s16, s5, s3
	s_add_i32 s2, s6, 1
	s_cmp_ge_u32 s2, s33
	v_lshlrev_b32_e32 v177, 4, v0
	s_barrier
	s_cbranch_scc1 .LBB124_154
; %bb.97:
	s_mul_i32 s2, s28, s27
	s_mul_hi_u32 s3, s28, s26
	s_add_i32 s2, s3, s2
	s_mul_i32 s3, s29, s26
	s_add_i32 s3, s2, s3
	s_mul_i32 s2, s28, s26
	s_lshl_b64 s[2:3], s[2:3], 4
	v_mov_b32_e32 v6, s3
	v_subrev_co_u32_e32 v179, vcc, s2, v40
	v_subb_co_u32_e32 v180, vcc, v41, v6, vcc
	v_lshrrev_b32_e32 v6, 4, v44
	v_lshlrev_b32_e32 v8, 6, v6
	v_mul_i32_i24_e32 v11, 0xffffffd0, v6
	v_and_b32_e32 v6, 48, v0
	v_and_b32_e32 v7, 15, v0
	v_lshlrev_b32_e32 v10, 6, v1
	s_movk_i32 s4, 0x430
	v_lshlrev_b32_e32 v6, 4, v6
	v_mad_u32_u24 v186, v7, s4, v6
	v_or_b32_e32 v6, 0xf0, v177
	v_add_u32_e32 v9, 0x200, v10
	v_mad_u32_u24 v185, v7, s4, v8
	v_mad_u32_u24 v187, v7, s4, v6
	v_mad_u64_u32 v[7:8], s[4:5], s20, v9, 0
	v_add_u32_e32 v13, 0x530, v10
	v_add_u32_e32 v182, 0x4300, v10
	v_mad_u64_u32 v[8:9], s[4:5], s21, v9, v[8:9]
	v_sub_co_u32_e32 v7, vcc, v7, v38
	v_subb_co_u32_e32 v9, vcc, v8, v39, vcc
	v_or_b32_e32 v12, 8, v7
	v_mad_u64_u32 v[7:8], s[4:5], s20, v13, 0
	v_add_co_u32_e32 v203, vcc, v42, v12
	v_addc_co_u32_e32 v204, vcc, v43, v9, vcc
	v_mad_u64_u32 v[8:9], s[4:5], s21, v13, v[8:9]
	v_sub_co_u32_e32 v9, vcc, v7, v38
	v_add_u32_e32 v13, 0x220, v10
	v_subb_co_u32_e32 v12, vcc, v8, v39, vcc
	v_mad_u64_u32 v[7:8], s[4:5], s20, v13, 0
	v_add_co_u32_e32 v205, vcc, v42, v9
	v_mad_u64_u32 v[8:9], s[4:5], s21, v13, v[8:9]
	v_addc_co_u32_e32 v206, vcc, v43, v12, vcc
	v_sub_co_u32_e32 v9, vcc, v7, v38
	v_add_u32_e32 v13, 0x520, v10
	v_subb_co_u32_e32 v12, vcc, v8, v39, vcc
	v_mad_u64_u32 v[7:8], s[4:5], s20, v13, 0
	v_add_co_u32_e32 v207, vcc, v42, v9
	v_mad_u64_u32 v[8:9], s[4:5], s21, v13, v[8:9]
	v_addc_co_u32_e32 v208, vcc, v43, v12, vcc
	;; [unrolled: 7-line block ×3, first 2 shown]
	v_sub_co_u32_e32 v7, vcc, v7, v38
	v_add_u32_e32 v13, 0x510, v10
	v_subb_co_u32_e32 v9, vcc, v8, v39, vcc
	v_or_b32_e32 v12, 8, v7
	v_mad_u64_u32 v[7:8], s[4:5], s20, v13, 0
	v_add_co_u32_e32 v211, vcc, v42, v12
	v_addc_co_u32_e32 v212, vcc, v43, v9, vcc
	v_mad_u64_u32 v[8:9], s[4:5], s21, v13, v[8:9]
	v_sub_co_u32_e32 v9, vcc, v7, v38
	v_add_u32_e32 v13, 0x230, v10
	v_subb_co_u32_e32 v12, vcc, v8, v39, vcc
	v_mad_u64_u32 v[7:8], s[4:5], s20, v13, 0
	v_add_co_u32_e32 v213, vcc, v42, v9
	v_mad_u64_u32 v[8:9], s[4:5], s21, v13, v[8:9]
	v_addc_co_u32_e32 v214, vcc, v43, v12, vcc
	v_sub_co_u32_e32 v7, vcc, v7, v38
	v_add_u32_e32 v13, 0x500, v10
	v_subb_co_u32_e32 v9, vcc, v8, v39, vcc
	v_or_b32_e32 v12, 8, v7
	v_mad_u64_u32 v[7:8], s[4:5], s20, v13, 0
	v_add_co_u32_e32 v215, vcc, v42, v12
	v_addc_co_u32_e32 v216, vcc, v43, v9, vcc
	v_mad_u64_u32 v[8:9], s[4:5], s21, v13, v[8:9]
	v_sub_co_u32_e32 v9, vcc, v7, v38
	v_add_u32_e32 v13, 0x300, v10
	v_subb_co_u32_e32 v12, vcc, v8, v39, vcc
	v_mad_u64_u32 v[7:8], s[4:5], s20, v13, 0
	v_add_co_u32_e32 v217, vcc, v42, v9
	v_mad_u64_u32 v[8:9], s[4:5], s21, v13, v[8:9]
	v_addc_co_u32_e32 v218, vcc, v43, v12, vcc
	;; [unrolled: 15-line block ×5, first 2 shown]
	v_sub_co_u32_e32 v7, vcc, v7, v38
	v_add_u32_e32 v10, 0x400, v10
	v_subb_co_u32_e32 v9, vcc, v8, v39, vcc
	v_or_b32_e32 v12, 8, v7
	v_mad_u64_u32 v[7:8], s[4:5], s20, v10, 0
	v_add_co_u32_e32 v231, vcc, v42, v12
	v_addc_co_u32_e32 v232, vcc, v43, v9, vcc
	v_mad_u64_u32 v[8:9], s[4:5], s21, v10, v[8:9]
	v_sub_co_u32_e32 v7, vcc, v7, v38
	v_subb_co_u32_e32 v8, vcc, v8, v39, vcc
	v_or_b32_e32 v7, 8, v7
	v_lshlrev_b32_e32 v178, 2, v1
	s_movk_i32 s2, 0x10c0
	v_add_co_u32_e32 v233, vcc, v42, v7
	s_add_i32 s17, s33, -2
	v_add_u32_e32 v181, 0x4300, v177
	v_add_u32_e32 v183, 0x4700, v177
	v_mad_u32_u24 v184, v1, s2, v177
	v_cmp_gt_u32_e64 s[2:3], 64, v44
	v_or_b32_e32 v188, 1, v178
	v_or_b32_e32 v189, 2, v178
	;; [unrolled: 1-line block ×3, first 2 shown]
	v_add_u32_e32 v191, 16, v178
	v_add_u32_e32 v192, 17, v178
	;; [unrolled: 1-line block ×12, first 2 shown]
	s_add_i32 s22, s26, 64
	v_mov_b32_e32 v6, 0
	s_lshl_b64 s[10:11], s[20:21], 10
	v_addc_co_u32_e32 v234, vcc, v43, v8, vcc
	v_add_u32_e32 v235, v185, v11
	s_cmp_eq_u32 s17, s6
	s_cselect_b32 s20, s36, 0
	s_and_saveexec_b64 s[4:5], s[0:1]
	s_cbranch_execz .LBB124_102
.LBB124_98:
	s_cmp_lg_u32 s20, 0
	s_cselect_b64 s[8:9], -1, 0
	v_cmp_le_i32_e32 vcc, s20, v0
	s_and_b64 s[8:9], s[8:9], vcc
	s_and_saveexec_b64 s[12:13], s[8:9]
	s_xor_b64 s[8:9], exec, s[12:13]
; %bb.99:
	v_mov_b32_e32 v7, v6
	v_mov_b32_e32 v8, v6
	;; [unrolled: 1-line block ×3, first 2 shown]
	ds_write_b128 v181, v[6:9]
; %bb.100:
	s_andn2_saveexec_b64 s[8:9], s[8:9]
	s_cbranch_execz .LBB124_102
; %bb.101:
	s_ashr_i32 s8, s22, 31
	s_mul_hi_u32 s9, s28, s22
	s_mul_i32 s8, s28, s8
	s_add_i32 s8, s9, s8
	s_mul_i32 s9, s29, s22
	s_add_i32 s9, s8, s9
	s_mul_i32 s8, s28, s22
	s_lshl_b64 s[8:9], s[8:9], 4
	v_mov_b32_e32 v8, s9
	v_add_co_u32_e32 v7, vcc, s8, v179
	v_addc_co_u32_e32 v8, vcc, v180, v8, vcc
	global_load_dwordx4 v[7:10], v[7:8], off
	s_waitcnt vmcnt(0)
	ds_write2_b64 v181, v[7:8], v[9:10] offset1:1
.LBB124_102:                            ; =>This Inner Loop Header: Depth=1
	s_or_b64 exec, exec, s[4:5]
	s_cmp_eq_u32 s20, 0
	v_add_co_u32_e32 v19, vcc, v203, v177
	s_cselect_b64 s[12:13], -1, 0
	s_cmp_lg_u32 s20, 0
	v_addc_co_u32_e32 v20, vcc, 0, v204, vcc
	s_cselect_b64 s[8:9], -1, 0
	s_and_b64 vcc, exec, s[8:9]
	s_waitcnt lgkmcnt(0)
	s_barrier
	s_cbranch_vccz .LBB124_110
; %bb.103:                              ;   in Loop: Header=BB124_102 Depth=1
	v_mov_b32_e32 v11, 0
	v_mov_b32_e32 v7, 0
	;; [unrolled: 1-line block ×6, first 2 shown]
	v_cmp_gt_i32_e32 vcc, s20, v178
	s_and_saveexec_b64 s[4:5], vcc
	s_cbranch_execz .LBB124_105
; %bb.104:                              ;   in Loop: Header=BB124_102 Depth=1
	global_load_dwordx4 v[7:10], v[19:20], off offset:-8
.LBB124_105:                            ;   in Loop: Header=BB124_102 Depth=1
	s_or_b64 exec, exec, s[4:5]
	v_mov_b32_e32 v13, 0
	v_mov_b32_e32 v14, 0
	v_cmp_gt_i32_e32 vcc, s20, v188
	s_and_saveexec_b64 s[4:5], vcc
	s_cbranch_execz .LBB124_107
; %bb.106:                              ;   in Loop: Header=BB124_102 Depth=1
	v_add_co_u32_e32 v11, vcc, v211, v177
	v_addc_co_u32_e32 v12, vcc, 0, v212, vcc
	global_load_dwordx4 v[11:14], v[11:12], off offset:-8
.LBB124_107:                            ;   in Loop: Header=BB124_102 Depth=1
	s_or_b64 exec, exec, s[4:5]
	v_mov_b32_e32 v15, 0
	v_mov_b32_e32 v17, 0
	;; [unrolled: 1-line block ×4, first 2 shown]
	v_cmp_gt_i32_e32 vcc, s20, v189
	s_and_saveexec_b64 s[4:5], vcc
	s_cbranch_execz .LBB124_109
; %bb.108:                              ;   in Loop: Header=BB124_102 Depth=1
	v_add_co_u32_e32 v15, vcc, v207, v177
	v_addc_co_u32_e32 v16, vcc, 0, v208, vcc
	global_load_dwordx4 v[15:18], v[15:16], off
.LBB124_109:                            ;   in Loop: Header=BB124_102 Depth=1
	s_or_b64 exec, exec, s[4:5]
	v_cmp_gt_i32_e64 s[4:5], s20, v190
	s_branch .LBB124_112
.LBB124_110:                            ;   in Loop: Header=BB124_102 Depth=1
	s_mov_b64 s[4:5], 0
                                        ; implicit-def: $vgpr17_vgpr18
                                        ; implicit-def: $vgpr13_vgpr14
                                        ; implicit-def: $vgpr9_vgpr10
	s_cbranch_execz .LBB124_112
; %bb.111:                              ;   in Loop: Header=BB124_102 Depth=1
	s_waitcnt vmcnt(0)
	v_add_co_u32_e32 v11, vcc, v211, v177
	v_addc_co_u32_e32 v12, vcc, 0, v212, vcc
	v_add_co_u32_e32 v15, vcc, v207, v177
	v_addc_co_u32_e32 v16, vcc, 0, v208, vcc
	global_load_dwordx4 v[7:10], v[19:20], off offset:-8
	s_or_b64 s[4:5], s[4:5], exec
	global_load_dwordx4 v[11:14], v[11:12], off offset:-8
	s_nop 0
	global_load_dwordx4 v[15:18], v[15:16], off
.LBB124_112:                            ;   in Loop: Header=BB124_102 Depth=1
	v_mov_b32_e32 v19, 0
	v_mov_b32_e32 v21, 0
	;; [unrolled: 1-line block ×4, first 2 shown]
	s_and_saveexec_b64 s[14:15], s[4:5]
	s_cbranch_execz .LBB124_114
; %bb.113:                              ;   in Loop: Header=BB124_102 Depth=1
	v_add_co_u32_e32 v19, vcc, v215, v177
	v_addc_co_u32_e32 v20, vcc, 0, v216, vcc
	global_load_dwordx4 v[19:22], v[19:20], off offset:-8
.LBB124_114:                            ;   in Loop: Header=BB124_102 Depth=1
	s_or_b64 exec, exec, s[14:15]
	ds_read_b128 v[23:26], v183
	s_andn2_b64 vcc, exec, s[8:9]
	s_waitcnt vmcnt(0) lgkmcnt(0)
	v_mul_f64 v[27:28], v[9:10], v[25:26]
	v_mul_f64 v[29:30], v[7:8], v[25:26]
	;; [unrolled: 1-line block ×8, first 2 shown]
	v_fma_f64 v[27:28], v[7:8], v[23:24], -v[27:28]
	v_fma_f64 v[29:30], v[9:10], v[23:24], v[29:30]
	v_fma_f64 v[31:32], v[11:12], v[23:24], -v[31:32]
	v_fma_f64 v[33:34], v[13:14], v[23:24], v[33:34]
	v_fma_f64 v[39:40], v[15:16], v[23:24], -v[35:36]
	v_fma_f64 v[41:42], v[17:18], v[23:24], v[37:38]
	v_fma_f64 v[51:52], v[19:20], v[23:24], -v[43:44]
	v_fma_f64 v[53:54], v[21:22], v[23:24], v[25:26]
	ds_read_b128 v[47:50], v182
	ds_read_b128 v[43:46], v182 offset:16
	ds_read_b128 v[35:38], v182 offset:32
	;; [unrolled: 1-line block ×3, first 2 shown]
	ds_write_b128 v184, v[27:30]
	ds_write_b128 v184, v[31:34] offset:1072
	ds_write_b128 v184, v[39:42] offset:2144
	;; [unrolled: 1-line block ×3, first 2 shown]
	s_waitcnt lgkmcnt(0)
	s_barrier
	ds_read_b128 v[95:98], v185
	ds_read_b128 v[91:94], v185 offset:16
	ds_read_b128 v[87:90], v185 offset:32
	;; [unrolled: 1-line block ×3, first 2 shown]
	v_cndmask_b32_e64 v27, 0, 1, s[8:9]
	v_add_co_u32_e64 v51, s[8:9], v219, v177
	v_cmp_ne_u32_e64 s[4:5], 1, v27
	v_addc_co_u32_e64 v52, s[8:9], 0, v220, s[8:9]
	s_waitcnt lgkmcnt(0)
	s_barrier
	s_cbranch_vccnz .LBB124_122
; %bb.115:                              ;   in Loop: Header=BB124_102 Depth=1
	v_mov_b32_e32 v27, 0
	v_mov_b32_e32 v31, 0
	;; [unrolled: 1-line block ×6, first 2 shown]
	v_cmp_gt_i32_e32 vcc, s20, v191
	s_and_saveexec_b64 s[8:9], vcc
	s_cbranch_execz .LBB124_117
; %bb.116:                              ;   in Loop: Header=BB124_102 Depth=1
	global_load_dwordx4 v[31:34], v[51:52], off offset:-8
.LBB124_117:                            ;   in Loop: Header=BB124_102 Depth=1
	s_or_b64 exec, exec, s[8:9]
	v_mov_b32_e32 v29, 0
	v_mov_b32_e32 v30, 0
	v_cmp_gt_i32_e32 vcc, s20, v192
	s_and_saveexec_b64 s[8:9], vcc
	s_cbranch_execz .LBB124_119
; %bb.118:                              ;   in Loop: Header=BB124_102 Depth=1
	v_add_co_u32_e32 v27, vcc, v223, v177
	v_addc_co_u32_e32 v28, vcc, 0, v224, vcc
	global_load_dwordx4 v[27:30], v[27:28], off offset:-8
.LBB124_119:                            ;   in Loop: Header=BB124_102 Depth=1
	s_or_b64 exec, exec, s[8:9]
	v_mov_b32_e32 v39, 0
	v_mov_b32_e32 v41, 0
	;; [unrolled: 1-line block ×4, first 2 shown]
	v_cmp_gt_i32_e32 vcc, s20, v193
	s_and_saveexec_b64 s[8:9], vcc
	s_cbranch_execz .LBB124_121
; %bb.120:                              ;   in Loop: Header=BB124_102 Depth=1
	v_add_co_u32_e32 v39, vcc, v227, v177
	v_addc_co_u32_e32 v40, vcc, 0, v228, vcc
	global_load_dwordx4 v[39:42], v[39:40], off offset:-8
.LBB124_121:                            ;   in Loop: Header=BB124_102 Depth=1
	s_or_b64 exec, exec, s[8:9]
	v_cmp_gt_i32_e64 s[8:9], s20, v194
	s_branch .LBB124_124
.LBB124_122:                            ;   in Loop: Header=BB124_102 Depth=1
	s_mov_b64 s[8:9], 0
                                        ; implicit-def: $vgpr41_vgpr42
                                        ; implicit-def: $vgpr29_vgpr30
                                        ; implicit-def: $vgpr33_vgpr34
	s_cbranch_execz .LBB124_124
; %bb.123:                              ;   in Loop: Header=BB124_102 Depth=1
	s_waitcnt vmcnt(0)
	v_add_co_u32_e32 v27, vcc, v223, v177
	v_addc_co_u32_e32 v28, vcc, 0, v224, vcc
	v_add_co_u32_e32 v39, vcc, v227, v177
	v_addc_co_u32_e32 v40, vcc, 0, v228, vcc
	global_load_dwordx4 v[31:34], v[51:52], off offset:-8
	s_or_b64 s[8:9], s[8:9], exec
	global_load_dwordx4 v[27:30], v[27:28], off offset:-8
	s_nop 0
	global_load_dwordx4 v[39:42], v[39:40], off offset:-8
.LBB124_124:                            ;   in Loop: Header=BB124_102 Depth=1
	v_mov_b32_e32 v51, 0
	v_mov_b32_e32 v53, 0
	;; [unrolled: 1-line block ×4, first 2 shown]
	s_and_saveexec_b64 s[14:15], s[8:9]
	s_cbranch_execz .LBB124_126
; %bb.125:                              ;   in Loop: Header=BB124_102 Depth=1
	v_add_co_u32_e32 v51, vcc, v231, v177
	v_addc_co_u32_e32 v52, vcc, 0, v232, vcc
	global_load_dwordx4 v[51:54], v[51:52], off offset:-8
.LBB124_126:                            ;   in Loop: Header=BB124_102 Depth=1
	s_or_b64 exec, exec, s[14:15]
	ds_read_b128 v[55:58], v183
	s_and_b64 vcc, exec, s[4:5]
	s_waitcnt vmcnt(0) lgkmcnt(0)
	v_mul_f64 v[59:60], v[33:34], v[57:58]
	v_mul_f64 v[61:62], v[31:32], v[57:58]
	;; [unrolled: 1-line block ×8, first 2 shown]
	v_fma_f64 v[63:64], v[31:32], v[55:56], -v[59:60]
	v_fma_f64 v[65:66], v[33:34], v[55:56], v[61:62]
	v_fma_f64 v[67:68], v[27:28], v[55:56], -v[67:68]
	v_fma_f64 v[69:70], v[29:30], v[55:56], v[69:70]
	;; [unrolled: 2-line block ×4, first 2 shown]
	ds_read_b128 v[75:78], v182 offset:256
	ds_read_b128 v[71:74], v182 offset:272
	;; [unrolled: 1-line block ×4, first 2 shown]
	ds_write_b128 v184, v[63:66]
	ds_write_b128 v184, v[67:70] offset:1072
	ds_write_b128 v184, v[79:82] offset:2144
	;; [unrolled: 1-line block ×3, first 2 shown]
	s_waitcnt lgkmcnt(0)
	s_barrier
	ds_read_b128 v[147:150], v185
	ds_read_b128 v[139:142], v185 offset:16
	ds_read_b128 v[135:138], v185 offset:32
	;; [unrolled: 1-line block ×3, first 2 shown]
	v_add_co_u32_e64 v99, s[8:9], v233, v177
	v_addc_co_u32_e64 v100, s[8:9], 0, v234, s[8:9]
	s_waitcnt lgkmcnt(0)
	s_barrier
	s_cbranch_vccnz .LBB124_134
; %bb.127:                              ;   in Loop: Header=BB124_102 Depth=1
	v_mov_b32_e32 v67, 0
	v_mov_b32_e32 v63, 0
	;; [unrolled: 1-line block ×6, first 2 shown]
	v_cmp_gt_i32_e32 vcc, s20, v195
	s_and_saveexec_b64 s[8:9], vcc
	s_cbranch_execz .LBB124_129
; %bb.128:                              ;   in Loop: Header=BB124_102 Depth=1
	global_load_dwordx4 v[63:66], v[99:100], off offset:-8
.LBB124_129:                            ;   in Loop: Header=BB124_102 Depth=1
	s_or_b64 exec, exec, s[8:9]
	v_mov_b32_e32 v69, 0
	v_mov_b32_e32 v70, 0
	v_cmp_gt_i32_e32 vcc, s20, v196
	s_and_saveexec_b64 s[8:9], vcc
	s_cbranch_execz .LBB124_131
; %bb.130:                              ;   in Loop: Header=BB124_102 Depth=1
	v_add_co_u32_e32 v67, vcc, v229, v177
	v_addc_co_u32_e32 v68, vcc, 0, v230, vcc
	global_load_dwordx4 v[67:70], v[67:68], off
.LBB124_131:                            ;   in Loop: Header=BB124_102 Depth=1
	s_or_b64 exec, exec, s[8:9]
	v_mov_b32_e32 v79, 0
	v_mov_b32_e32 v81, 0
	;; [unrolled: 1-line block ×4, first 2 shown]
	v_cmp_gt_i32_e32 vcc, s20, v197
	s_and_saveexec_b64 s[8:9], vcc
	s_cbranch_execz .LBB124_133
; %bb.132:                              ;   in Loop: Header=BB124_102 Depth=1
	v_add_co_u32_e32 v79, vcc, v225, v177
	v_addc_co_u32_e32 v80, vcc, 0, v226, vcc
	global_load_dwordx4 v[79:82], v[79:80], off
.LBB124_133:                            ;   in Loop: Header=BB124_102 Depth=1
	s_or_b64 exec, exec, s[8:9]
	v_cmp_gt_i32_e64 s[8:9], s20, v198
	s_branch .LBB124_136
.LBB124_134:                            ;   in Loop: Header=BB124_102 Depth=1
	s_mov_b64 s[8:9], 0
                                        ; implicit-def: $vgpr81_vgpr82
                                        ; implicit-def: $vgpr69_vgpr70
                                        ; implicit-def: $vgpr65_vgpr66
	s_cbranch_execz .LBB124_136
; %bb.135:                              ;   in Loop: Header=BB124_102 Depth=1
	s_waitcnt vmcnt(0)
	v_add_co_u32_e32 v67, vcc, v229, v177
	v_addc_co_u32_e32 v68, vcc, 0, v230, vcc
	v_add_co_u32_e32 v79, vcc, v225, v177
	v_addc_co_u32_e32 v80, vcc, 0, v226, vcc
	global_load_dwordx4 v[63:66], v[99:100], off offset:-8
	s_or_b64 s[8:9], s[8:9], exec
	global_load_dwordx4 v[67:70], v[67:68], off
	s_nop 0
	global_load_dwordx4 v[79:82], v[79:80], off
.LBB124_136:                            ;   in Loop: Header=BB124_102 Depth=1
	v_mov_b32_e32 v99, 0
	v_mov_b32_e32 v101, 0
	;; [unrolled: 1-line block ×4, first 2 shown]
	s_and_saveexec_b64 s[14:15], s[8:9]
	s_cbranch_execz .LBB124_138
; %bb.137:                              ;   in Loop: Header=BB124_102 Depth=1
	v_add_co_u32_e32 v99, vcc, v221, v177
	v_addc_co_u32_e32 v100, vcc, 0, v222, vcc
	global_load_dwordx4 v[99:102], v[99:100], off
.LBB124_138:                            ;   in Loop: Header=BB124_102 Depth=1
	s_or_b64 exec, exec, s[14:15]
	ds_read_b128 v[103:106], v183
	s_and_b64 vcc, exec, s[4:5]
	s_waitcnt vmcnt(0) lgkmcnt(0)
	v_mul_f64 v[107:108], v[65:66], v[105:106]
	v_mul_f64 v[109:110], v[63:64], v[105:106]
	;; [unrolled: 1-line block ×8, first 2 shown]
	v_fma_f64 v[119:120], v[63:64], v[103:104], -v[107:108]
	v_fma_f64 v[121:122], v[65:66], v[103:104], v[109:110]
	v_fma_f64 v[123:124], v[67:68], v[103:104], -v[111:112]
	v_fma_f64 v[125:126], v[69:70], v[103:104], v[113:114]
	;; [unrolled: 2-line block ×4, first 2 shown]
	ds_read_b128 v[115:118], v182 offset:512
	ds_read_b128 v[111:114], v182 offset:528
	ds_read_b128 v[107:110], v182 offset:544
	ds_read_b128 v[103:106], v182 offset:560
	ds_write_b128 v184, v[119:122]
	ds_write_b128 v184, v[123:126] offset:1072
	ds_write_b128 v184, v[127:130] offset:2144
	;; [unrolled: 1-line block ×3, first 2 shown]
	s_waitcnt lgkmcnt(0)
	s_barrier
	ds_read_b128 v[155:158], v185
	ds_read_b128 v[151:154], v185 offset:16
	ds_read_b128 v[171:174], v185 offset:32
	;; [unrolled: 1-line block ×3, first 2 shown]
	v_add_co_u32_e64 v143, s[4:5], v217, v177
	v_addc_co_u32_e64 v144, s[4:5], 0, v218, s[4:5]
	s_waitcnt lgkmcnt(0)
	s_barrier
	s_cbranch_vccnz .LBB124_146
; %bb.139:                              ;   in Loop: Header=BB124_102 Depth=1
	v_mov_b32_e32 v123, 0
	v_mov_b32_e32 v119, 0
	;; [unrolled: 1-line block ×6, first 2 shown]
	v_cmp_gt_i32_e32 vcc, s20, v199
	s_and_saveexec_b64 s[4:5], vcc
	s_cbranch_execz .LBB124_141
; %bb.140:                              ;   in Loop: Header=BB124_102 Depth=1
	global_load_dwordx4 v[119:122], v[143:144], off
.LBB124_141:                            ;   in Loop: Header=BB124_102 Depth=1
	s_or_b64 exec, exec, s[4:5]
	v_mov_b32_e32 v125, 0
	v_mov_b32_e32 v126, 0
	v_cmp_gt_i32_e32 vcc, s20, v200
	s_and_saveexec_b64 s[4:5], vcc
	s_cbranch_execz .LBB124_143
; %bb.142:                              ;   in Loop: Header=BB124_102 Depth=1
	v_add_co_u32_e32 v123, vcc, v213, v177
	v_addc_co_u32_e32 v124, vcc, 0, v214, vcc
	global_load_dwordx4 v[123:126], v[123:124], off
.LBB124_143:                            ;   in Loop: Header=BB124_102 Depth=1
	s_or_b64 exec, exec, s[4:5]
	v_mov_b32_e32 v127, 0
	v_mov_b32_e32 v129, 0
	;; [unrolled: 1-line block ×4, first 2 shown]
	v_cmp_gt_i32_e32 vcc, s20, v201
	s_and_saveexec_b64 s[4:5], vcc
	s_cbranch_execz .LBB124_145
; %bb.144:                              ;   in Loop: Header=BB124_102 Depth=1
	v_add_co_u32_e32 v127, vcc, v209, v177
	v_addc_co_u32_e32 v128, vcc, 0, v210, vcc
	global_load_dwordx4 v[127:130], v[127:128], off
.LBB124_145:                            ;   in Loop: Header=BB124_102 Depth=1
	s_or_b64 exec, exec, s[4:5]
	v_cmp_gt_i32_e64 s[4:5], s20, v202
	s_branch .LBB124_148
.LBB124_146:                            ;   in Loop: Header=BB124_102 Depth=1
	s_mov_b64 s[4:5], 0
                                        ; implicit-def: $vgpr129_vgpr130
                                        ; implicit-def: $vgpr125_vgpr126
                                        ; implicit-def: $vgpr121_vgpr122
	s_cbranch_execz .LBB124_148
; %bb.147:                              ;   in Loop: Header=BB124_102 Depth=1
	s_waitcnt vmcnt(0)
	v_add_co_u32_e32 v123, vcc, v213, v177
	v_addc_co_u32_e32 v124, vcc, 0, v214, vcc
	v_add_co_u32_e32 v127, vcc, v209, v177
	v_addc_co_u32_e32 v128, vcc, 0, v210, vcc
	global_load_dwordx4 v[119:122], v[143:144], off
	s_or_b64 s[4:5], s[4:5], exec
	global_load_dwordx4 v[123:126], v[123:124], off
	s_nop 0
	global_load_dwordx4 v[127:130], v[127:128], off
.LBB124_148:                            ;   in Loop: Header=BB124_102 Depth=1
	v_mov_b32_e32 v143, 0
	v_mov_b32_e32 v145, 0
	;; [unrolled: 1-line block ×4, first 2 shown]
	s_and_saveexec_b64 s[8:9], s[4:5]
	s_cbranch_execz .LBB124_150
; %bb.149:                              ;   in Loop: Header=BB124_102 Depth=1
	v_add_co_u32_e32 v143, vcc, v205, v177
	v_addc_co_u32_e32 v144, vcc, 0, v206, vcc
	global_load_dwordx4 v[143:146], v[143:144], off
.LBB124_150:                            ;   in Loop: Header=BB124_102 Depth=1
	s_or_b64 exec, exec, s[8:9]
	v_add_f64 v[155:156], v[155:156], 0
	v_add_f64 v[157:158], v[157:158], 0
	ds_read_b128 v[159:162], v183
	v_add_f64 v[147:148], v[147:148], 0
	v_add_f64 v[149:150], v[149:150], 0
	v_cmp_gt_i32_e32 vcc, s20, v0
	s_or_b64 s[4:5], s[12:13], vcc
	s_waitcnt vmcnt(0) lgkmcnt(0)
	v_mul_f64 v[163:164], v[121:122], v[161:162]
	v_mul_f64 v[165:166], v[119:120], v[161:162]
	;; [unrolled: 1-line block ×3, first 2 shown]
	v_add_f64 v[252:253], v[155:156], v[151:152]
	v_mul_f64 v[151:152], v[123:124], v[161:162]
	v_add_f64 v[254:255], v[157:158], v[153:154]
	v_mul_f64 v[153:154], v[129:130], v[161:162]
	v_mul_f64 v[155:156], v[127:128], v[161:162]
	;; [unrolled: 1-line block ×4, first 2 shown]
	v_fma_f64 v[236:237], v[119:120], v[159:160], -v[163:164]
	v_fma_f64 v[238:239], v[121:122], v[159:160], v[165:166]
	v_fma_f64 v[240:241], v[123:124], v[159:160], -v[240:241]
	v_fma_f64 v[242:243], v[125:126], v[159:160], v[151:152]
	;; [unrolled: 2-line block ×4, first 2 shown]
	ds_read_b128 v[163:166], v182 offset:768
	ds_read_b128 v[159:162], v182 offset:784
	;; [unrolled: 1-line block ×4, first 2 shown]
	ds_write_b128 v184, v[236:239]
	ds_write_b128 v184, v[240:243] offset:1072
	ds_write_b128 v184, v[244:247] offset:2144
	;; [unrolled: 1-line block ×3, first 2 shown]
	s_waitcnt lgkmcnt(0)
	s_barrier
	ds_read_b128 v[236:239], v185
	v_add_f64 v[240:241], v[95:96], 0
	v_add_f64 v[242:243], v[97:98], 0
	ds_read_b128 v[95:98], v185 offset:16
	v_add_f64 v[139:140], v[147:148], v[139:140]
	s_waitcnt lgkmcnt(1)
	v_add_f64 v[236:237], v[236:237], 0
	v_add_f64 v[238:239], v[238:239], 0
	;; [unrolled: 1-line block ×6, first 2 shown]
	ds_read_b128 v[91:94], v185 offset:32
	v_add_f64 v[135:136], v[139:140], v[135:136]
	s_waitcnt lgkmcnt(1)
	v_add_f64 v[95:96], v[236:237], v[95:96]
	v_add_f64 v[97:98], v[238:239], v[97:98]
	v_add_f64 v[173:174], v[254:255], v[173:174]
	v_add_f64 v[137:138], v[141:142], v[137:138]
	v_add_f64 v[139:140], v[149:150], v[87:88]
	v_add_f64 v[141:142], v[171:172], v[89:90]
	ds_read_b128 v[87:90], v185 offset:48
	s_and_b64 s[8:9], s[2:3], s[4:5]
	s_waitcnt lgkmcnt(1)
	v_add_f64 v[149:150], v[95:96], v[91:92]
	v_add_f64 v[171:172], v[97:98], v[93:94]
	;; [unrolled: 1-line block ×8, first 2 shown]
	s_waitcnt lgkmcnt(0)
	v_add_f64 v[87:88], v[149:150], v[87:88]
	v_add_f64 v[89:90], v[171:172], v[89:90]
	s_barrier
	ds_write_b128 v235, v[83:86]
	ds_write_b128 v235, v[95:98] offset:256
	ds_write_b128 v235, v[91:94] offset:512
	;; [unrolled: 1-line block ×3, first 2 shown]
	s_waitcnt lgkmcnt(0)
	s_barrier
	s_and_saveexec_b64 s[4:5], s[8:9]
	s_cbranch_execz .LBB124_152
; %bb.151:                              ;   in Loop: Header=BB124_102 Depth=1
	ds_read_b128 v[83:86], v186
	ds_read_b128 v[87:90], v186 offset:16
	s_waitcnt lgkmcnt(0)
	v_add_f64 v[91:92], v[87:88], v[83:84]
	v_add_f64 v[93:94], v[89:90], v[85:86]
	ds_read_b128 v[83:86], v186 offset:32
	ds_read_b128 v[87:90], v186 offset:48
	s_waitcnt lgkmcnt(1)
	v_add_f64 v[83:84], v[91:92], v[83:84]
	v_add_f64 v[85:86], v[93:94], v[85:86]
	s_waitcnt lgkmcnt(0)
	v_add_f64 v[91:92], v[83:84], v[87:88]
	v_add_f64 v[93:94], v[85:86], v[89:90]
	ds_read_b128 v[83:86], v186 offset:64
	ds_read_b128 v[87:90], v186 offset:80
	s_waitcnt lgkmcnt(1)
	v_add_f64 v[83:84], v[91:92], v[83:84]
	v_add_f64 v[85:86], v[93:94], v[85:86]
	;; [unrolled: 8-line block ×6, first 2 shown]
	s_waitcnt lgkmcnt(0)
	v_add_f64 v[91:92], v[83:84], v[87:88]
	v_add_f64 v[93:94], v[85:86], v[89:90]
	ds_read_b128 v[83:86], v186 offset:224
	ds_read_b128 v[87:90], v187
	s_waitcnt lgkmcnt(1)
	v_add_f64 v[83:84], v[91:92], v[83:84]
	v_add_f64 v[85:86], v[93:94], v[85:86]
	s_waitcnt lgkmcnt(0)
	v_add_f64 v[83:84], v[83:84], v[87:88]
	v_add_f64 v[85:86], v[85:86], v[89:90]
	v_add_u32_e32 v87, s22, v0
	v_ashrrev_i32_e32 v88, 31, v87
	v_lshlrev_b64 v[87:88], 4, v[87:88]
	v_mov_b32_e32 v89, s16
	v_add_co_u32_e32 v87, vcc, s7, v87
	v_addc_co_u32_e32 v88, vcc, v89, v88, vcc
	global_store_dwordx4 v[87:88], v[83:86], off
.LBB124_152:                            ;   in Loop: Header=BB124_102 Depth=1
	s_or_b64 exec, exec, s[4:5]
	v_mul_f64 v[83:84], v[9:10], v[49:50]
	v_mul_f64 v[49:50], v[7:8], v[49:50]
	;; [unrolled: 1-line block ×4, first 2 shown]
	v_add_co_u32_e32 v203, vcc, s10, v203
	s_add_i32 s4, s6, 1
	s_add_i32 s22, s22, 64
	v_fma_f64 v[7:8], v[7:8], v[47:48], -v[83:84]
	v_fma_f64 v[9:10], v[9:10], v[47:48], v[49:50]
	v_mul_f64 v[47:48], v[17:18], v[37:38]
	v_mul_f64 v[37:38], v[15:16], v[37:38]
	v_fma_f64 v[11:12], v[11:12], v[43:44], -v[85:86]
	v_fma_f64 v[13:14], v[13:14], v[43:44], v[45:46]
	v_mul_f64 v[49:50], v[21:22], v[25:26]
	v_mul_f64 v[43:44], v[29:30], v[73:74]
	v_add_f64 v[2:3], v[2:3], v[7:8]
	v_add_f64 v[4:5], v[4:5], v[9:10]
	v_mul_f64 v[7:8], v[19:20], v[25:26]
	v_fma_f64 v[15:16], v[15:16], v[35:36], -v[47:48]
	v_fma_f64 v[17:18], v[17:18], v[35:36], v[37:38]
	v_mul_f64 v[9:10], v[33:34], v[77:78]
	v_mul_f64 v[25:26], v[31:32], v[77:78]
	v_fma_f64 v[19:20], v[19:20], v[23:24], -v[49:50]
	v_add_f64 v[2:3], v[2:3], v[11:12]
	v_add_f64 v[4:5], v[4:5], v[13:14]
	v_fma_f64 v[7:8], v[21:22], v[23:24], v[7:8]
	v_mul_f64 v[11:12], v[27:28], v[73:74]
	v_mul_f64 v[13:14], v[41:42], v[61:62]
	v_fma_f64 v[9:10], v[31:32], v[75:76], -v[9:10]
	v_fma_f64 v[25:26], v[33:34], v[75:76], v[25:26]
	v_mul_f64 v[35:36], v[39:40], v[61:62]
	v_add_f64 v[2:3], v[2:3], v[15:16]
	v_add_f64 v[4:5], v[4:5], v[17:18]
	v_fma_f64 v[27:28], v[27:28], v[71:72], -v[43:44]
	v_fma_f64 v[11:12], v[29:30], v[71:72], v[11:12]
	v_mul_f64 v[37:38], v[53:54], v[57:58]
	v_mul_f64 v[15:16], v[51:52], v[57:58]
	v_fma_f64 v[13:14], v[39:40], v[59:60], -v[13:14]
	v_fma_f64 v[35:36], v[41:42], v[59:60], v[35:36]
	v_add_f64 v[2:3], v[2:3], v[19:20]
	v_add_f64 v[4:5], v[4:5], v[7:8]
	v_mul_f64 v[17:18], v[65:66], v[117:118]
	v_mul_f64 v[21:22], v[63:64], v[117:118]
	v_fma_f64 v[37:38], v[51:52], v[55:56], -v[37:38]
	v_fma_f64 v[15:16], v[53:54], v[55:56], v[15:16]
	v_mul_f64 v[23:24], v[69:70], v[113:114]
	v_mul_f64 v[7:8], v[67:68], v[113:114]
	v_add_f64 v[2:3], v[2:3], v[9:10]
	v_add_f64 v[4:5], v[4:5], v[25:26]
	v_fma_f64 v[17:18], v[63:64], v[115:116], -v[17:18]
	v_fma_f64 v[21:22], v[65:66], v[115:116], v[21:22]
	v_mul_f64 v[19:20], v[81:82], v[109:110]
	v_mul_f64 v[31:32], v[79:80], v[109:110]
	;; [unrolled: 1-line block ×3, first 2 shown]
	v_fma_f64 v[7:8], v[69:70], v[111:112], v[7:8]
	v_add_f64 v[2:3], v[2:3], v[27:28]
	v_add_f64 v[4:5], v[4:5], v[11:12]
	v_mul_f64 v[9:10], v[99:100], v[105:106]
	v_mul_f64 v[25:26], v[121:122], v[165:166]
	;; [unrolled: 1-line block ×6, first 2 shown]
	v_add_f64 v[2:3], v[2:3], v[13:14]
	v_add_f64 v[4:5], v[4:5], v[35:36]
	v_fma_f64 v[9:10], v[101:102], v[103:104], v[9:10]
	v_mul_f64 v[39:40], v[127:128], v[157:158]
	v_mov_b32_e32 v35, s11
	v_addc_co_u32_e32 v204, vcc, v204, v35, vcc
	v_add_co_u32_e32 v205, vcc, s10, v205
	v_add_f64 v[2:3], v[2:3], v[37:38]
	v_add_f64 v[4:5], v[4:5], v[15:16]
	v_fma_f64 v[15:16], v[67:68], v[111:112], -v[23:24]
	v_addc_co_u32_e32 v206, vcc, v206, v35, vcc
	v_add_co_u32_e32 v207, vcc, s10, v207
	v_addc_co_u32_e32 v208, vcc, v208, v35, vcc
	v_add_f64 v[2:3], v[2:3], v[17:18]
	v_add_f64 v[4:5], v[4:5], v[21:22]
	v_fma_f64 v[17:18], v[79:80], v[107:108], -v[19:20]
	v_fma_f64 v[19:20], v[81:82], v[107:108], v[31:32]
	v_add_co_u32_e32 v209, vcc, s10, v209
	v_addc_co_u32_e32 v210, vcc, v210, v35, vcc
	v_add_f64 v[2:3], v[2:3], v[15:16]
	v_add_f64 v[4:5], v[4:5], v[7:8]
	v_fma_f64 v[7:8], v[99:100], v[103:104], -v[33:34]
	v_fma_f64 v[15:16], v[119:120], v[163:164], -v[25:26]
	v_mul_f64 v[41:42], v[145:146], v[153:154]
	v_mul_f64 v[13:14], v[143:144], v[153:154]
	v_add_co_u32_e32 v211, vcc, s10, v211
	v_add_f64 v[2:3], v[2:3], v[17:18]
	v_add_f64 v[4:5], v[4:5], v[19:20]
	v_fma_f64 v[17:18], v[121:122], v[163:164], v[29:30]
	v_addc_co_u32_e32 v212, vcc, v212, v35, vcc
	v_add_co_u32_e32 v213, vcc, s10, v213
	v_addc_co_u32_e32 v214, vcc, v214, v35, vcc
	v_add_f64 v[2:3], v[2:3], v[7:8]
	v_add_f64 v[4:5], v[4:5], v[9:10]
	v_fma_f64 v[7:8], v[123:124], v[159:160], -v[43:44]
	v_fma_f64 v[9:10], v[125:126], v[159:160], v[11:12]
	v_fma_f64 v[11:12], v[127:128], v[155:156], -v[27:28]
	v_add_co_u32_e32 v215, vcc, s10, v215
	v_addc_co_u32_e32 v216, vcc, v216, v35, vcc
	v_add_f64 v[2:3], v[2:3], v[15:16]
	v_add_f64 v[4:5], v[4:5], v[17:18]
	v_fma_f64 v[15:16], v[129:130], v[155:156], v[39:40]
	v_add_co_u32_e32 v217, vcc, s10, v217
	v_addc_co_u32_e32 v218, vcc, v218, v35, vcc
	v_add_co_u32_e32 v219, vcc, s10, v219
	v_add_f64 v[2:3], v[2:3], v[7:8]
	v_add_f64 v[4:5], v[4:5], v[9:10]
	v_fma_f64 v[7:8], v[143:144], v[151:152], -v[41:42]
	v_fma_f64 v[9:10], v[145:146], v[151:152], v[13:14]
	v_addc_co_u32_e32 v220, vcc, v220, v35, vcc
	v_add_co_u32_e32 v221, vcc, s10, v221
	v_add_f64 v[2:3], v[2:3], v[11:12]
	v_add_f64 v[4:5], v[4:5], v[15:16]
	v_addc_co_u32_e32 v222, vcc, v222, v35, vcc
	v_add_co_u32_e32 v223, vcc, s10, v223
	v_addc_co_u32_e32 v224, vcc, v224, v35, vcc
	v_add_co_u32_e32 v225, vcc, s10, v225
	v_addc_co_u32_e32 v226, vcc, v226, v35, vcc
	v_add_f64 v[2:3], v[2:3], v[7:8]
	v_add_f64 v[4:5], v[4:5], v[9:10]
	v_add_co_u32_e32 v227, vcc, s10, v227
	v_addc_co_u32_e32 v228, vcc, v228, v35, vcc
	v_add_co_u32_e32 v229, vcc, s10, v229
	v_addc_co_u32_e32 v230, vcc, v230, v35, vcc
	;; [unrolled: 2-line block ×3, first 2 shown]
	s_add_i32 s5, s6, 2
	v_add_co_u32_e32 v233, vcc, s10, v233
	s_cmp_ge_u32 s5, s33
	v_addc_co_u32_e32 v234, vcc, v234, v35, vcc
	s_waitcnt vmcnt(0)
	s_barrier
	s_cbranch_scc1 .LBB124_154
; %bb.153:                              ;   in Loop: Header=BB124_102 Depth=1
	s_mov_b32 s6, s4
	s_cmp_eq_u32 s17, s6
	s_cselect_b32 s20, s36, 0
	s_and_saveexec_b64 s[4:5], s[0:1]
	s_cbranch_execnz .LBB124_98
	s_branch .LBB124_102
.LBB124_154:
	s_movk_i32 s2, 0x430
	v_cmp_gt_i32_e32 vcc, s24, v0
	v_mad_u32_u24 v1, v1, s2, v177
	s_or_b64 s[2:3], s[18:19], vcc
	s_and_b64 s[0:1], s[0:1], s[2:3]
	ds_write_b128 v1, v[2:5]
	s_waitcnt lgkmcnt(0)
	s_barrier
	s_and_saveexec_b64 s[2:3], s[0:1]
	s_cbranch_execz .LBB124_156
; %bb.155:
	ds_read_b128 v[0:3], v177 offset:1072
	ds_read_b128 v[4:7], v177
	s_waitcnt lgkmcnt(0)
	v_add_f64 v[8:9], v[0:1], v[4:5]
	v_add_f64 v[10:11], v[2:3], v[6:7]
	ds_read_b128 v[0:3], v177 offset:2144
	ds_read_b128 v[4:7], v177 offset:3216
	s_waitcnt lgkmcnt(1)
	v_add_f64 v[0:1], v[8:9], v[0:1]
	v_add_f64 v[2:3], v[10:11], v[2:3]
	s_waitcnt lgkmcnt(0)
	v_add_f64 v[0:1], v[0:1], v[4:5]
	v_add_f64 v[2:3], v[2:3], v[6:7]
	v_lshlrev_b64 v[4:5], 4, v[175:176]
	v_mov_b32_e32 v6, s16
	v_add_co_u32_e32 v4, vcc, s7, v4
	v_addc_co_u32_e32 v5, vcc, v6, v5, vcc
	global_store_dwordx4 v[4:5], v[0:3], off
.LBB124_156:
	s_endpgm
	.section	.rodata,"a",@progbits
	.p2align	6, 0x0
	.amdhsa_kernel _ZL26rocblas_hemvn_kernel_upperILb0ELi64ELi4ELi33ELi32ELi16El19rocblas_complex_numIdEPKS1_PS1_EviT6_lT7_lT5_lS6_lS7_lS5_lT8_i
		.amdhsa_group_segment_fixed_size 19200
		.amdhsa_private_segment_fixed_size 0
		.amdhsa_kernarg_size 392
		.amdhsa_user_sgpr_count 6
		.amdhsa_user_sgpr_private_segment_buffer 1
		.amdhsa_user_sgpr_dispatch_ptr 0
		.amdhsa_user_sgpr_queue_ptr 0
		.amdhsa_user_sgpr_kernarg_segment_ptr 1
		.amdhsa_user_sgpr_dispatch_id 0
		.amdhsa_user_sgpr_flat_scratch_init 0
		.amdhsa_user_sgpr_private_segment_size 0
		.amdhsa_uses_dynamic_stack 0
		.amdhsa_system_sgpr_private_segment_wavefront_offset 0
		.amdhsa_system_sgpr_workgroup_id_x 1
		.amdhsa_system_sgpr_workgroup_id_y 0
		.amdhsa_system_sgpr_workgroup_id_z 1
		.amdhsa_system_sgpr_workgroup_info 0
		.amdhsa_system_vgpr_workitem_id 1
		.amdhsa_next_free_vgpr 256
		.amdhsa_next_free_sgpr 98
		.amdhsa_reserve_vcc 1
		.amdhsa_reserve_flat_scratch 0
		.amdhsa_float_round_mode_32 0
		.amdhsa_float_round_mode_16_64 0
		.amdhsa_float_denorm_mode_32 3
		.amdhsa_float_denorm_mode_16_64 3
		.amdhsa_dx10_clamp 1
		.amdhsa_ieee_mode 1
		.amdhsa_fp16_overflow 0
		.amdhsa_exception_fp_ieee_invalid_op 0
		.amdhsa_exception_fp_denorm_src 0
		.amdhsa_exception_fp_ieee_div_zero 0
		.amdhsa_exception_fp_ieee_overflow 0
		.amdhsa_exception_fp_ieee_underflow 0
		.amdhsa_exception_fp_ieee_inexact 0
		.amdhsa_exception_int_div_zero 0
	.end_amdhsa_kernel
	.section	.text._ZL26rocblas_hemvn_kernel_upperILb0ELi64ELi4ELi33ELi32ELi16El19rocblas_complex_numIdEPKS1_PS1_EviT6_lT7_lT5_lS6_lS7_lS5_lT8_i,"axG",@progbits,_ZL26rocblas_hemvn_kernel_upperILb0ELi64ELi4ELi33ELi32ELi16El19rocblas_complex_numIdEPKS1_PS1_EviT6_lT7_lT5_lS6_lS7_lS5_lT8_i,comdat
.Lfunc_end124:
	.size	_ZL26rocblas_hemvn_kernel_upperILb0ELi64ELi4ELi33ELi32ELi16El19rocblas_complex_numIdEPKS1_PS1_EviT6_lT7_lT5_lS6_lS7_lS5_lT8_i, .Lfunc_end124-_ZL26rocblas_hemvn_kernel_upperILb0ELi64ELi4ELi33ELi32ELi16El19rocblas_complex_numIdEPKS1_PS1_EviT6_lT7_lT5_lS6_lS7_lS5_lT8_i
                                        ; -- End function
	.set _ZL26rocblas_hemvn_kernel_upperILb0ELi64ELi4ELi33ELi32ELi16El19rocblas_complex_numIdEPKS1_PS1_EviT6_lT7_lT5_lS6_lS7_lS5_lT8_i.num_vgpr, 256
	.set _ZL26rocblas_hemvn_kernel_upperILb0ELi64ELi4ELi33ELi32ELi16El19rocblas_complex_numIdEPKS1_PS1_EviT6_lT7_lT5_lS6_lS7_lS5_lT8_i.num_agpr, 0
	.set _ZL26rocblas_hemvn_kernel_upperILb0ELi64ELi4ELi33ELi32ELi16El19rocblas_complex_numIdEPKS1_PS1_EviT6_lT7_lT5_lS6_lS7_lS5_lT8_i.numbered_sgpr, 42
	.set _ZL26rocblas_hemvn_kernel_upperILb0ELi64ELi4ELi33ELi32ELi16El19rocblas_complex_numIdEPKS1_PS1_EviT6_lT7_lT5_lS6_lS7_lS5_lT8_i.num_named_barrier, 0
	.set _ZL26rocblas_hemvn_kernel_upperILb0ELi64ELi4ELi33ELi32ELi16El19rocblas_complex_numIdEPKS1_PS1_EviT6_lT7_lT5_lS6_lS7_lS5_lT8_i.private_seg_size, 0
	.set _ZL26rocblas_hemvn_kernel_upperILb0ELi64ELi4ELi33ELi32ELi16El19rocblas_complex_numIdEPKS1_PS1_EviT6_lT7_lT5_lS6_lS7_lS5_lT8_i.uses_vcc, 1
	.set _ZL26rocblas_hemvn_kernel_upperILb0ELi64ELi4ELi33ELi32ELi16El19rocblas_complex_numIdEPKS1_PS1_EviT6_lT7_lT5_lS6_lS7_lS5_lT8_i.uses_flat_scratch, 0
	.set _ZL26rocblas_hemvn_kernel_upperILb0ELi64ELi4ELi33ELi32ELi16El19rocblas_complex_numIdEPKS1_PS1_EviT6_lT7_lT5_lS6_lS7_lS5_lT8_i.has_dyn_sized_stack, 0
	.set _ZL26rocblas_hemvn_kernel_upperILb0ELi64ELi4ELi33ELi32ELi16El19rocblas_complex_numIdEPKS1_PS1_EviT6_lT7_lT5_lS6_lS7_lS5_lT8_i.has_recursion, 0
	.set _ZL26rocblas_hemvn_kernel_upperILb0ELi64ELi4ELi33ELi32ELi16El19rocblas_complex_numIdEPKS1_PS1_EviT6_lT7_lT5_lS6_lS7_lS5_lT8_i.has_indirect_call, 0
	.section	.AMDGPU.csdata,"",@progbits
; Kernel info:
; codeLenInByte = 10696
; TotalNumSgprs: 46
; NumVgprs: 256
; ScratchSize: 0
; MemoryBound: 1
; FloatMode: 240
; IeeeMode: 1
; LDSByteSize: 19200 bytes/workgroup (compile time only)
; SGPRBlocks: 12
; VGPRBlocks: 63
; NumSGPRsForWavesPerEU: 102
; NumVGPRsForWavesPerEU: 256
; Occupancy: 1
; WaveLimiterHint : 0
; COMPUTE_PGM_RSRC2:SCRATCH_EN: 0
; COMPUTE_PGM_RSRC2:USER_SGPR: 6
; COMPUTE_PGM_RSRC2:TRAP_HANDLER: 0
; COMPUTE_PGM_RSRC2:TGID_X_EN: 1
; COMPUTE_PGM_RSRC2:TGID_Y_EN: 0
; COMPUTE_PGM_RSRC2:TGID_Z_EN: 1
; COMPUTE_PGM_RSRC2:TIDIG_COMP_CNT: 1
	.section	.text._ZL26rocblas_hemvn_kernel_upperILb0ELi64ELi4ELi33ELi32ELi16Ei19rocblas_complex_numIdEPKS1_PS1_EviT6_lT7_lT5_lS6_lS7_lS5_lT8_i,"axG",@progbits,_ZL26rocblas_hemvn_kernel_upperILb0ELi64ELi4ELi33ELi32ELi16Ei19rocblas_complex_numIdEPKS1_PS1_EviT6_lT7_lT5_lS6_lS7_lS5_lT8_i,comdat
	.globl	_ZL26rocblas_hemvn_kernel_upperILb0ELi64ELi4ELi33ELi32ELi16Ei19rocblas_complex_numIdEPKS1_PS1_EviT6_lT7_lT5_lS6_lS7_lS5_lT8_i ; -- Begin function _ZL26rocblas_hemvn_kernel_upperILb0ELi64ELi4ELi33ELi32ELi16Ei19rocblas_complex_numIdEPKS1_PS1_EviT6_lT7_lT5_lS6_lS7_lS5_lT8_i
	.p2align	8
	.type	_ZL26rocblas_hemvn_kernel_upperILb0ELi64ELi4ELi33ELi32ELi16Ei19rocblas_complex_numIdEPKS1_PS1_EviT6_lT7_lT5_lS6_lS7_lS5_lT8_i,@function
_ZL26rocblas_hemvn_kernel_upperILb0ELi64ELi4ELi33ELi32ELi16Ei19rocblas_complex_numIdEPKS1_PS1_EviT6_lT7_lT5_lS6_lS7_lS5_lT8_i: ; @_ZL26rocblas_hemvn_kernel_upperILb0ELi64ELi4ELi33ELi32ELi16Ei19rocblas_complex_numIdEPKS1_PS1_EviT6_lT7_lT5_lS6_lS7_lS5_lT8_i
; %bb.0:
	s_load_dwordx2 s[0:1], s[4:5], 0x94
	s_add_u32 s12, s4, 0x88
	s_addc_u32 s13, s5, 0
	s_waitcnt lgkmcnt(0)
	s_lshr_b32 s2, s0, 16
	s_and_b32 s0, s0, 0xffff
	s_and_b32 s1, s1, 0xffff
	s_mul_i32 s0, s2, s0
	s_mul_i32 s0, s0, s1
	s_cmpk_lg_i32 s0, 0x100
	s_cbranch_scc1 .LBB125_156
; %bb.1:
	s_load_dwordx4 s[0:3], s[4:5], 0x8
	s_waitcnt lgkmcnt(0)
	v_cmp_neq_f64_e64 s[8:9], s[0:1], 0
	v_cmp_neq_f64_e64 s[14:15], s[2:3], 0
	s_load_dwordx4 s[0:3], s[4:5], 0x58
	s_load_dwordx2 s[10:11], s[4:5], 0x68
	s_or_b64 s[8:9], s[8:9], s[14:15]
	s_mov_b64 s[14:15], -1
	s_and_b64 vcc, exec, s[8:9]
	s_cbranch_vccnz .LBB125_3
; %bb.2:
	s_waitcnt lgkmcnt(0)
	v_cmp_neq_f64_e64 s[2:3], s[2:3], 1.0
	v_cmp_neq_f64_e64 s[10:11], s[10:11], 0
	s_or_b64 s[14:15], s[2:3], s[10:11]
.LBB125_3:
	s_andn2_b64 vcc, exec, s[14:15]
	s_cbranch_vccnz .LBB125_156
; %bb.4:
	s_andn2_b64 vcc, exec, s[8:9]
	s_cbranch_vccnz .LBB125_156
; %bb.5:
	s_load_dword s33, s[12:13], 0x0
	s_load_dword s40, s[4:5], 0x0
	s_waitcnt lgkmcnt(0)
	s_load_dwordx4 s[8:11], s[4:5], 0x38
	s_load_dwordx2 s[2:3], s[4:5], 0x48
	s_load_dword s39, s[4:5], 0x50
	s_mul_i32 s1, s1, s7
	s_mul_hi_u32 s12, s0, s7
	s_add_i32 s1, s12, s1
	s_mul_i32 s0, s0, s7
	s_lshl_b64 s[0:1], s[0:1], 4
	s_waitcnt lgkmcnt(0)
	s_add_u32 s10, s10, s0
	s_addc_u32 s11, s11, s1
	s_lshl_b64 s[0:1], s[2:3], 4
	s_add_u32 s0, s10, s0
	s_addc_u32 s1, s11, s1
	s_lshl_b32 s24, s6, 6
	v_add_u32_e32 v167, s24, v0
	v_mul_lo_u32 v2, s39, v167
	s_ashr_i32 s41, s40, 31
	s_lshr_b32 s3, s41, 26
	s_add_i32 s3, s40, s3
	v_ashrrev_i32_e32 v3, 31, v2
	s_andn2_b32 s3, s3, 63
	v_lshlrev_b64 v[2:3], 4, v[2:3]
	s_add_i32 s2, s33, -1
	s_sub_i32 s38, s40, s3
	s_cmp_eq_u32 s6, s2
	v_mov_b32_e32 v4, s1
	v_add_co_u32_e32 v38, vcc, s0, v2
	s_cselect_b32 s18, s38, 0
	v_addc_co_u32_e32 v39, vcc, v4, v3, vcc
	v_cmp_eq_u32_e64 s[0:1], 0, v1
	s_and_saveexec_b64 s[2:3], s[0:1]
	s_cbranch_execz .LBB125_10
; %bb.6:
	s_cmp_lg_u32 s18, 0
	s_cselect_b64 s[10:11], -1, 0
	v_cmp_le_i32_e32 vcc, s18, v0
	v_mov_b32_e32 v2, 0x4700
	s_and_b64 s[10:11], s[10:11], vcc
	v_lshl_add_u32 v2, v0, 4, v2
	s_and_saveexec_b64 s[12:13], s[10:11]
	s_xor_b64 s[10:11], exec, s[12:13]
; %bb.7:
	v_mov_b32_e32 v3, 0
	v_mov_b32_e32 v4, v3
	v_mov_b32_e32 v5, v3
	v_mov_b32_e32 v6, v3
	ds_write_b128 v2, v[3:6]
                                        ; implicit-def: $vgpr2
; %bb.8:
	s_andn2_saveexec_b64 s[10:11], s[10:11]
	s_cbranch_execz .LBB125_10
; %bb.9:
	global_load_dwordx4 v[3:6], v[38:39], off
	s_waitcnt vmcnt(0)
	ds_write2_b64 v2, v[3:4], v[5:6] offset1:1
.LBB125_10:
	s_or_b64 exec, exec, s[2:3]
	s_load_dwordx4 s[12:15], s[4:5], 0x20
	s_load_dword s22, s[4:5], 0x30
	s_mul_i32 s2, s9, s7
	s_mul_hi_u32 s3, s8, s7
	s_add_i32 s3, s3, s2
	s_mul_i32 s2, s8, s7
	s_lshl_b64 s[2:3], s[2:3], 4
	s_waitcnt lgkmcnt(0)
	s_add_u32 s8, s12, s2
	v_lshl_add_u32 v44, v1, 6, v0
	s_addc_u32 s9, s13, s3
	s_lshl_b64 s[2:3], s[14:15], 4
	v_and_b32_e32 v6, 31, v0
	v_lshrrev_b32_e32 v13, 5, v44
	s_add_u32 s8, s8, s2
	s_addc_u32 s9, s9, s3
	v_mad_u64_u32 v[2:3], s[2:3], s22, v13, v[6:7]
	s_ashr_i32 s25, s24, 31
	s_lshl_b64 s[2:3], s[24:25], 4
	v_ashrrev_i32_e32 v3, 31, v2
	v_lshlrev_b64 v[40:41], 4, v[2:3]
	s_add_u32 s2, s8, s2
	s_addc_u32 s3, s9, s3
	v_add_co_u32_e32 v3, vcc, s2, v40
	s_mul_i32 s2, s22, s24
	v_mov_b32_e32 v2, s3
	s_ashr_i32 s3, s2, 31
	s_lshl_b64 s[2:3], s[2:3], 4
	v_addc_co_u32_e32 v4, vcc, v2, v41, vcc
	s_cmp_eq_u32 s18, 0
	v_mov_b32_e32 v5, s3
	v_add_co_u32_e32 v2, vcc, s2, v3
	s_cselect_b64 s[20:21], -1, 0
	s_cmp_lg_u32 s18, 0
	v_addc_co_u32_e32 v3, vcc, v4, v5, vcc
	s_cselect_b64 s[30:31], -1, 0
	s_and_b64 vcc, exec, s[30:31]
	v_cmp_gt_i32_e64 s[2:3], s18, v6
	v_lshlrev_b32_e32 v14, 4, v6
	s_cbranch_vccz .LBB125_28
; %bb.11:
	v_sub_co_u32_e32 v4, vcc, v2, v14
	s_ashr_i32 s19, s18, 31
	v_subbrev_co_u32_e32 v5, vcc, 0, v3, vcc
	s_lshl_b64 s[8:9], s[18:19], 4
	v_mov_b32_e32 v7, s9
	v_add_co_u32_e32 v4, vcc, s8, v4
	v_addc_co_u32_e32 v5, vcc, v5, v7, vcc
	v_add_co_u32_e32 v4, vcc, -16, v4
	v_addc_co_u32_e32 v5, vcc, -1, v5, vcc
	s_movk_i32 s10, 0x210
	v_cndmask_b32_e64 v5, v5, v3, s[2:3]
	v_cndmask_b32_e64 v4, v4, v2, s[2:3]
	v_cmp_le_i32_e32 vcc, s18, v13
	v_mad_u32_u24 v8, v13, s10, v14
	s_and_saveexec_b64 s[10:11], vcc
	s_xor_b64 s[10:11], exec, s[10:11]
; %bb.12:
	v_mov_b32_e32 v9, 0
	v_mov_b32_e32 v10, v9
	;; [unrolled: 1-line block ×4, first 2 shown]
	ds_write_b128 v8, v[9:12]
                                        ; implicit-def: $vgpr8
; %bb.13:
	s_or_saveexec_b64 s[10:11], s[10:11]
	v_mul_u32_u24_e32 v7, 0x210, v13
	s_xor_b64 exec, exec, s[10:11]
	s_cbranch_execz .LBB125_15
; %bb.14:
	global_load_dwordx4 v[9:12], v[4:5], off
	s_waitcnt vmcnt(0)
	ds_write2_b64 v8, v[9:10], v[11:12] offset1:1
.LBB125_15:
	s_or_b64 exec, exec, s[10:11]
	v_add_u32_e32 v8, 8, v13
	v_cmp_le_i32_e32 vcc, s18, v8
	v_add_u32_e32 v8, v7, v14
	s_and_saveexec_b64 s[10:11], vcc
	s_xor_b64 s[10:11], exec, s[10:11]
; %bb.16:
	v_mov_b32_e32 v9, 0
	v_mov_b32_e32 v10, v9
	;; [unrolled: 1-line block ×4, first 2 shown]
	ds_write_b128 v8, v[9:12] offset:4224
; %bb.17:
	s_andn2_saveexec_b64 s[10:11], s[10:11]
	s_cbranch_execz .LBB125_19
; %bb.18:
	s_lshl_b32 s12, s22, 3
	s_ashr_i32 s13, s12, 31
	s_lshl_b64 s[12:13], s[12:13], 4
	v_mov_b32_e32 v10, s13
	v_add_co_u32_e32 v9, vcc, s12, v4
	v_addc_co_u32_e32 v10, vcc, v5, v10, vcc
	global_load_dwordx4 v[9:12], v[9:10], off
	s_movk_i32 s12, 0x1080
	v_add3_u32 v15, v7, v14, s12
	s_waitcnt vmcnt(0)
	ds_write2_b64 v15, v[9:10], v[11:12] offset1:1
.LBB125_19:
	s_or_b64 exec, exec, s[10:11]
	v_add_u32_e32 v9, 16, v13
	v_cmp_le_i32_e32 vcc, s18, v9
	s_and_saveexec_b64 s[10:11], vcc
	s_xor_b64 s[10:11], exec, s[10:11]
; %bb.20:
	v_mov_b32_e32 v9, 0
	v_mov_b32_e32 v10, v9
	;; [unrolled: 1-line block ×4, first 2 shown]
	ds_write_b128 v8, v[9:12] offset:8448
; %bb.21:
	s_andn2_saveexec_b64 s[10:11], s[10:11]
	s_cbranch_execz .LBB125_23
; %bb.22:
	s_lshl_b32 s12, s22, 4
	s_ashr_i32 s13, s12, 31
	s_lshl_b64 s[12:13], s[12:13], 4
	v_mov_b32_e32 v10, s13
	v_add_co_u32_e32 v9, vcc, s12, v4
	v_addc_co_u32_e32 v10, vcc, v5, v10, vcc
	global_load_dwordx4 v[9:12], v[9:10], off
	s_movk_i32 s12, 0x2100
	v_add3_u32 v15, v7, v14, s12
	s_waitcnt vmcnt(0)
	ds_write2_b64 v15, v[9:10], v[11:12] offset1:1
.LBB125_23:
	s_or_b64 exec, exec, s[10:11]
	v_add_u32_e32 v9, 24, v13
	v_cmp_le_i32_e32 vcc, s18, v9
	s_and_saveexec_b64 s[10:11], vcc
	s_xor_b64 s[10:11], exec, s[10:11]
; %bb.24:
	v_mov_b32_e32 v9, 0
	v_mov_b32_e32 v10, v9
	;; [unrolled: 1-line block ×4, first 2 shown]
	ds_write_b128 v8, v[9:12] offset:12672
                                        ; implicit-def: $vgpr7
; %bb.25:
	s_andn2_saveexec_b64 s[10:11], s[10:11]
	s_cbranch_execz .LBB125_27
; %bb.26:
	s_mul_i32 s12, s22, 24
	s_ashr_i32 s13, s12, 31
	s_lshl_b64 s[12:13], s[12:13], 4
	v_mov_b32_e32 v9, s13
	v_add_co_u32_e32 v8, vcc, s12, v4
	v_addc_co_u32_e32 v9, vcc, v5, v9, vcc
	global_load_dwordx4 v[8:11], v[8:9], off
	s_movk_i32 s12, 0x3180
	v_add3_u32 v7, v7, v14, s12
	s_waitcnt vmcnt(0)
	ds_write2_b64 v7, v[8:9], v[10:11] offset1:1
.LBB125_27:
	s_or_b64 exec, exec, s[10:11]
	v_add_co_u32_e32 v4, vcc, v4, v14
	v_addc_co_u32_e32 v5, vcc, 0, v5, vcc
	v_mov_b32_e32 v7, s9
	v_subrev_co_u32_e32 v4, vcc, s8, v4
	v_subb_co_u32_e32 v5, vcc, v5, v7, vcc
	v_add_co_u32_e32 v4, vcc, 16, v4
	v_addc_co_u32_e32 v5, vcc, 0, v5, vcc
	v_cndmask_b32_e64 v8, v5, v3, s[2:3]
	v_cndmask_b32_e64 v7, v4, v2, s[2:3]
	s_branch .LBB125_30
.LBB125_28:
                                        ; implicit-def: $vgpr7_vgpr8
	s_cbranch_execz .LBB125_30
; %bb.29:
	s_lshl_b32 s2, s22, 3
	s_ashr_i32 s3, s2, 31
	s_lshl_b64 s[2:3], s[2:3], 4
	v_mov_b32_e32 v5, s3
	v_add_co_u32_e32 v4, vcc, s2, v2
	s_ashr_i32 s23, s22, 31
	v_addc_co_u32_e32 v5, vcc, v3, v5, vcc
	s_lshl_b64 s[2:3], s[22:23], 7
	global_load_dwordx4 v[7:10], v[2:3], off
	global_load_dwordx4 v[15:18], v[4:5], off
	v_mov_b32_e32 v12, s3
	v_add_co_u32_e32 v4, vcc, s2, v4
	v_addc_co_u32_e32 v5, vcc, v5, v12, vcc
	v_add_co_u32_e32 v11, vcc, s2, v4
	v_addc_co_u32_e32 v12, vcc, v5, v12, vcc
	global_load_dwordx4 v[19:22], v[4:5], off
	global_load_dwordx4 v[23:26], v[11:12], off
	v_mul_u32_u24_e32 v4, 0x210, v13
	v_lshl_add_u32 v4, v6, 4, v4
	v_add_u32_e32 v5, 0x1080, v4
	v_add_u32_e32 v11, 0x2100, v4
	;; [unrolled: 1-line block ×3, first 2 shown]
	s_waitcnt vmcnt(3)
	ds_write2_b64 v4, v[7:8], v[9:10] offset1:1
	s_waitcnt vmcnt(2)
	ds_write2_b64 v5, v[15:16], v[17:18] offset1:1
	;; [unrolled: 2-line block ×4, first 2 shown]
	v_mov_b32_e32 v8, v3
	v_mov_b32_e32 v7, v2
.LBB125_30:
	v_lshlrev_b32_e32 v11, 2, v13
	v_lshl_or_b32 v2, v6, 9, v14
	v_cmp_gt_u32_e64 s[16:17], v11, v6
	v_lshl_add_u32 v4, v11, 4, v2
	s_waitcnt lgkmcnt(0)
	s_barrier
	s_and_saveexec_b64 s[2:3], s[16:17]
	s_cbranch_execz .LBB125_32
; %bb.31:
	s_movk_i32 s8, 0x840
	v_mad_u32_u24 v2, v13, s8, v14
	ds_read_b128 v[15:18], v2
	s_waitcnt lgkmcnt(0)
	ds_write_b128 v4, v[15:18]
.LBB125_32:
	s_or_b64 exec, exec, s[2:3]
	v_or_b32_e32 v2, 1, v11
	v_cmp_ge_u32_e64 s[8:9], v11, v6
	s_and_saveexec_b64 s[2:3], s[8:9]
	s_cbranch_execz .LBB125_34
; %bb.33:
	s_movk_i32 s10, 0x210
	v_mad_u32_u24 v3, v2, s10, v14
	ds_read_b128 v[15:18], v3
	s_waitcnt lgkmcnt(0)
	ds_write_b128 v4, v[15:18] offset:16
.LBB125_34:
	s_or_b64 exec, exec, s[2:3]
	v_or_b32_e32 v3, 2, v11
	v_cmp_gt_u32_e64 s[10:11], v3, v6
	s_and_saveexec_b64 s[2:3], s[10:11]
	s_cbranch_execz .LBB125_36
; %bb.35:
	s_movk_i32 s12, 0x210
	v_mad_u32_u24 v3, v3, s12, v14
	ds_read_b128 v[15:18], v3
	s_waitcnt lgkmcnt(0)
	ds_write_b128 v4, v[15:18] offset:32
.LBB125_36:
	s_or_b64 exec, exec, s[2:3]
	v_or_b32_e32 v5, 3, v11
	v_cmp_gt_u32_e64 s[12:13], v5, v6
	v_cmp_le_u32_e32 vcc, v5, v6
                                        ; implicit-def: $vgpr3
	s_and_saveexec_b64 s[2:3], vcc
	s_xor_b64 s[2:3], exec, s[2:3]
; %bb.37:
	v_mul_u32_u24_e32 v3, 0x210, v5
                                        ; implicit-def: $vgpr5
                                        ; implicit-def: $vgpr4
; %bb.38:
	s_andn2_saveexec_b64 s[2:3], s[2:3]
	s_cbranch_execz .LBB125_40
; %bb.39:
	s_movk_i32 s14, 0x210
	v_mad_u32_u24 v3, v5, s14, v14
	ds_read_b128 v[15:18], v3
	v_mul_u32_u24_e32 v3, 0x210, v5
	s_waitcnt lgkmcnt(0)
	ds_write_b128 v4, v[15:18] offset:48
.LBB125_40:
	s_or_b64 exec, exec, s[2:3]
	s_movk_i32 s2, 0x840
	v_mad_u32_u24 v15, v13, s2, v14
	s_waitcnt lgkmcnt(0)
	s_barrier
	v_lshlrev_b32_e32 v12, 4, v11
	ds_read_b128 v[18:21], v15
	ds_read_b128 v[22:25], v12 offset:18176
	ds_read_b128 v[26:29], v12 offset:18192
	s_movk_i32 s2, 0x210
	v_mad_u32_u24 v16, v2, s2, v14
	ds_read_b128 v[30:33], v16
	s_waitcnt lgkmcnt(2)
	v_mul_f64 v[4:5], v[24:25], v[20:21]
	v_mul_f64 v[9:10], v[22:23], v[20:21]
	v_add_u32_e32 v17, v14, v3
	v_cmp_gt_u32_e64 s[2:3], 32, v44
	v_fma_f64 v[36:37], v[22:23], v[18:19], -v[4:5]
	ds_read_b128 v[2:5], v12 offset:18208
	s_waitcnt lgkmcnt(1)
	v_mul_f64 v[42:43], v[28:29], v[32:33]
	v_mul_f64 v[49:50], v[26:27], v[32:33]
	v_fma_f64 v[9:10], v[24:25], v[18:19], v[9:10]
	ds_read_b128 v[20:23], v16 offset:528
	ds_read_b128 v[32:35], v12 offset:18224
	ds_read_b128 v[45:48], v17
	s_waitcnt lgkmcnt(0)
	v_add_f64 v[18:19], v[36:37], 0
	s_barrier
	v_mul_f64 v[24:25], v[4:5], v[22:23]
	v_fma_f64 v[26:27], v[26:27], v[30:31], -v[42:43]
	v_fma_f64 v[28:29], v[28:29], v[30:31], v[49:50]
	v_mul_f64 v[22:23], v[2:3], v[22:23]
	v_add_f64 v[9:10], v[9:10], 0
	v_mul_f64 v[30:31], v[34:35], v[47:48]
	v_fma_f64 v[2:3], v[2:3], v[20:21], -v[24:25]
	v_add_f64 v[18:19], v[18:19], v[26:27]
	v_mul_f64 v[24:25], v[32:33], v[47:48]
	v_fma_f64 v[4:5], v[4:5], v[20:21], v[22:23]
	v_add_f64 v[9:10], v[9:10], v[28:29]
	v_fma_f64 v[20:21], v[32:33], v[45:46], -v[30:31]
	v_add_f64 v[18:19], v[18:19], v[2:3]
	v_fma_f64 v[22:23], v[34:35], v[45:46], v[24:25]
	v_mov_b32_e32 v2, 0
	v_add_f64 v[4:5], v[9:10], v[4:5]
	v_mul_u32_u24_e32 v9, 33, v6
	v_lshlrev_b32_e32 v45, 4, v9
	v_mov_b32_e32 v3, 0
	v_lshl_add_u32 v46, v13, 4, v45
	v_add_f64 v[18:19], v[18:19], v[20:21]
	v_add_f64 v[20:21], v[4:5], v[22:23]
	v_mov_b32_e32 v4, 0
	v_mov_b32_e32 v5, 0
	ds_write_b128 v46, v[18:21]
	s_waitcnt lgkmcnt(0)
	s_barrier
	s_and_saveexec_b64 s[14:15], s[2:3]
	s_cbranch_execz .LBB125_42
; %bb.41:
	ds_read_b128 v[2:5], v45
	ds_read_b128 v[18:21], v45 offset:16
	s_waitcnt lgkmcnt(0)
	v_add_f64 v[9:10], v[18:19], v[2:3]
	v_add_f64 v[22:23], v[20:21], v[4:5]
	ds_read_b128 v[2:5], v45 offset:32
	ds_read_b128 v[18:21], v45 offset:48
	s_waitcnt lgkmcnt(1)
	v_add_f64 v[2:3], v[9:10], v[2:3]
	v_add_f64 v[4:5], v[22:23], v[4:5]
	s_waitcnt lgkmcnt(0)
	v_add_f64 v[9:10], v[2:3], v[18:19]
	v_add_f64 v[22:23], v[4:5], v[20:21]
	ds_read_b128 v[2:5], v45 offset:64
	ds_read_b128 v[18:21], v45 offset:80
	s_waitcnt lgkmcnt(1)
	v_add_f64 v[2:3], v[9:10], v[2:3]
	v_add_f64 v[4:5], v[22:23], v[4:5]
	;; [unrolled: 8-line block ×3, first 2 shown]
	s_waitcnt lgkmcnt(0)
	v_add_f64 v[2:3], v[2:3], v[18:19]
	v_add_f64 v[4:5], v[4:5], v[20:21]
.LBB125_42:
	s_or_b64 exec, exec, s[14:15]
	s_lshl_b32 s28, s22, 5
	s_ashr_i32 s29, s28, 31
	s_lshl_b64 s[26:27], s[28:29], 4
	v_mov_b32_e32 v9, s27
	v_add_co_u32_e32 v18, vcc, s26, v7
	v_addc_co_u32_e32 v19, vcc, v8, v9, vcc
	v_add_co_u32_e32 v9, vcc, 0x200, v18
	v_addc_co_u32_e32 v10, vcc, 0, v19, vcc
	s_and_b64 vcc, exec, s[30:31]
	s_barrier
	s_cbranch_vccz .LBB125_60
; %bb.43:
	v_sub_co_u32_e32 v8, vcc, v18, v14
	s_ashr_i32 s19, s18, 31
	v_subbrev_co_u32_e32 v20, vcc, 0, v19, vcc
	s_lshl_b64 s[34:35], s[18:19], 4
	v_mov_b32_e32 v21, s35
	v_add_co_u32_e32 v8, vcc, s34, v8
	v_addc_co_u32_e32 v20, vcc, v20, v21, vcc
	v_or_b32_e32 v7, 32, v6
	v_add_co_u32_e32 v21, vcc, -16, v8
	v_addc_co_u32_e32 v8, vcc, -1, v20, vcc
	v_cmp_gt_i32_e64 s[14:15], s18, v7
	s_sub_i32 s19, s18, 32
	s_movk_i32 s23, 0x210
	v_cndmask_b32_e64 v8, v8, v10, s[14:15]
	v_cndmask_b32_e64 v7, v21, v9, s[14:15]
	v_cmp_le_i32_e32 vcc, s19, v13
	v_mad_u32_u24 v21, v13, s23, v14
	s_and_saveexec_b64 s[36:37], vcc
	s_xor_b64 s[36:37], exec, s[36:37]
; %bb.44:
	v_mov_b32_e32 v22, 0
	v_mov_b32_e32 v23, v22
	;; [unrolled: 1-line block ×4, first 2 shown]
	ds_write_b128 v21, v[22:25]
                                        ; implicit-def: $vgpr21
; %bb.45:
	s_or_saveexec_b64 s[36:37], s[36:37]
	v_mul_u32_u24_e32 v20, 0x210, v13
	s_xor_b64 exec, exec, s[36:37]
	s_cbranch_execz .LBB125_47
; %bb.46:
	global_load_dwordx4 v[22:25], v[7:8], off
	s_waitcnt vmcnt(0)
	ds_write2_b64 v21, v[22:23], v[24:25] offset1:1
.LBB125_47:
	s_or_b64 exec, exec, s[36:37]
	v_add_u32_e32 v21, 8, v13
	v_cmp_le_i32_e32 vcc, s19, v21
	v_add_u32_e32 v21, v20, v14
	s_and_saveexec_b64 s[36:37], vcc
	s_xor_b64 s[36:37], exec, s[36:37]
; %bb.48:
	v_mov_b32_e32 v22, 0
	v_mov_b32_e32 v23, v22
	;; [unrolled: 1-line block ×4, first 2 shown]
	ds_write_b128 v21, v[22:25] offset:4224
; %bb.49:
	s_andn2_saveexec_b64 s[36:37], s[36:37]
	s_cbranch_execz .LBB125_51
; %bb.50:
	s_lshl_b32 s42, s22, 3
	s_ashr_i32 s43, s42, 31
	s_lshl_b64 s[42:43], s[42:43], 4
	v_mov_b32_e32 v23, s43
	v_add_co_u32_e32 v22, vcc, s42, v7
	v_addc_co_u32_e32 v23, vcc, v8, v23, vcc
	global_load_dwordx4 v[22:25], v[22:23], off
	s_movk_i32 s23, 0x1080
	v_add3_u32 v26, v20, v14, s23
	s_waitcnt vmcnt(0)
	ds_write2_b64 v26, v[22:23], v[24:25] offset1:1
.LBB125_51:
	s_or_b64 exec, exec, s[36:37]
	v_add_u32_e32 v22, 16, v13
	v_cmp_le_i32_e32 vcc, s19, v22
	s_and_saveexec_b64 s[36:37], vcc
	s_xor_b64 s[36:37], exec, s[36:37]
; %bb.52:
	v_mov_b32_e32 v22, 0
	v_mov_b32_e32 v23, v22
	;; [unrolled: 1-line block ×4, first 2 shown]
	ds_write_b128 v21, v[22:25] offset:8448
; %bb.53:
	s_andn2_saveexec_b64 s[36:37], s[36:37]
	s_cbranch_execz .LBB125_55
; %bb.54:
	s_lshl_b32 s42, s22, 4
	s_ashr_i32 s43, s42, 31
	s_lshl_b64 s[42:43], s[42:43], 4
	v_mov_b32_e32 v23, s43
	v_add_co_u32_e32 v22, vcc, s42, v7
	v_addc_co_u32_e32 v23, vcc, v8, v23, vcc
	global_load_dwordx4 v[22:25], v[22:23], off
	s_movk_i32 s23, 0x2100
	v_add3_u32 v26, v20, v14, s23
	s_waitcnt vmcnt(0)
	ds_write2_b64 v26, v[22:23], v[24:25] offset1:1
.LBB125_55:
	s_or_b64 exec, exec, s[36:37]
	v_add_u32_e32 v22, 24, v13
	v_cmp_le_i32_e32 vcc, s19, v22
	s_and_saveexec_b64 s[36:37], vcc
	s_xor_b64 s[36:37], exec, s[36:37]
; %bb.56:
	v_mov_b32_e32 v22, 0
	v_mov_b32_e32 v23, v22
	;; [unrolled: 1-line block ×4, first 2 shown]
	ds_write_b128 v21, v[22:25] offset:12672
                                        ; implicit-def: $vgpr20
; %bb.57:
	s_andn2_saveexec_b64 s[36:37], s[36:37]
	s_cbranch_execz .LBB125_59
; %bb.58:
	s_mul_i32 s42, s22, 24
	s_ashr_i32 s43, s42, 31
	s_lshl_b64 s[42:43], s[42:43], 4
	v_mov_b32_e32 v22, s43
	v_add_co_u32_e32 v21, vcc, s42, v7
	v_addc_co_u32_e32 v22, vcc, v8, v22, vcc
	global_load_dwordx4 v[21:24], v[21:22], off
	s_movk_i32 s19, 0x3180
	v_add3_u32 v20, v20, v14, s19
	s_waitcnt vmcnt(0)
	ds_write2_b64 v20, v[21:22], v[23:24] offset1:1
.LBB125_59:
	s_or_b64 exec, exec, s[36:37]
	v_add_co_u32_e32 v7, vcc, v7, v14
	v_addc_co_u32_e32 v8, vcc, 0, v8, vcc
	v_mov_b32_e32 v20, s35
	v_subrev_co_u32_e32 v7, vcc, s34, v7
	v_subb_co_u32_e32 v8, vcc, v8, v20, vcc
	v_add_co_u32_e32 v7, vcc, 0x210, v7
	v_addc_co_u32_e32 v8, vcc, 0, v8, vcc
	v_cndmask_b32_e64 v8, v8, v10, s[14:15]
	v_cndmask_b32_e64 v7, v7, v9, s[14:15]
	s_branch .LBB125_62
.LBB125_60:
                                        ; implicit-def: $vgpr7_vgpr8
	s_cbranch_execz .LBB125_62
; %bb.61:
	s_lshl_b32 s14, s22, 3
	s_ashr_i32 s15, s14, 31
	s_lshl_b64 s[14:15], s[14:15], 4
	v_mov_b32_e32 v8, s15
	v_add_co_u32_e32 v7, vcc, s14, v18
	s_ashr_i32 s23, s22, 31
	v_addc_co_u32_e32 v8, vcc, v19, v8, vcc
	s_lshl_b64 s[14:15], s[22:23], 7
	global_load_dwordx4 v[18:21], v[9:10], off
	global_load_dwordx4 v[22:25], v[7:8], off offset:512
	v_mov_b32_e32 v26, s15
	v_add_co_u32_e32 v7, vcc, s14, v7
	v_addc_co_u32_e32 v8, vcc, v8, v26, vcc
	v_add_co_u32_e32 v34, vcc, s14, v7
	v_addc_co_u32_e32 v35, vcc, v8, v26, vcc
	global_load_dwordx4 v[26:29], v[7:8], off offset:512
	global_load_dwordx4 v[30:33], v[34:35], off offset:512
	s_movk_i32 s14, 0x210
	v_mad_u32_u24 v7, v13, s14, v14
	v_add_u32_e32 v8, 0x1080, v7
	v_add_u32_e32 v34, 0x2100, v7
	;; [unrolled: 1-line block ×3, first 2 shown]
	s_waitcnt vmcnt(3)
	ds_write2_b64 v7, v[18:19], v[20:21] offset1:1
	s_waitcnt vmcnt(2)
	ds_write2_b64 v8, v[22:23], v[24:25] offset1:1
	;; [unrolled: 2-line block ×4, first 2 shown]
	v_mov_b32_e32 v7, v9
	v_mov_b32_e32 v8, v10
.LBB125_62:
	v_lshl_add_u32 v9, v11, 4, v45
	s_waitcnt lgkmcnt(0)
	s_barrier
	s_and_saveexec_b64 s[14:15], s[16:17]
	s_cbranch_execnz .LBB125_87
; %bb.63:
	s_or_b64 exec, exec, s[14:15]
	s_and_saveexec_b64 s[14:15], s[8:9]
	s_cbranch_execnz .LBB125_88
.LBB125_64:
	s_or_b64 exec, exec, s[14:15]
	v_add_u32_e32 v18, 0x210, v16
	s_and_saveexec_b64 s[8:9], s[10:11]
	s_cbranch_execnz .LBB125_89
.LBB125_65:
	s_or_b64 exec, exec, s[8:9]
	v_add_u32_e32 v19, 0x4700, v12
	s_and_saveexec_b64 s[8:9], s[12:13]
	s_cbranch_execz .LBB125_67
.LBB125_66:
	ds_read_b128 v[20:23], v17
	s_waitcnt lgkmcnt(0)
	ds_write_b128 v9, v[20:23] offset:48
.LBB125_67:
	s_or_b64 exec, exec, s[8:9]
	s_waitcnt lgkmcnt(0)
	s_barrier
	ds_read_b128 v[9:12], v19 offset:512
	ds_read_b128 v[20:23], v15
	v_cmp_eq_u32_e64 s[8:9], 1, v13
	s_waitcnt lgkmcnt(0)
	v_mul_f64 v[42:43], v[11:12], v[22:23]
	v_mul_f64 v[47:48], v[9:10], v[22:23]
	ds_read_b128 v[22:25], v16
	ds_read_b128 v[26:29], v19 offset:528
	ds_read_b128 v[30:33], v19 offset:544
	ds_read_b128 v[34:37], v18
	s_waitcnt lgkmcnt(2)
	v_mul_f64 v[51:52], v[28:29], v[24:25]
	v_mul_f64 v[24:25], v[26:27], v[24:25]
	s_waitcnt lgkmcnt(0)
	v_mul_f64 v[53:54], v[32:33], v[36:37]
	v_fma_f64 v[42:43], v[9:10], v[20:21], -v[42:43]
	v_fma_f64 v[20:21], v[11:12], v[20:21], v[47:48]
	v_mul_f64 v[36:37], v[30:31], v[36:37]
	ds_read_b128 v[9:12], v19 offset:560
	ds_read_b128 v[47:50], v17
	s_waitcnt lgkmcnt(0)
	v_fma_f64 v[26:27], v[26:27], v[22:23], -v[51:52]
	v_fma_f64 v[22:23], v[28:29], v[22:23], v[24:25]
	v_fma_f64 v[30:31], v[30:31], v[34:35], -v[53:54]
	v_add_f64 v[24:25], v[42:43], 0
	v_add_f64 v[20:21], v[20:21], 0
	v_mul_f64 v[28:29], v[11:12], v[49:50]
	v_mul_f64 v[42:43], v[9:10], v[49:50]
	v_fma_f64 v[32:33], v[32:33], v[34:35], v[36:37]
	s_barrier
	v_add_f64 v[24:25], v[24:25], v[26:27]
	v_add_f64 v[20:21], v[20:21], v[22:23]
	v_fma_f64 v[9:10], v[9:10], v[47:48], -v[28:29]
	v_fma_f64 v[11:12], v[11:12], v[47:48], v[42:43]
	v_add_f64 v[22:23], v[24:25], v[30:31]
	v_add_f64 v[20:21], v[20:21], v[32:33]
	;; [unrolled: 1-line block ×4, first 2 shown]
	ds_write_b128 v46, v[9:12]
	s_waitcnt lgkmcnt(0)
	s_barrier
	s_and_saveexec_b64 s[10:11], s[8:9]
	s_cbranch_execz .LBB125_69
; %bb.68:
	ds_read_b128 v[2:5], v45
	ds_read_b128 v[9:12], v45 offset:16
	s_waitcnt lgkmcnt(0)
	v_add_f64 v[20:21], v[9:10], v[2:3]
	v_add_f64 v[22:23], v[11:12], v[4:5]
	ds_read_b128 v[2:5], v45 offset:32
	ds_read_b128 v[9:12], v45 offset:48
	s_waitcnt lgkmcnt(1)
	v_add_f64 v[2:3], v[20:21], v[2:3]
	v_add_f64 v[4:5], v[22:23], v[4:5]
	s_waitcnt lgkmcnt(0)
	v_add_f64 v[20:21], v[2:3], v[9:10]
	v_add_f64 v[22:23], v[4:5], v[11:12]
	ds_read_b128 v[2:5], v45 offset:64
	ds_read_b128 v[9:12], v45 offset:80
	s_waitcnt lgkmcnt(1)
	v_add_f64 v[2:3], v[20:21], v[2:3]
	v_add_f64 v[4:5], v[22:23], v[4:5]
	;; [unrolled: 8-line block ×3, first 2 shown]
	s_waitcnt lgkmcnt(0)
	v_add_f64 v[2:3], v[2:3], v[9:10]
	v_add_f64 v[4:5], v[4:5], v[11:12]
.LBB125_69:
	s_or_b64 exec, exec, s[10:11]
	v_add_co_u32_e32 v9, vcc, 0xfffffe00, v7
	v_addc_co_u32_e32 v10, vcc, -1, v8, vcc
	s_and_b64 vcc, exec, s[30:31]
	s_barrier
	s_cbranch_vccz .LBB125_90
; %bb.70:
	v_sub_co_u32_e32 v11, vcc, v7, v14
	s_ashr_i32 s19, s18, 31
	v_subbrev_co_u32_e32 v12, vcc, 0, v8, vcc
	s_lshl_b64 s[12:13], s[18:19], 4
	v_mov_b32_e32 v20, s13
	v_add_co_u32_e32 v11, vcc, s12, v11
	v_addc_co_u32_e32 v12, vcc, v12, v20, vcc
	v_add_co_u32_e32 v11, vcc, 0xfffffdf0, v11
	v_addc_co_u32_e32 v12, vcc, -1, v12, vcc
	v_cmp_gt_i32_e32 vcc, s18, v6
	s_sub_i32 s16, s18, 32
	s_movk_i32 s14, 0x210
	v_cndmask_b32_e32 v12, v12, v10, vcc
	v_cndmask_b32_e32 v11, v11, v9, vcc
	v_cmp_le_i32_e64 s[10:11], s16, v13
	v_mad_u32_u24 v6, v13, s14, v14
	s_and_saveexec_b64 s[14:15], s[10:11]
	s_xor_b64 s[10:11], exec, s[14:15]
; %bb.71:
	v_mov_b32_e32 v20, 0
	v_mov_b32_e32 v21, v20
	;; [unrolled: 1-line block ×4, first 2 shown]
	ds_write_b128 v6, v[20:23]
                                        ; implicit-def: $vgpr6
; %bb.72:
	s_or_saveexec_b64 s[10:11], s[10:11]
	v_mul_u32_u24_e32 v22, 0x210, v13
	s_xor_b64 exec, exec, s[10:11]
	s_cbranch_execz .LBB125_74
; %bb.73:
	global_load_dwordx4 v[23:26], v[11:12], off
	s_waitcnt vmcnt(0)
	ds_write2_b64 v6, v[23:24], v[25:26] offset1:1
.LBB125_74:
	s_or_b64 exec, exec, s[10:11]
	v_add_u32_e32 v6, 8, v13
	v_cmp_le_i32_e64 s[10:11], s16, v6
	v_add_u32_e32 v23, v22, v14
	s_and_saveexec_b64 s[14:15], s[10:11]
	s_xor_b64 s[10:11], exec, s[14:15]
; %bb.75:
	v_mov_b32_e32 v24, 0
	v_mov_b32_e32 v25, v24
	;; [unrolled: 1-line block ×4, first 2 shown]
	ds_write_b128 v23, v[24:27] offset:4224
; %bb.76:
	s_andn2_saveexec_b64 s[14:15], s[10:11]
	s_cbranch_execz .LBB125_78
; %bb.77:
	s_lshl_b32 s10, s22, 3
	s_ashr_i32 s11, s10, 31
	s_lshl_b64 s[10:11], s[10:11], 4
	v_mov_b32_e32 v21, s11
	v_add_co_u32_e64 v20, s[10:11], s10, v11
	v_addc_co_u32_e64 v21, s[10:11], v12, v21, s[10:11]
	global_load_dwordx4 v[24:27], v[20:21], off
	s_movk_i32 s10, 0x1080
	v_add3_u32 v20, v22, v14, s10
	s_waitcnt vmcnt(0)
	ds_write2_b64 v20, v[24:25], v[26:27] offset1:1
.LBB125_78:
	s_or_b64 exec, exec, s[14:15]
	v_add_u32_e32 v21, 16, v13
	v_cmp_le_i32_e64 s[10:11], s16, v21
	s_and_saveexec_b64 s[14:15], s[10:11]
	s_xor_b64 s[10:11], exec, s[14:15]
; %bb.79:
	v_mov_b32_e32 v24, 0
	v_mov_b32_e32 v25, v24
	;; [unrolled: 1-line block ×4, first 2 shown]
	ds_write_b128 v23, v[24:27] offset:8448
; %bb.80:
	s_andn2_saveexec_b64 s[14:15], s[10:11]
	s_cbranch_execz .LBB125_82
; %bb.81:
	s_lshl_b32 s10, s22, 4
	s_ashr_i32 s11, s10, 31
	s_lshl_b64 s[10:11], s[10:11], 4
	v_mov_b32_e32 v20, s11
	v_add_co_u32_e64 v24, s[10:11], s10, v11
	v_addc_co_u32_e64 v25, s[10:11], v12, v20, s[10:11]
	global_load_dwordx4 v[24:27], v[24:25], off
	s_movk_i32 s10, 0x2100
	v_add3_u32 v20, v22, v14, s10
	s_waitcnt vmcnt(0)
	ds_write2_b64 v20, v[24:25], v[26:27] offset1:1
.LBB125_82:
	s_or_b64 exec, exec, s[14:15]
	v_add_u32_e32 v20, 24, v13
	v_cmp_le_i32_e64 s[10:11], s16, v20
	s_and_saveexec_b64 s[14:15], s[10:11]
	s_xor_b64 s[10:11], exec, s[14:15]
; %bb.83:
	v_mov_b32_e32 v24, 0
	v_mov_b32_e32 v25, v24
	;; [unrolled: 1-line block ×4, first 2 shown]
	ds_write_b128 v23, v[24:27] offset:12672
                                        ; implicit-def: $vgpr22
; %bb.84:
	s_andn2_saveexec_b64 s[14:15], s[10:11]
	s_cbranch_execz .LBB125_86
; %bb.85:
	s_mul_i32 s10, s22, 24
	s_ashr_i32 s11, s10, 31
	s_lshl_b64 s[10:11], s[10:11], 4
	v_mov_b32_e32 v24, s11
	v_add_co_u32_e64 v23, s[10:11], s10, v11
	v_addc_co_u32_e64 v24, s[10:11], v12, v24, s[10:11]
	global_load_dwordx4 v[23:26], v[23:24], off
	s_movk_i32 s10, 0x3180
	v_add3_u32 v22, v22, v14, s10
	s_waitcnt vmcnt(0)
	ds_write2_b64 v22, v[23:24], v[25:26] offset1:1
.LBB125_86:
	s_or_b64 exec, exec, s[14:15]
	v_add_co_u32_e64 v11, s[10:11], v11, v14
	v_addc_co_u32_e64 v12, s[10:11], 0, v12, s[10:11]
	v_mov_b32_e32 v22, s13
	v_subrev_co_u32_e64 v11, s[10:11], s12, v11
	v_subb_co_u32_e64 v12, s[10:11], v12, v22, s[10:11]
	v_add_co_u32_e64 v11, s[10:11], 16, v11
	v_addc_co_u32_e64 v12, s[10:11], 0, v12, s[10:11]
	v_cndmask_b32_e32 v43, v12, v10, vcc
	v_cndmask_b32_e32 v42, v11, v9, vcc
	s_branch .LBB125_92
.LBB125_87:
	ds_read_b128 v[18:21], v15
	s_waitcnt lgkmcnt(0)
	ds_write_b128 v9, v[18:21]
	s_or_b64 exec, exec, s[14:15]
	s_and_saveexec_b64 s[14:15], s[8:9]
	s_cbranch_execz .LBB125_64
.LBB125_88:
	ds_read_b128 v[18:21], v16
	s_waitcnt lgkmcnt(0)
	ds_write_b128 v9, v[18:21] offset:16
	s_or_b64 exec, exec, s[14:15]
	v_add_u32_e32 v18, 0x210, v16
	s_and_saveexec_b64 s[8:9], s[10:11]
	s_cbranch_execz .LBB125_65
.LBB125_89:
	ds_read_b128 v[19:22], v18
	s_waitcnt lgkmcnt(0)
	ds_write_b128 v9, v[19:22] offset:32
	s_or_b64 exec, exec, s[8:9]
	v_add_u32_e32 v19, 0x4700, v12
	s_and_saveexec_b64 s[8:9], s[12:13]
	s_cbranch_execnz .LBB125_66
	s_branch .LBB125_67
.LBB125_90:
                                        ; implicit-def: $vgpr42_vgpr43
                                        ; implicit-def: $vgpr6
                                        ; implicit-def: $vgpr21
                                        ; implicit-def: $vgpr20
	s_cbranch_execz .LBB125_92
; %bb.91:
	s_lshl_b32 s10, s22, 3
	s_ashr_i32 s11, s10, 31
	s_lshl_b64 s[10:11], s[10:11], 4
	v_mov_b32_e32 v11, s11
	v_add_co_u32_e32 v6, vcc, s10, v7
	s_ashr_i32 s23, s22, 31
	v_addc_co_u32_e32 v7, vcc, v8, v11, vcc
	s_lshl_b64 s[10:11], s[22:23], 7
	global_load_dwordx4 v[22:25], v[9:10], off
	global_load_dwordx4 v[26:29], v[6:7], off offset:-512
	v_mov_b32_e32 v8, s11
	v_add_co_u32_e32 v6, vcc, s10, v6
	v_addc_co_u32_e32 v7, vcc, v7, v8, vcc
	v_add_co_u32_e32 v11, vcc, s10, v6
	v_addc_co_u32_e32 v12, vcc, v7, v8, vcc
	global_load_dwordx4 v[30:33], v[6:7], off offset:-512
	global_load_dwordx4 v[34:37], v[11:12], off offset:-512
	s_movk_i32 s10, 0x210
	v_mov_b32_e32 v43, v10
	v_add_u32_e32 v6, 8, v13
	v_add_u32_e32 v21, 16, v13
	;; [unrolled: 1-line block ×3, first 2 shown]
	v_mad_u32_u24 v7, v13, s10, v14
	v_mov_b32_e32 v42, v9
	v_add_u32_e32 v8, 0x1080, v7
	v_add_u32_e32 v11, 0x2100, v7
	;; [unrolled: 1-line block ×3, first 2 shown]
	s_waitcnt vmcnt(3)
	ds_write2_b64 v7, v[22:23], v[24:25] offset1:1
	s_waitcnt vmcnt(2)
	ds_write2_b64 v8, v[26:27], v[28:29] offset1:1
	;; [unrolled: 2-line block ×4, first 2 shown]
.LBB125_92:
	v_lshlrev_b32_e32 v11, 4, v13
	v_lshlrev_b32_e32 v6, 4, v6
	v_add_u32_e32 v7, v45, v11
	v_add_u32_e32 v22, v45, v6
	s_waitcnt lgkmcnt(0)
	s_barrier
	ds_read_b128 v[7:10], v7
	ds_read_b128 v[11:14], v11 offset:18176
	ds_read_b128 v[22:25], v22
	ds_read_b128 v[26:29], v6 offset:18176
	v_lshlrev_b32_e32 v6, 4, v21
	v_add_u32_e32 v21, v45, v6
	ds_read_b128 v[30:33], v21
	ds_read_b128 v[34:37], v6 offset:18176
	s_waitcnt lgkmcnt(4)
	v_mul_f64 v[47:48], v[9:10], v[13:14]
	v_mul_f64 v[13:14], v[7:8], v[13:14]
	s_waitcnt lgkmcnt(2)
	v_mul_f64 v[49:50], v[24:25], v[28:29]
	v_mul_f64 v[28:29], v[22:23], v[28:29]
	v_fma_f64 v[6:7], v[7:8], v[11:12], -v[47:48]
	s_waitcnt lgkmcnt(0)
	v_mul_f64 v[47:48], v[32:33], v[36:37]
	v_fma_f64 v[21:22], v[22:23], v[26:27], -v[49:50]
	v_fma_f64 v[49:50], v[9:10], v[11:12], v[13:14]
	v_mul_f64 v[36:37], v[30:31], v[36:37]
	v_fma_f64 v[23:24], v[24:25], v[26:27], v[28:29]
	v_lshlrev_b32_e32 v10, 4, v20
	v_add_f64 v[51:52], v[6:7], 0
	v_add_u32_e32 v6, v45, v10
	ds_read_b128 v[6:9], v6
	ds_read_b128 v[10:13], v10 offset:18176
	v_add_f64 v[25:26], v[49:50], 0
	v_fma_f64 v[27:28], v[30:31], v[34:35], -v[47:48]
	v_fma_f64 v[31:32], v[32:33], v[34:35], v[36:37]
	s_waitcnt lgkmcnt(0)
	v_mul_f64 v[29:30], v[8:9], v[12:13]
	v_add_f64 v[20:21], v[51:52], v[21:22]
	v_mul_f64 v[12:13], v[6:7], v[12:13]
	v_add_f64 v[22:23], v[25:26], v[23:24]
	v_fma_f64 v[47:48], v[6:7], v[10:11], -v[29:30]
	v_fma_f64 v[10:11], v[8:9], v[10:11], v[12:13]
	v_add_f64 v[12:13], v[20:21], v[27:28]
	v_add_f64 v[20:21], v[22:23], v[31:32]
	ds_read_b128 v[22:25], v19 offset:528
	ds_read_b128 v[6:9], v19 offset:544
	;; [unrolled: 1-line block ×3, first 2 shown]
	ds_read_b128 v[34:37], v15
	v_add_f64 v[47:48], v[12:13], v[47:48]
	v_add_f64 v[49:50], v[20:21], v[10:11]
	ds_read_b128 v[10:13], v19 offset:560
	ds_read_b128 v[26:29], v16
	ds_read_b128 v[18:21], v18
	;; [unrolled: 1-line block ×3, first 2 shown]
	s_waitcnt lgkmcnt(0)
	s_barrier
	ds_write_b128 v46, v[47:50]
	s_waitcnt lgkmcnt(0)
	s_barrier
	s_and_saveexec_b64 s[10:11], s[8:9]
	s_cbranch_execz .LBB125_94
; %bb.93:
	ds_read_b128 v[47:50], v45
	ds_read_b128 v[51:54], v45 offset:16
	s_waitcnt lgkmcnt(1)
	v_add_f64 v[2:3], v[2:3], v[47:48]
	v_add_f64 v[4:5], v[4:5], v[49:50]
	s_waitcnt lgkmcnt(0)
	v_add_f64 v[51:52], v[2:3], v[51:52]
	v_add_f64 v[53:54], v[4:5], v[53:54]
	ds_read_b128 v[2:5], v45 offset:32
	ds_read_b128 v[47:50], v45 offset:48
	s_waitcnt lgkmcnt(1)
	v_add_f64 v[2:3], v[51:52], v[2:3]
	v_add_f64 v[4:5], v[53:54], v[4:5]
	s_waitcnt lgkmcnt(0)
	v_add_f64 v[51:52], v[2:3], v[47:48]
	v_add_f64 v[53:54], v[4:5], v[49:50]
	ds_read_b128 v[2:5], v45 offset:64
	;; [unrolled: 8-line block ×3, first 2 shown]
	ds_read_b128 v[47:50], v45 offset:112
	s_waitcnt lgkmcnt(1)
	v_add_f64 v[2:3], v[51:52], v[2:3]
	v_add_f64 v[4:5], v[53:54], v[4:5]
	s_waitcnt lgkmcnt(0)
	v_add_f64 v[2:3], v[2:3], v[47:48]
	v_add_f64 v[4:5], v[4:5], v[49:50]
.LBB125_94:
	s_or_b64 exec, exec, s[10:11]
	v_mul_f64 v[47:48], v[32:33], v[36:37]
	v_mul_f64 v[36:37], v[30:31], v[36:37]
	;; [unrolled: 1-line block ×4, first 2 shown]
	s_barrier
	v_fma_f64 v[30:31], v[30:31], v[34:35], -v[47:48]
	v_fma_f64 v[32:33], v[32:33], v[34:35], v[36:37]
	v_mul_f64 v[34:35], v[8:9], v[20:21]
	v_mul_f64 v[20:21], v[6:7], v[20:21]
	v_fma_f64 v[22:23], v[22:23], v[26:27], -v[49:50]
	v_fma_f64 v[24:25], v[24:25], v[26:27], v[28:29]
	v_add_f64 v[26:27], v[30:31], 0
	v_add_f64 v[28:29], v[32:33], 0
	v_mul_f64 v[30:31], v[12:13], v[16:17]
	v_mul_f64 v[16:17], v[10:11], v[16:17]
	v_fma_f64 v[6:7], v[6:7], v[18:19], -v[34:35]
	v_fma_f64 v[8:9], v[8:9], v[18:19], v[20:21]
	v_add_f64 v[18:19], v[26:27], v[22:23]
	v_add_f64 v[20:21], v[28:29], v[24:25]
	v_fma_f64 v[10:11], v[10:11], v[14:15], -v[30:31]
	v_fma_f64 v[12:13], v[12:13], v[14:15], v[16:17]
	v_add_f64 v[6:7], v[18:19], v[6:7]
	v_add_f64 v[8:9], v[20:21], v[8:9]
	;; [unrolled: 1-line block ×4, first 2 shown]
	ds_write_b128 v46, v[6:9]
	s_waitcnt lgkmcnt(0)
	s_barrier
	s_and_saveexec_b64 s[8:9], s[2:3]
	s_cbranch_execz .LBB125_96
; %bb.95:
	ds_read_b128 v[6:9], v45
	ds_read_b128 v[10:13], v45 offset:16
	s_waitcnt lgkmcnt(1)
	v_add_f64 v[2:3], v[2:3], v[6:7]
	v_add_f64 v[4:5], v[4:5], v[8:9]
	s_waitcnt lgkmcnt(0)
	v_add_f64 v[10:11], v[2:3], v[10:11]
	v_add_f64 v[12:13], v[4:5], v[12:13]
	ds_read_b128 v[2:5], v45 offset:32
	ds_read_b128 v[6:9], v45 offset:48
	s_waitcnt lgkmcnt(1)
	v_add_f64 v[2:3], v[10:11], v[2:3]
	v_add_f64 v[4:5], v[12:13], v[4:5]
	s_waitcnt lgkmcnt(0)
	v_add_f64 v[10:11], v[2:3], v[6:7]
	v_add_f64 v[12:13], v[4:5], v[8:9]
	ds_read_b128 v[2:5], v45 offset:64
	;; [unrolled: 8-line block ×3, first 2 shown]
	ds_read_b128 v[6:9], v45 offset:112
	s_waitcnt lgkmcnt(1)
	v_add_f64 v[2:3], v[10:11], v[2:3]
	v_add_f64 v[4:5], v[12:13], v[4:5]
	s_waitcnt lgkmcnt(0)
	v_add_f64 v[2:3], v[2:3], v[6:7]
	v_add_f64 v[4:5], v[4:5], v[8:9]
.LBB125_96:
	s_or_b64 exec, exec, s[8:9]
	s_load_dwordx2 s[2:3], s[4:5], 0x78
	s_mul_hi_u32 s4, s40, s7
	s_mul_i32 s41, s41, s7
	s_add_i32 s4, s4, s41
	s_mul_i32 s7, s40, s7
	s_mul_i32 s4, s4, s33
	s_mul_hi_u32 s5, s7, s33
	s_add_i32 s5, s5, s4
	s_mul_i32 s4, s7, s33
	s_lshl_b64 s[4:5], s[4:5], 4
	s_waitcnt lgkmcnt(0)
	s_add_u32 s4, s2, s4
	s_addc_u32 s5, s3, s5
	s_mul_hi_i32 s3, s40, s6
	s_mul_i32 s2, s40, s6
	s_lshl_b64 s[2:3], s[2:3], 4
	s_add_u32 s7, s4, s2
	s_addc_u32 s19, s5, s3
	s_add_i32 s8, s6, 1
	s_cmp_ge_u32 s8, s33
	v_lshlrev_b32_e32 v170, 4, v0
	s_barrier
	s_cbranch_scc1 .LBB125_154
; %bb.97:
	s_mul_i32 s2, s39, s24
	s_ashr_i32 s3, s2, 31
	v_lshlrev_b32_e32 v171, 2, v1
	s_lshl_b64 s[2:3], s[2:3], 4
	v_mov_b32_e32 v8, s3
	v_mad_u64_u32 v[6:7], s[4:5], s22, v171, v[0:1]
	v_subrev_co_u32_e32 v172, vcc, s2, v38
	v_subb_co_u32_e32 v173, vcc, v39, v8, vcc
	v_lshrrev_b32_e32 v8, 4, v44
	v_mov_b32_e32 v10, 0x4300
	v_lshl_add_u32 v175, v1, 6, v10
	v_lshlrev_b32_e32 v10, 6, v8
	v_mul_i32_i24_e32 v12, 0xffffffd0, v8
	v_and_b32_e32 v8, 48, v0
	v_and_b32_e32 v9, 15, v0
	s_movk_i32 s4, 0x430
	v_lshlrev_b32_e32 v8, 4, v8
	v_ashrrev_i32_e32 v7, 31, v6
	v_mad_u32_u24 v179, v9, s4, v8
	v_or_b32_e32 v8, 0xf0, v170
	v_mad_u32_u24 v178, v9, s4, v10
	v_mad_u32_u24 v180, v9, s4, v8
	v_sub_co_u32_e32 v196, vcc, 0, v40
	v_lshlrev_b64 v[8:9], 4, v[6:7]
	v_subb_co_u32_e32 v197, vcc, 0, v41, vcc
	v_mov_b32_e32 v10, s27
	v_add_co_u32_e32 v11, vcc, s26, v8
	v_addc_co_u32_e32 v10, vcc, v10, v9, vcc
	v_add_co_u32_e32 v11, vcc, v42, v11
	v_addc_co_u32_e32 v10, vcc, v43, v10, vcc
	;; [unrolled: 2-line block ×3, first 2 shown]
	v_mov_b32_e32 v10, s29
	v_add_co_u32_e32 v6, vcc, s28, v6
	v_addc_co_u32_e32 v7, vcc, v10, v7, vcc
	v_lshlrev_b64 v[6:7], 4, v[6:7]
	s_lshl_b32 s14, s22, 4
	s_lshl_b32 s25, s39, 6
	s_mul_i32 s39, s39, s8
	v_mad_i64_i32 v[10:11], s[8:9], s14, 48, v[6:7]
	s_mul_i32 s30, s22, 3
	s_ashr_i32 s31, s30, 31
	s_lshl_b64 s[8:9], s[30:31], 4
	s_ashr_i32 s15, s14, 31
	s_ashr_i32 s23, s22, 31
	s_lshl_b32 s16, s22, 1
	v_mov_b32_e32 v13, s9
	v_add_co_u32_e32 v14, vcc, s8, v10
	s_add_i32 s24, s33, -2
	s_ashr_i32 s17, s16, 31
	s_lshl_b64 s[4:5], s[22:23], 4
	s_lshl_b32 s10, s39, 6
	s_lshl_b64 s[12:13], s[14:15], 6
	s_mul_i32 s11, s22, 0x300
	v_addc_co_u32_e32 v13, vcc, v11, v13, vcc
	s_lshl_b64 s[22:23], s[22:23], 5
	v_add_co_u32_e32 v200, vcc, v42, v14
	s_add_u32 s28, s22, s26
	v_addc_co_u32_e32 v201, vcc, v43, v13, vcc
	s_addc_u32 s29, s23, s27
	v_mov_b32_e32 v13, s29
	v_add_co_u32_e32 v14, vcc, s28, v8
	v_addc_co_u32_e32 v13, vcc, v13, v9, vcc
	s_mul_hi_i32 s34, s14, 48
	v_add_co_u32_e32 v202, vcc, v42, v14
	s_add_u32 s11, s11, s22
	v_addc_co_u32_e32 v203, vcc, v43, v13, vcc
	s_addc_u32 s22, s34, s23
	v_mov_b32_e32 v13, s22
	v_add_co_u32_e32 v6, vcc, s11, v6
	v_addc_co_u32_e32 v7, vcc, v13, v7, vcc
	v_add_co_u32_e32 v6, vcc, v42, v6
	v_addc_co_u32_e32 v7, vcc, v43, v7, vcc
	v_add_co_u32_e32 v204, vcc, 8, v6
	s_add_u32 s11, s4, s26
	v_addc_co_u32_e32 v205, vcc, 0, v7, vcc
	s_addc_u32 s30, s5, s27
	v_mov_b32_e32 v6, s30
	v_add_co_u32_e32 v7, vcc, s11, v8
	v_addc_co_u32_e32 v6, vcc, v6, v9, vcc
	v_add_co_u32_e32 v7, vcc, v42, v7
	v_addc_co_u32_e32 v6, vcc, v43, v6, vcc
	;; [unrolled: 2-line block ×3, first 2 shown]
	s_lshl_b64 s[16:17], s[16:17], 4
	v_mov_b32_e32 v6, s17
	v_add_co_u32_e32 v7, vcc, s16, v10
	v_addc_co_u32_e32 v6, vcc, v11, v6, vcc
	v_add_co_u32_e32 v208, vcc, v42, v7
	s_add_u32 s22, s26, s16
	v_addc_co_u32_e32 v209, vcc, v43, v6, vcc
	s_addc_u32 s23, s27, s17
	v_mov_b32_e32 v6, s23
	v_add_co_u32_e32 v7, vcc, s22, v8
	v_addc_co_u32_e32 v6, vcc, v6, v9, vcc
	v_add_co_u32_e32 v7, vcc, v42, v7
	v_addc_co_u32_e32 v6, vcc, v43, v6, vcc
	;; [unrolled: 2-line block ×3, first 2 shown]
	v_mov_b32_e32 v6, s5
	v_add_co_u32_e32 v7, vcc, s4, v10
	v_addc_co_u32_e32 v6, vcc, v11, v6, vcc
	v_add_co_u32_e32 v212, vcc, v42, v7
	s_add_u32 s22, s26, s8
	v_addc_co_u32_e32 v213, vcc, v43, v6, vcc
	s_addc_u32 s23, s27, s9
	v_mov_b32_e32 v6, s23
	v_add_co_u32_e32 v7, vcc, s22, v8
	v_addc_co_u32_e32 v6, vcc, v6, v9, vcc
	v_add_co_u32_e32 v7, vcc, v42, v7
	v_addc_co_u32_e32 v6, vcc, v43, v6, vcc
	;; [unrolled: 2-line block ×3, first 2 shown]
	s_lshl_b64 s[22:23], s[14:15], 4
	v_add_co_u32_e32 v216, vcc, v42, v10
	s_add_u32 s31, s26, s22
	v_addc_co_u32_e32 v217, vcc, v43, v11, vcc
	s_addc_u32 s34, s27, s23
	v_mov_b32_e32 v6, s34
	v_add_co_u32_e32 v7, vcc, s31, v8
	v_addc_co_u32_e32 v6, vcc, v6, v9, vcc
	s_lshl_b64 s[14:15], s[14:15], 5
	v_add_co_u32_e32 v7, vcc, v42, v7
	s_add_u32 s26, s14, s26
	v_addc_co_u32_e32 v6, vcc, v43, v6, vcc
	s_addc_u32 s27, s15, s27
	v_add_co_u32_e32 v218, vcc, 8, v7
	s_add_u32 s35, s26, s8
	v_addc_co_u32_e32 v219, vcc, 0, v6, vcc
	s_addc_u32 s36, s27, s9
	v_mov_b32_e32 v6, s36
	v_add_co_u32_e32 v7, vcc, s35, v8
	v_addc_co_u32_e32 v6, vcc, v6, v9, vcc
	v_add_co_u32_e32 v220, vcc, v42, v7
	s_add_u32 s11, s11, s22
	v_addc_co_u32_e32 v221, vcc, v43, v6, vcc
	s_addc_u32 s30, s30, s23
	v_mov_b32_e32 v6, s30
	v_add_co_u32_e32 v7, vcc, s11, v8
	v_addc_co_u32_e32 v6, vcc, v6, v9, vcc
	v_add_co_u32_e32 v7, vcc, v42, v7
	v_addc_co_u32_e32 v6, vcc, v43, v6, vcc
	v_add_co_u32_e32 v222, vcc, 8, v7
	s_add_u32 s11, s28, s14
	v_addc_co_u32_e32 v223, vcc, 0, v6, vcc
	s_addc_u32 s14, s29, s15
	v_mov_b32_e32 v6, s14
	v_add_co_u32_e32 v7, vcc, s11, v8
	v_addc_co_u32_e32 v6, vcc, v6, v9, vcc
	;; [unrolled: 9-line block ×4, first 2 shown]
	v_add_co_u32_e32 v228, vcc, v42, v7
	s_add_u32 s11, s28, s22
	v_addc_co_u32_e32 v229, vcc, v43, v6, vcc
	s_addc_u32 s14, s29, s23
	v_mov_b32_e32 v6, s14
	v_add_co_u32_e32 v7, vcc, s11, v8
	v_addc_co_u32_e32 v6, vcc, v6, v9, vcc
	v_add_co_u32_e32 v230, vcc, v42, v7
	s_add_u32 s4, s26, s4
	v_addc_co_u32_e32 v231, vcc, v43, v6, vcc
	s_addc_u32 s5, s27, s5
	v_mov_b32_e32 v6, s5
	v_add_co_u32_e32 v7, vcc, s4, v8
	v_addc_co_u32_e32 v6, vcc, v6, v9, vcc
	;; [unrolled: 7-line block ×3, first 2 shown]
	v_add_co_u32_e32 v7, vcc, v42, v7
	v_addc_co_u32_e32 v6, vcc, v43, v6, vcc
	v_add_co_u32_e32 v234, vcc, 8, v7
	v_addc_co_u32_e32 v235, vcc, 0, v6, vcc
	v_mov_b32_e32 v6, s27
	v_add_co_u32_e32 v7, vcc, s26, v8
	v_addc_co_u32_e32 v6, vcc, v6, v9, vcc
	v_add_co_u32_e32 v7, vcc, v42, v7
	v_addc_co_u32_e32 v6, vcc, v43, v6, vcc
	s_movk_i32 s2, 0x10c0
	v_add_co_u32_e32 v236, vcc, 8, v7
	v_add_u32_e32 v174, 0x4300, v170
	v_add_u32_e32 v176, 0x4700, v170
	v_mad_u32_u24 v177, v1, s2, v170
	v_cmp_gt_u32_e64 s[2:3], 64, v44
	v_or_b32_e32 v181, 1, v171
	v_or_b32_e32 v182, 2, v171
	;; [unrolled: 1-line block ×3, first 2 shown]
	v_add_u32_e32 v184, 16, v171
	v_add_u32_e32 v185, 17, v171
	;; [unrolled: 1-line block ×13, first 2 shown]
	v_addc_co_u32_e32 v237, vcc, 0, v6, vcc
	v_add_u32_e32 v238, v178, v12
	v_mov_b32_e32 v6, 0
	s_cmp_eq_u32 s24, s6
	s_cselect_b32 s22, s38, 0
	s_and_saveexec_b64 s[4:5], s[0:1]
	s_cbranch_execz .LBB125_102
.LBB125_98:
	s_cmp_lg_u32 s22, 0
	s_cselect_b64 s[8:9], -1, 0
	v_cmp_le_i32_e32 vcc, s22, v0
	s_and_b64 s[8:9], s[8:9], vcc
	s_and_saveexec_b64 s[14:15], s[8:9]
	s_xor_b64 s[8:9], exec, s[14:15]
; %bb.99:
	v_mov_b32_e32 v7, v6
	v_mov_b32_e32 v8, v6
	;; [unrolled: 1-line block ×3, first 2 shown]
	ds_write_b128 v174, v[6:9]
; %bb.100:
	s_andn2_saveexec_b64 s[8:9], s[8:9]
	s_cbranch_execz .LBB125_102
; %bb.101:
	s_ashr_i32 s11, s10, 31
	s_lshl_b64 s[8:9], s[10:11], 4
	v_mov_b32_e32 v8, s9
	v_add_co_u32_e32 v7, vcc, s8, v172
	v_addc_co_u32_e32 v8, vcc, v173, v8, vcc
	global_load_dwordx4 v[7:10], v[7:8], off
	s_waitcnt vmcnt(0)
	ds_write2_b64 v174, v[7:8], v[9:10] offset1:1
.LBB125_102:                            ; =>This Inner Loop Header: Depth=1
	s_or_b64 exec, exec, s[4:5]
	s_cmp_eq_u32 s22, 0
	v_add_co_u32_e32 v19, vcc, v198, v196
	s_cselect_b64 s[14:15], -1, 0
	s_cmp_lg_u32 s22, 0
	v_addc_co_u32_e32 v20, vcc, v199, v197, vcc
	s_cselect_b64 s[8:9], -1, 0
	s_and_b64 vcc, exec, s[8:9]
	s_waitcnt lgkmcnt(0)
	s_barrier
	s_cbranch_vccz .LBB125_110
; %bb.103:                              ;   in Loop: Header=BB125_102 Depth=1
	v_mov_b32_e32 v11, 0
	v_mov_b32_e32 v7, 0
	;; [unrolled: 1-line block ×6, first 2 shown]
	v_cmp_gt_i32_e32 vcc, s22, v171
	s_and_saveexec_b64 s[4:5], vcc
	s_cbranch_execz .LBB125_105
; %bb.104:                              ;   in Loop: Header=BB125_102 Depth=1
	global_load_dwordx4 v[7:10], v[19:20], off offset:-8
.LBB125_105:                            ;   in Loop: Header=BB125_102 Depth=1
	s_or_b64 exec, exec, s[4:5]
	v_mov_b32_e32 v13, 0
	v_mov_b32_e32 v14, 0
	v_cmp_gt_i32_e32 vcc, s22, v181
	s_and_saveexec_b64 s[4:5], vcc
	s_cbranch_execz .LBB125_107
; %bb.106:                              ;   in Loop: Header=BB125_102 Depth=1
	v_add_co_u32_e32 v11, vcc, v206, v196
	v_addc_co_u32_e32 v12, vcc, v207, v197, vcc
	global_load_dwordx4 v[11:14], v[11:12], off offset:-8
.LBB125_107:                            ;   in Loop: Header=BB125_102 Depth=1
	s_or_b64 exec, exec, s[4:5]
	v_mov_b32_e32 v15, 0
	v_mov_b32_e32 v17, 0
	;; [unrolled: 1-line block ×4, first 2 shown]
	v_cmp_gt_i32_e32 vcc, s22, v182
	s_and_saveexec_b64 s[4:5], vcc
	s_cbranch_execz .LBB125_109
; %bb.108:                              ;   in Loop: Header=BB125_102 Depth=1
	v_add_co_u32_e32 v15, vcc, v210, v196
	v_addc_co_u32_e32 v16, vcc, v211, v197, vcc
	global_load_dwordx4 v[15:18], v[15:16], off offset:-8
.LBB125_109:                            ;   in Loop: Header=BB125_102 Depth=1
	s_or_b64 exec, exec, s[4:5]
	v_cmp_gt_i32_e64 s[4:5], s22, v183
	s_branch .LBB125_112
.LBB125_110:                            ;   in Loop: Header=BB125_102 Depth=1
	s_mov_b64 s[4:5], 0
                                        ; implicit-def: $vgpr17_vgpr18
                                        ; implicit-def: $vgpr13_vgpr14
                                        ; implicit-def: $vgpr9_vgpr10
	s_cbranch_execz .LBB125_112
; %bb.111:                              ;   in Loop: Header=BB125_102 Depth=1
	s_waitcnt vmcnt(0)
	v_add_co_u32_e32 v11, vcc, v206, v196
	v_addc_co_u32_e32 v12, vcc, v207, v197, vcc
	v_add_co_u32_e32 v15, vcc, v202, v196
	v_addc_co_u32_e32 v16, vcc, v203, v197, vcc
	global_load_dwordx4 v[7:10], v[19:20], off offset:-8
	s_or_b64 s[4:5], s[4:5], exec
	global_load_dwordx4 v[11:14], v[11:12], off offset:-8
	s_nop 0
	global_load_dwordx4 v[15:18], v[15:16], off
.LBB125_112:                            ;   in Loop: Header=BB125_102 Depth=1
	v_mov_b32_e32 v19, 0
	v_mov_b32_e32 v21, 0
	;; [unrolled: 1-line block ×4, first 2 shown]
	s_and_saveexec_b64 s[16:17], s[4:5]
	s_cbranch_execz .LBB125_114
; %bb.113:                              ;   in Loop: Header=BB125_102 Depth=1
	v_add_co_u32_e32 v19, vcc, v214, v196
	v_addc_co_u32_e32 v20, vcc, v215, v197, vcc
	global_load_dwordx4 v[19:22], v[19:20], off offset:-8
.LBB125_114:                            ;   in Loop: Header=BB125_102 Depth=1
	s_or_b64 exec, exec, s[16:17]
	ds_read_b128 v[23:26], v176
	s_andn2_b64 vcc, exec, s[8:9]
	s_waitcnt vmcnt(0) lgkmcnt(0)
	v_mul_f64 v[27:28], v[9:10], v[25:26]
	v_mul_f64 v[29:30], v[7:8], v[25:26]
	;; [unrolled: 1-line block ×8, first 2 shown]
	v_fma_f64 v[27:28], v[7:8], v[23:24], -v[27:28]
	v_fma_f64 v[29:30], v[9:10], v[23:24], v[29:30]
	v_fma_f64 v[31:32], v[11:12], v[23:24], -v[31:32]
	v_fma_f64 v[33:34], v[13:14], v[23:24], v[33:34]
	;; [unrolled: 2-line block ×4, first 2 shown]
	ds_read_b128 v[47:50], v175
	ds_read_b128 v[43:46], v175 offset:16
	ds_read_b128 v[35:38], v175 offset:32
	;; [unrolled: 1-line block ×3, first 2 shown]
	ds_write_b128 v177, v[27:30]
	ds_write_b128 v177, v[31:34] offset:1072
	ds_write_b128 v177, v[39:42] offset:2144
	;; [unrolled: 1-line block ×3, first 2 shown]
	s_waitcnt lgkmcnt(0)
	s_barrier
	ds_read_b128 v[131:134], v178
	ds_read_b128 v[127:130], v178 offset:16
	ds_read_b128 v[123:126], v178 offset:32
	;; [unrolled: 1-line block ×3, first 2 shown]
	v_cndmask_b32_e64 v27, 0, 1, s[8:9]
	v_add_co_u32_e64 v51, s[8:9], v218, v196
	v_cmp_ne_u32_e64 s[4:5], 1, v27
	v_addc_co_u32_e64 v52, s[8:9], v219, v197, s[8:9]
	s_waitcnt lgkmcnt(0)
	s_barrier
	s_cbranch_vccnz .LBB125_122
; %bb.115:                              ;   in Loop: Header=BB125_102 Depth=1
	v_mov_b32_e32 v27, 0
	v_mov_b32_e32 v31, 0
	;; [unrolled: 1-line block ×6, first 2 shown]
	v_cmp_gt_i32_e32 vcc, s22, v184
	s_and_saveexec_b64 s[8:9], vcc
	s_cbranch_execz .LBB125_117
; %bb.116:                              ;   in Loop: Header=BB125_102 Depth=1
	global_load_dwordx4 v[31:34], v[51:52], off offset:-8
.LBB125_117:                            ;   in Loop: Header=BB125_102 Depth=1
	s_or_b64 exec, exec, s[8:9]
	v_mov_b32_e32 v29, 0
	v_mov_b32_e32 v30, 0
	v_cmp_gt_i32_e32 vcc, s22, v185
	s_and_saveexec_b64 s[8:9], vcc
	s_cbranch_execz .LBB125_119
; %bb.118:                              ;   in Loop: Header=BB125_102 Depth=1
	v_add_co_u32_e32 v27, vcc, v222, v196
	v_addc_co_u32_e32 v28, vcc, v223, v197, vcc
	global_load_dwordx4 v[27:30], v[27:28], off offset:-8
.LBB125_119:                            ;   in Loop: Header=BB125_102 Depth=1
	s_or_b64 exec, exec, s[8:9]
	v_mov_b32_e32 v39, 0
	v_mov_b32_e32 v41, 0
	;; [unrolled: 1-line block ×4, first 2 shown]
	v_cmp_gt_i32_e32 vcc, s22, v186
	s_and_saveexec_b64 s[8:9], vcc
	s_cbranch_execz .LBB125_121
; %bb.120:                              ;   in Loop: Header=BB125_102 Depth=1
	v_add_co_u32_e32 v39, vcc, v226, v196
	v_addc_co_u32_e32 v40, vcc, v227, v197, vcc
	global_load_dwordx4 v[39:42], v[39:40], off offset:-8
.LBB125_121:                            ;   in Loop: Header=BB125_102 Depth=1
	s_or_b64 exec, exec, s[8:9]
	v_cmp_gt_i32_e64 s[8:9], s22, v187
	s_branch .LBB125_124
.LBB125_122:                            ;   in Loop: Header=BB125_102 Depth=1
	s_mov_b64 s[8:9], 0
                                        ; implicit-def: $vgpr41_vgpr42
                                        ; implicit-def: $vgpr29_vgpr30
                                        ; implicit-def: $vgpr33_vgpr34
	s_cbranch_execz .LBB125_124
; %bb.123:                              ;   in Loop: Header=BB125_102 Depth=1
	s_waitcnt vmcnt(0)
	v_add_co_u32_e32 v27, vcc, v222, v196
	v_addc_co_u32_e32 v28, vcc, v223, v197, vcc
	v_add_co_u32_e32 v39, vcc, v230, v196
	v_addc_co_u32_e32 v40, vcc, v231, v197, vcc
	global_load_dwordx4 v[31:34], v[51:52], off offset:-8
	s_or_b64 s[8:9], s[8:9], exec
	global_load_dwordx4 v[27:30], v[27:28], off offset:-8
	s_nop 0
	global_load_dwordx4 v[39:42], v[39:40], off
.LBB125_124:                            ;   in Loop: Header=BB125_102 Depth=1
	v_mov_b32_e32 v51, 0
	v_mov_b32_e32 v53, 0
	;; [unrolled: 1-line block ×4, first 2 shown]
	s_and_saveexec_b64 s[16:17], s[8:9]
	s_cbranch_execz .LBB125_126
; %bb.125:                              ;   in Loop: Header=BB125_102 Depth=1
	v_add_co_u32_e32 v51, vcc, v234, v196
	v_addc_co_u32_e32 v52, vcc, v235, v197, vcc
	global_load_dwordx4 v[51:54], v[51:52], off offset:-8
.LBB125_126:                            ;   in Loop: Header=BB125_102 Depth=1
	s_or_b64 exec, exec, s[16:17]
	ds_read_b128 v[55:58], v176
	s_and_b64 vcc, exec, s[4:5]
	s_waitcnt vmcnt(0) lgkmcnt(0)
	v_mul_f64 v[59:60], v[33:34], v[57:58]
	v_mul_f64 v[61:62], v[31:32], v[57:58]
	;; [unrolled: 1-line block ×8, first 2 shown]
	v_fma_f64 v[63:64], v[31:32], v[55:56], -v[59:60]
	v_fma_f64 v[65:66], v[33:34], v[55:56], v[61:62]
	v_fma_f64 v[67:68], v[27:28], v[55:56], -v[67:68]
	v_fma_f64 v[69:70], v[29:30], v[55:56], v[69:70]
	;; [unrolled: 2-line block ×4, first 2 shown]
	ds_read_b128 v[75:78], v175 offset:256
	ds_read_b128 v[71:74], v175 offset:272
	;; [unrolled: 1-line block ×4, first 2 shown]
	ds_write_b128 v177, v[63:66]
	ds_write_b128 v177, v[67:70] offset:1072
	ds_write_b128 v177, v[79:82] offset:2144
	ds_write_b128 v177, v[83:86] offset:3216
	s_waitcnt lgkmcnt(0)
	s_barrier
	ds_read_b128 v[147:150], v178
	ds_read_b128 v[143:146], v178 offset:16
	ds_read_b128 v[139:142], v178 offset:32
	;; [unrolled: 1-line block ×3, first 2 shown]
	v_add_co_u32_e64 v83, s[8:9], v236, v196
	v_addc_co_u32_e64 v84, s[8:9], v237, v197, s[8:9]
	s_waitcnt lgkmcnt(0)
	s_barrier
	s_cbranch_vccnz .LBB125_134
; %bb.127:                              ;   in Loop: Header=BB125_102 Depth=1
	v_mov_b32_e32 v67, 0
	v_mov_b32_e32 v63, 0
	;; [unrolled: 1-line block ×6, first 2 shown]
	v_cmp_gt_i32_e32 vcc, s22, v188
	s_and_saveexec_b64 s[8:9], vcc
	s_cbranch_execz .LBB125_129
; %bb.128:                              ;   in Loop: Header=BB125_102 Depth=1
	global_load_dwordx4 v[63:66], v[83:84], off offset:-8
.LBB125_129:                            ;   in Loop: Header=BB125_102 Depth=1
	s_or_b64 exec, exec, s[8:9]
	v_mov_b32_e32 v69, 0
	v_mov_b32_e32 v70, 0
	v_cmp_gt_i32_e32 vcc, s22, v189
	s_and_saveexec_b64 s[8:9], vcc
	s_cbranch_execz .LBB125_131
; %bb.130:                              ;   in Loop: Header=BB125_102 Depth=1
	v_add_co_u32_e32 v67, vcc, v232, v196
	v_addc_co_u32_e32 v68, vcc, v233, v197, vcc
	global_load_dwordx4 v[67:70], v[67:68], off
.LBB125_131:                            ;   in Loop: Header=BB125_102 Depth=1
	s_or_b64 exec, exec, s[8:9]
	v_mov_b32_e32 v79, 0
	v_mov_b32_e32 v81, 0
	;; [unrolled: 1-line block ×4, first 2 shown]
	v_cmp_gt_i32_e32 vcc, s22, v190
	s_and_saveexec_b64 s[8:9], vcc
	s_cbranch_execz .LBB125_133
; %bb.132:                              ;   in Loop: Header=BB125_102 Depth=1
	v_add_co_u32_e32 v79, vcc, v228, v196
	v_addc_co_u32_e32 v80, vcc, v229, v197, vcc
	global_load_dwordx4 v[79:82], v[79:80], off
.LBB125_133:                            ;   in Loop: Header=BB125_102 Depth=1
	s_or_b64 exec, exec, s[8:9]
	v_cmp_gt_i32_e64 s[8:9], s22, v191
	s_branch .LBB125_136
.LBB125_134:                            ;   in Loop: Header=BB125_102 Depth=1
	s_mov_b64 s[8:9], 0
                                        ; implicit-def: $vgpr81_vgpr82
                                        ; implicit-def: $vgpr69_vgpr70
                                        ; implicit-def: $vgpr65_vgpr66
	s_cbranch_execz .LBB125_136
; %bb.135:                              ;   in Loop: Header=BB125_102 Depth=1
	s_waitcnt vmcnt(0)
	v_add_co_u32_e32 v67, vcc, v232, v196
	v_addc_co_u32_e32 v68, vcc, v233, v197, vcc
	v_add_co_u32_e32 v79, vcc, v224, v196
	v_addc_co_u32_e32 v80, vcc, v225, v197, vcc
	global_load_dwordx4 v[63:66], v[83:84], off offset:-8
	s_or_b64 s[8:9], s[8:9], exec
	global_load_dwordx4 v[67:70], v[67:68], off
	s_nop 0
	global_load_dwordx4 v[79:82], v[79:80], off offset:-8
.LBB125_136:                            ;   in Loop: Header=BB125_102 Depth=1
	v_mov_b32_e32 v83, 0
	v_mov_b32_e32 v85, 0
	v_mov_b32_e32 v84, 0
	v_mov_b32_e32 v86, 0
	s_and_saveexec_b64 s[16:17], s[8:9]
	s_cbranch_execz .LBB125_138
; %bb.137:                              ;   in Loop: Header=BB125_102 Depth=1
	v_add_co_u32_e32 v83, vcc, v220, v196
	v_addc_co_u32_e32 v84, vcc, v221, v197, vcc
	global_load_dwordx4 v[83:86], v[83:84], off
.LBB125_138:                            ;   in Loop: Header=BB125_102 Depth=1
	s_or_b64 exec, exec, s[16:17]
	ds_read_b128 v[87:90], v176
	s_and_b64 vcc, exec, s[4:5]
	s_waitcnt vmcnt(0) lgkmcnt(0)
	v_mul_f64 v[91:92], v[65:66], v[89:90]
	v_mul_f64 v[93:94], v[63:64], v[89:90]
	;; [unrolled: 1-line block ×8, first 2 shown]
	v_fma_f64 v[103:104], v[63:64], v[87:88], -v[91:92]
	v_fma_f64 v[105:106], v[65:66], v[87:88], v[93:94]
	v_fma_f64 v[107:108], v[67:68], v[87:88], -v[95:96]
	v_fma_f64 v[109:110], v[69:70], v[87:88], v[97:98]
	;; [unrolled: 2-line block ×4, first 2 shown]
	ds_read_b128 v[99:102], v175 offset:512
	ds_read_b128 v[95:98], v175 offset:528
	;; [unrolled: 1-line block ×4, first 2 shown]
	ds_write_b128 v177, v[103:106]
	ds_write_b128 v177, v[107:110] offset:1072
	ds_write_b128 v177, v[111:114] offset:2144
	;; [unrolled: 1-line block ×3, first 2 shown]
	s_waitcnt lgkmcnt(0)
	s_barrier
	ds_read_b128 v[163:166], v178
	ds_read_b128 v[159:162], v178 offset:16
	ds_read_b128 v[155:158], v178 offset:32
	ds_read_b128 v[151:154], v178 offset:48
	v_add_co_u32_e64 v115, s[4:5], v216, v196
	v_addc_co_u32_e64 v116, s[4:5], v217, v197, s[4:5]
	s_waitcnt lgkmcnt(0)
	s_barrier
	s_cbranch_vccnz .LBB125_146
; %bb.139:                              ;   in Loop: Header=BB125_102 Depth=1
	v_mov_b32_e32 v107, 0
	v_mov_b32_e32 v103, 0
	;; [unrolled: 1-line block ×6, first 2 shown]
	v_cmp_gt_i32_e32 vcc, s22, v192
	s_and_saveexec_b64 s[4:5], vcc
	s_cbranch_execz .LBB125_141
; %bb.140:                              ;   in Loop: Header=BB125_102 Depth=1
	global_load_dwordx4 v[103:106], v[115:116], off
.LBB125_141:                            ;   in Loop: Header=BB125_102 Depth=1
	s_or_b64 exec, exec, s[4:5]
	v_mov_b32_e32 v109, 0
	v_mov_b32_e32 v110, 0
	v_cmp_gt_i32_e32 vcc, s22, v193
	s_and_saveexec_b64 s[4:5], vcc
	s_cbranch_execz .LBB125_143
; %bb.142:                              ;   in Loop: Header=BB125_102 Depth=1
	v_add_co_u32_e32 v107, vcc, v212, v196
	v_addc_co_u32_e32 v108, vcc, v213, v197, vcc
	global_load_dwordx4 v[107:110], v[107:108], off
.LBB125_143:                            ;   in Loop: Header=BB125_102 Depth=1
	s_or_b64 exec, exec, s[4:5]
	v_mov_b32_e32 v111, 0
	v_mov_b32_e32 v113, 0
	;; [unrolled: 1-line block ×4, first 2 shown]
	v_cmp_gt_i32_e32 vcc, s22, v194
	s_and_saveexec_b64 s[4:5], vcc
	s_cbranch_execz .LBB125_145
; %bb.144:                              ;   in Loop: Header=BB125_102 Depth=1
	v_add_co_u32_e32 v111, vcc, v208, v196
	v_addc_co_u32_e32 v112, vcc, v209, v197, vcc
	global_load_dwordx4 v[111:114], v[111:112], off
.LBB125_145:                            ;   in Loop: Header=BB125_102 Depth=1
	s_or_b64 exec, exec, s[4:5]
	v_cmp_gt_i32_e64 s[4:5], s22, v195
	s_branch .LBB125_148
.LBB125_146:                            ;   in Loop: Header=BB125_102 Depth=1
	s_mov_b64 s[4:5], 0
                                        ; implicit-def: $vgpr113_vgpr114
                                        ; implicit-def: $vgpr109_vgpr110
                                        ; implicit-def: $vgpr105_vgpr106
	s_cbranch_execz .LBB125_148
; %bb.147:                              ;   in Loop: Header=BB125_102 Depth=1
	s_waitcnt vmcnt(0)
	v_add_co_u32_e32 v107, vcc, v212, v196
	v_addc_co_u32_e32 v108, vcc, v213, v197, vcc
	v_add_co_u32_e32 v111, vcc, v204, v196
	v_addc_co_u32_e32 v112, vcc, v205, v197, vcc
	global_load_dwordx4 v[103:106], v[115:116], off
	s_or_b64 s[4:5], s[4:5], exec
	global_load_dwordx4 v[107:110], v[107:108], off
	s_nop 0
	global_load_dwordx4 v[111:114], v[111:112], off offset:-8
.LBB125_148:                            ;   in Loop: Header=BB125_102 Depth=1
	v_mov_b32_e32 v115, 0
	v_mov_b32_e32 v117, 0
	;; [unrolled: 1-line block ×4, first 2 shown]
	s_and_saveexec_b64 s[8:9], s[4:5]
	s_cbranch_execz .LBB125_150
; %bb.149:                              ;   in Loop: Header=BB125_102 Depth=1
	v_add_co_u32_e32 v115, vcc, v200, v196
	v_addc_co_u32_e32 v116, vcc, v201, v197, vcc
	global_load_dwordx4 v[115:118], v[115:116], off
.LBB125_150:                            ;   in Loop: Header=BB125_102 Depth=1
	s_or_b64 exec, exec, s[8:9]
	v_add_f64 v[147:148], v[147:148], 0
	v_add_f64 v[149:150], v[149:150], 0
	;; [unrolled: 1-line block ×6, first 2 shown]
	v_cmp_gt_i32_e32 vcc, s22, v0
	s_or_b64 s[4:5], s[14:15], vcc
	v_add_f64 v[143:144], v[147:148], v[143:144]
	v_add_f64 v[145:146], v[149:150], v[145:146]
	;; [unrolled: 1-line block ×6, first 2 shown]
	s_and_b64 s[8:9], s[2:3], s[4:5]
	v_add_f64 v[139:140], v[143:144], v[139:140]
	v_add_f64 v[141:142], v[145:146], v[141:142]
	;; [unrolled: 1-line block ×10, first 2 shown]
	ds_read_b128 v[143:146], v176
	ds_read_b128 v[131:134], v175 offset:768
	ds_read_b128 v[127:130], v175 offset:784
	;; [unrolled: 1-line block ×4, first 2 shown]
	s_waitcnt vmcnt(0) lgkmcnt(4)
	v_mul_f64 v[147:148], v[105:106], v[145:146]
	v_mul_f64 v[149:150], v[103:104], v[145:146]
	v_add_f64 v[151:152], v[155:156], v[151:152]
	v_add_f64 v[153:154], v[157:158], v[153:154]
	v_fma_f64 v[147:148], v[103:104], v[143:144], -v[147:148]
	v_fma_f64 v[149:150], v[105:106], v[143:144], v[149:150]
	ds_write_b128 v177, v[147:150]
	v_mul_f64 v[147:148], v[109:110], v[145:146]
	v_mul_f64 v[149:150], v[107:108], v[145:146]
	v_fma_f64 v[147:148], v[107:108], v[143:144], -v[147:148]
	v_fma_f64 v[149:150], v[109:110], v[143:144], v[149:150]
	ds_write_b128 v177, v[147:150] offset:1072
	v_mul_f64 v[147:148], v[113:114], v[145:146]
	v_mul_f64 v[149:150], v[111:112], v[145:146]
	v_fma_f64 v[147:148], v[111:112], v[143:144], -v[147:148]
	v_fma_f64 v[149:150], v[113:114], v[143:144], v[149:150]
	ds_write_b128 v177, v[147:150] offset:2144
	;; [unrolled: 5-line block ×3, first 2 shown]
	s_waitcnt lgkmcnt(0)
	s_barrier
	ds_read_b128 v[143:146], v178
	ds_read_b128 v[147:150], v178 offset:16
	ds_read_b128 v[155:158], v178 offset:32
	;; [unrolled: 1-line block ×3, first 2 shown]
	s_waitcnt lgkmcnt(0)
	v_add_f64 v[143:144], v[143:144], 0
	v_add_f64 v[145:146], v[145:146], 0
	s_barrier
	v_add_f64 v[143:144], v[143:144], v[147:148]
	v_add_f64 v[145:146], v[145:146], v[149:150]
	;; [unrolled: 1-line block ×6, first 2 shown]
	ds_write_b128 v238, v[139:142]
	ds_write_b128 v238, v[135:138] offset:256
	ds_write_b128 v238, v[151:154] offset:512
	;; [unrolled: 1-line block ×3, first 2 shown]
	s_waitcnt lgkmcnt(0)
	s_barrier
	s_and_saveexec_b64 s[4:5], s[8:9]
	s_cbranch_execz .LBB125_152
; %bb.151:                              ;   in Loop: Header=BB125_102 Depth=1
	ds_read_b128 v[135:138], v179
	ds_read_b128 v[139:142], v179 offset:16
	v_ashrrev_i32_e32 v169, 31, v168
	s_waitcnt lgkmcnt(0)
	v_add_f64 v[143:144], v[139:140], v[135:136]
	v_add_f64 v[145:146], v[141:142], v[137:138]
	ds_read_b128 v[135:138], v179 offset:32
	ds_read_b128 v[139:142], v179 offset:48
	s_waitcnt lgkmcnt(1)
	v_add_f64 v[135:136], v[143:144], v[135:136]
	v_add_f64 v[137:138], v[145:146], v[137:138]
	s_waitcnt lgkmcnt(0)
	v_add_f64 v[143:144], v[135:136], v[139:140]
	v_add_f64 v[145:146], v[137:138], v[141:142]
	ds_read_b128 v[135:138], v179 offset:64
	ds_read_b128 v[139:142], v179 offset:80
	s_waitcnt lgkmcnt(1)
	v_add_f64 v[135:136], v[143:144], v[135:136]
	v_add_f64 v[137:138], v[145:146], v[137:138]
	;; [unrolled: 8-line block ×6, first 2 shown]
	s_waitcnt lgkmcnt(0)
	v_add_f64 v[143:144], v[135:136], v[139:140]
	v_add_f64 v[145:146], v[137:138], v[141:142]
	ds_read_b128 v[135:138], v179 offset:224
	ds_read_b128 v[139:142], v180
	s_waitcnt lgkmcnt(1)
	v_add_f64 v[135:136], v[143:144], v[135:136]
	v_add_f64 v[137:138], v[145:146], v[137:138]
	s_waitcnt lgkmcnt(0)
	v_add_f64 v[135:136], v[135:136], v[139:140]
	v_add_f64 v[137:138], v[137:138], v[141:142]
	v_lshlrev_b64 v[139:140], 4, v[168:169]
	v_mov_b32_e32 v141, s19
	v_add_co_u32_e32 v139, vcc, s7, v139
	v_addc_co_u32_e32 v140, vcc, v141, v140, vcc
	global_store_dwordx4 v[139:140], v[135:138], off
.LBB125_152:                            ;   in Loop: Header=BB125_102 Depth=1
	s_or_b64 exec, exec, s[4:5]
	v_mul_f64 v[135:136], v[9:10], v[49:50]
	v_mul_f64 v[49:50], v[7:8], v[49:50]
	;; [unrolled: 1-line block ×4, first 2 shown]
	v_add_co_u32_e32 v198, vcc, s12, v198
	s_add_i32 s4, s6, 1
	s_add_i32 s10, s10, s25
	v_fma_f64 v[7:8], v[7:8], v[47:48], -v[135:136]
	v_fma_f64 v[9:10], v[9:10], v[47:48], v[49:50]
	v_mul_f64 v[47:48], v[17:18], v[37:38]
	v_mul_f64 v[37:38], v[15:16], v[37:38]
	v_fma_f64 v[11:12], v[11:12], v[43:44], -v[137:138]
	v_fma_f64 v[13:14], v[13:14], v[43:44], v[45:46]
	v_mul_f64 v[49:50], v[21:22], v[25:26]
	v_mul_f64 v[25:26], v[19:20], v[25:26]
	v_add_f64 v[2:3], v[2:3], v[7:8]
	v_add_f64 v[4:5], v[4:5], v[9:10]
	v_fma_f64 v[15:16], v[15:16], v[35:36], -v[47:48]
	v_fma_f64 v[17:18], v[17:18], v[35:36], v[37:38]
	v_mul_f64 v[7:8], v[33:34], v[77:78]
	v_mul_f64 v[9:10], v[31:32], v[77:78]
	v_fma_f64 v[19:20], v[19:20], v[23:24], -v[49:50]
	v_fma_f64 v[21:22], v[21:22], v[23:24], v[25:26]
	v_add_f64 v[2:3], v[2:3], v[11:12]
	v_add_f64 v[4:5], v[4:5], v[13:14]
	v_mul_f64 v[43:44], v[29:30], v[73:74]
	v_mul_f64 v[45:46], v[27:28], v[73:74]
	v_fma_f64 v[7:8], v[31:32], v[75:76], -v[7:8]
	v_fma_f64 v[9:10], v[33:34], v[75:76], v[9:10]
	v_mul_f64 v[11:12], v[41:42], v[61:62]
	v_mul_f64 v[13:14], v[39:40], v[61:62]
	v_add_f64 v[2:3], v[2:3], v[15:16]
	v_add_f64 v[4:5], v[4:5], v[17:18]
	v_fma_f64 v[27:28], v[27:28], v[71:72], -v[43:44]
	v_fma_f64 v[29:30], v[29:30], v[71:72], v[45:46]
	v_mul_f64 v[35:36], v[53:54], v[57:58]
	v_mul_f64 v[37:38], v[51:52], v[57:58]
	v_fma_f64 v[11:12], v[39:40], v[59:60], -v[11:12]
	v_fma_f64 v[13:14], v[41:42], v[59:60], v[13:14]
	v_add_f64 v[2:3], v[2:3], v[19:20]
	v_add_f64 v[4:5], v[4:5], v[21:22]
	v_mul_f64 v[15:16], v[65:66], v[101:102]
	v_mul_f64 v[17:18], v[63:64], v[101:102]
	v_fma_f64 v[35:36], v[51:52], v[55:56], -v[35:36]
	v_fma_f64 v[37:38], v[53:54], v[55:56], v[37:38]
	v_mul_f64 v[23:24], v[69:70], v[97:98]
	v_mul_f64 v[25:26], v[67:68], v[97:98]
	v_add_f64 v[2:3], v[2:3], v[7:8]
	v_add_f64 v[4:5], v[4:5], v[9:10]
	v_mul_f64 v[19:20], v[81:82], v[93:94]
	v_mul_f64 v[21:22], v[79:80], v[93:94]
	;; [unrolled: 1-line block ×6, first 2 shown]
	v_add_f64 v[2:3], v[2:3], v[27:28]
	v_add_f64 v[4:5], v[4:5], v[29:30]
	v_mul_f64 v[43:44], v[109:110], v[129:130]
	v_mul_f64 v[45:46], v[107:108], v[129:130]
	;; [unrolled: 1-line block ×4, first 2 shown]
	v_fma_f64 v[7:8], v[103:104], v[131:132], -v[7:8]
	v_fma_f64 v[9:10], v[105:106], v[131:132], v[9:10]
	v_add_f64 v[2:3], v[2:3], v[11:12]
	v_add_f64 v[4:5], v[4:5], v[13:14]
	v_fma_f64 v[11:12], v[63:64], v[99:100], -v[15:16]
	v_fma_f64 v[13:14], v[65:66], v[99:100], v[17:18]
	v_fma_f64 v[15:16], v[67:68], v[95:96], -v[23:24]
	v_fma_f64 v[17:18], v[69:70], v[95:96], v[25:26]
	v_mul_f64 v[39:40], v[117:118], v[121:122]
	v_mul_f64 v[41:42], v[115:116], v[121:122]
	v_add_f64 v[2:3], v[2:3], v[35:36]
	v_add_f64 v[4:5], v[4:5], v[37:38]
	v_mov_b32_e32 v35, s13
	v_addc_co_u32_e32 v199, vcc, v199, v35, vcc
	v_add_co_u32_e32 v200, vcc, s12, v200
	v_addc_co_u32_e32 v201, vcc, v201, v35, vcc
	v_add_f64 v[2:3], v[2:3], v[11:12]
	v_add_f64 v[4:5], v[4:5], v[13:14]
	v_fma_f64 v[11:12], v[79:80], v[91:92], -v[19:20]
	v_fma_f64 v[13:14], v[81:82], v[91:92], v[21:22]
	v_add_co_u32_e32 v202, vcc, s12, v202
	v_addc_co_u32_e32 v203, vcc, v203, v35, vcc
	v_add_f64 v[2:3], v[2:3], v[15:16]
	v_add_f64 v[4:5], v[4:5], v[17:18]
	v_fma_f64 v[15:16], v[83:84], v[87:88], -v[31:32]
	v_fma_f64 v[17:18], v[85:86], v[87:88], v[33:34]
	;; [unrolled: 6-line block ×3, first 2 shown]
	v_add_co_u32_e32 v206, vcc, s12, v206
	v_addc_co_u32_e32 v207, vcc, v207, v35, vcc
	v_add_f64 v[2:3], v[2:3], v[15:16]
	v_add_f64 v[4:5], v[4:5], v[17:18]
	v_add_co_u32_e32 v208, vcc, s12, v208
	v_addc_co_u32_e32 v209, vcc, v209, v35, vcc
	v_add_co_u32_e32 v210, vcc, s12, v210
	v_add_f64 v[2:3], v[2:3], v[7:8]
	v_add_f64 v[4:5], v[4:5], v[9:10]
	v_addc_co_u32_e32 v211, vcc, v211, v35, vcc
	v_add_co_u32_e32 v212, vcc, s12, v212
	v_addc_co_u32_e32 v213, vcc, v213, v35, vcc
	v_fma_f64 v[7:8], v[111:112], v[123:124], -v[27:28]
	v_fma_f64 v[9:10], v[113:114], v[123:124], v[29:30]
	v_add_f64 v[2:3], v[2:3], v[11:12]
	v_add_f64 v[4:5], v[4:5], v[13:14]
	v_add_co_u32_e32 v214, vcc, s12, v214
	v_addc_co_u32_e32 v215, vcc, v215, v35, vcc
	v_add_co_u32_e32 v216, vcc, s12, v216
	v_addc_co_u32_e32 v217, vcc, v217, v35, vcc
	;; [unrolled: 2-line block ×4, first 2 shown]
	v_fma_f64 v[11:12], v[115:116], v[119:120], -v[39:40]
	v_fma_f64 v[13:14], v[117:118], v[119:120], v[41:42]
	v_add_f64 v[2:3], v[2:3], v[7:8]
	v_add_f64 v[4:5], v[4:5], v[9:10]
	v_add_co_u32_e32 v222, vcc, s12, v222
	v_addc_co_u32_e32 v223, vcc, v223, v35, vcc
	v_add_co_u32_e32 v224, vcc, s12, v224
	v_addc_co_u32_e32 v225, vcc, v225, v35, vcc
	;; [unrolled: 2-line block ×4, first 2 shown]
	v_add_f64 v[2:3], v[2:3], v[11:12]
	v_add_f64 v[4:5], v[4:5], v[13:14]
	v_add_co_u32_e32 v230, vcc, s12, v230
	v_addc_co_u32_e32 v231, vcc, v231, v35, vcc
	v_add_co_u32_e32 v232, vcc, s12, v232
	v_addc_co_u32_e32 v233, vcc, v233, v35, vcc
	;; [unrolled: 2-line block ×3, first 2 shown]
	s_add_i32 s5, s6, 2
	v_add_co_u32_e32 v236, vcc, s12, v236
	v_add_u32_e32 v168, 64, v168
	s_cmp_ge_u32 s5, s33
	v_addc_co_u32_e32 v237, vcc, v237, v35, vcc
	s_waitcnt vmcnt(0)
	s_barrier
	s_cbranch_scc1 .LBB125_154
; %bb.153:                              ;   in Loop: Header=BB125_102 Depth=1
	s_mov_b32 s6, s4
	s_cmp_eq_u32 s24, s6
	s_cselect_b32 s22, s38, 0
	s_and_saveexec_b64 s[4:5], s[0:1]
	s_cbranch_execnz .LBB125_98
	s_branch .LBB125_102
.LBB125_154:
	s_movk_i32 s2, 0x430
	v_cmp_gt_i32_e32 vcc, s18, v0
	v_mad_u32_u24 v1, v1, s2, v170
	s_or_b64 s[2:3], s[20:21], vcc
	s_and_b64 s[0:1], s[0:1], s[2:3]
	ds_write_b128 v1, v[2:5]
	s_waitcnt lgkmcnt(0)
	s_barrier
	s_and_saveexec_b64 s[2:3], s[0:1]
	s_cbranch_execz .LBB125_156
; %bb.155:
	ds_read_b128 v[0:3], v170 offset:1072
	ds_read_b128 v[4:7], v170
	v_ashrrev_i32_e32 v168, 31, v167
	s_waitcnt lgkmcnt(0)
	v_add_f64 v[8:9], v[0:1], v[4:5]
	v_add_f64 v[10:11], v[2:3], v[6:7]
	ds_read_b128 v[0:3], v170 offset:2144
	ds_read_b128 v[4:7], v170 offset:3216
	s_waitcnt lgkmcnt(1)
	v_add_f64 v[0:1], v[8:9], v[0:1]
	v_add_f64 v[2:3], v[10:11], v[2:3]
	s_waitcnt lgkmcnt(0)
	v_add_f64 v[0:1], v[0:1], v[4:5]
	v_add_f64 v[2:3], v[2:3], v[6:7]
	v_lshlrev_b64 v[4:5], 4, v[167:168]
	v_mov_b32_e32 v6, s19
	v_add_co_u32_e32 v4, vcc, s7, v4
	v_addc_co_u32_e32 v5, vcc, v6, v5, vcc
	global_store_dwordx4 v[4:5], v[0:3], off
.LBB125_156:
	s_endpgm
	.section	.rodata,"a",@progbits
	.p2align	6, 0x0
	.amdhsa_kernel _ZL26rocblas_hemvn_kernel_upperILb0ELi64ELi4ELi33ELi32ELi16Ei19rocblas_complex_numIdEPKS1_PS1_EviT6_lT7_lT5_lS6_lS7_lS5_lT8_i
		.amdhsa_group_segment_fixed_size 19200
		.amdhsa_private_segment_fixed_size 0
		.amdhsa_kernarg_size 392
		.amdhsa_user_sgpr_count 6
		.amdhsa_user_sgpr_private_segment_buffer 1
		.amdhsa_user_sgpr_dispatch_ptr 0
		.amdhsa_user_sgpr_queue_ptr 0
		.amdhsa_user_sgpr_kernarg_segment_ptr 1
		.amdhsa_user_sgpr_dispatch_id 0
		.amdhsa_user_sgpr_flat_scratch_init 0
		.amdhsa_user_sgpr_private_segment_size 0
		.amdhsa_uses_dynamic_stack 0
		.amdhsa_system_sgpr_private_segment_wavefront_offset 0
		.amdhsa_system_sgpr_workgroup_id_x 1
		.amdhsa_system_sgpr_workgroup_id_y 0
		.amdhsa_system_sgpr_workgroup_id_z 1
		.amdhsa_system_sgpr_workgroup_info 0
		.amdhsa_system_vgpr_workitem_id 1
		.amdhsa_next_free_vgpr 239
		.amdhsa_next_free_sgpr 98
		.amdhsa_reserve_vcc 1
		.amdhsa_reserve_flat_scratch 0
		.amdhsa_float_round_mode_32 0
		.amdhsa_float_round_mode_16_64 0
		.amdhsa_float_denorm_mode_32 3
		.amdhsa_float_denorm_mode_16_64 3
		.amdhsa_dx10_clamp 1
		.amdhsa_ieee_mode 1
		.amdhsa_fp16_overflow 0
		.amdhsa_exception_fp_ieee_invalid_op 0
		.amdhsa_exception_fp_denorm_src 0
		.amdhsa_exception_fp_ieee_div_zero 0
		.amdhsa_exception_fp_ieee_overflow 0
		.amdhsa_exception_fp_ieee_underflow 0
		.amdhsa_exception_fp_ieee_inexact 0
		.amdhsa_exception_int_div_zero 0
	.end_amdhsa_kernel
	.section	.text._ZL26rocblas_hemvn_kernel_upperILb0ELi64ELi4ELi33ELi32ELi16Ei19rocblas_complex_numIdEPKS1_PS1_EviT6_lT7_lT5_lS6_lS7_lS5_lT8_i,"axG",@progbits,_ZL26rocblas_hemvn_kernel_upperILb0ELi64ELi4ELi33ELi32ELi16Ei19rocblas_complex_numIdEPKS1_PS1_EviT6_lT7_lT5_lS6_lS7_lS5_lT8_i,comdat
.Lfunc_end125:
	.size	_ZL26rocblas_hemvn_kernel_upperILb0ELi64ELi4ELi33ELi32ELi16Ei19rocblas_complex_numIdEPKS1_PS1_EviT6_lT7_lT5_lS6_lS7_lS5_lT8_i, .Lfunc_end125-_ZL26rocblas_hemvn_kernel_upperILb0ELi64ELi4ELi33ELi32ELi16Ei19rocblas_complex_numIdEPKS1_PS1_EviT6_lT7_lT5_lS6_lS7_lS5_lT8_i
                                        ; -- End function
	.set _ZL26rocblas_hemvn_kernel_upperILb0ELi64ELi4ELi33ELi32ELi16Ei19rocblas_complex_numIdEPKS1_PS1_EviT6_lT7_lT5_lS6_lS7_lS5_lT8_i.num_vgpr, 239
	.set _ZL26rocblas_hemvn_kernel_upperILb0ELi64ELi4ELi33ELi32ELi16Ei19rocblas_complex_numIdEPKS1_PS1_EviT6_lT7_lT5_lS6_lS7_lS5_lT8_i.num_agpr, 0
	.set _ZL26rocblas_hemvn_kernel_upperILb0ELi64ELi4ELi33ELi32ELi16Ei19rocblas_complex_numIdEPKS1_PS1_EviT6_lT7_lT5_lS6_lS7_lS5_lT8_i.numbered_sgpr, 44
	.set _ZL26rocblas_hemvn_kernel_upperILb0ELi64ELi4ELi33ELi32ELi16Ei19rocblas_complex_numIdEPKS1_PS1_EviT6_lT7_lT5_lS6_lS7_lS5_lT8_i.num_named_barrier, 0
	.set _ZL26rocblas_hemvn_kernel_upperILb0ELi64ELi4ELi33ELi32ELi16Ei19rocblas_complex_numIdEPKS1_PS1_EviT6_lT7_lT5_lS6_lS7_lS5_lT8_i.private_seg_size, 0
	.set _ZL26rocblas_hemvn_kernel_upperILb0ELi64ELi4ELi33ELi32ELi16Ei19rocblas_complex_numIdEPKS1_PS1_EviT6_lT7_lT5_lS6_lS7_lS5_lT8_i.uses_vcc, 1
	.set _ZL26rocblas_hemvn_kernel_upperILb0ELi64ELi4ELi33ELi32ELi16Ei19rocblas_complex_numIdEPKS1_PS1_EviT6_lT7_lT5_lS6_lS7_lS5_lT8_i.uses_flat_scratch, 0
	.set _ZL26rocblas_hemvn_kernel_upperILb0ELi64ELi4ELi33ELi32ELi16Ei19rocblas_complex_numIdEPKS1_PS1_EviT6_lT7_lT5_lS6_lS7_lS5_lT8_i.has_dyn_sized_stack, 0
	.set _ZL26rocblas_hemvn_kernel_upperILb0ELi64ELi4ELi33ELi32ELi16Ei19rocblas_complex_numIdEPKS1_PS1_EviT6_lT7_lT5_lS6_lS7_lS5_lT8_i.has_recursion, 0
	.set _ZL26rocblas_hemvn_kernel_upperILb0ELi64ELi4ELi33ELi32ELi16Ei19rocblas_complex_numIdEPKS1_PS1_EviT6_lT7_lT5_lS6_lS7_lS5_lT8_i.has_indirect_call, 0
	.section	.AMDGPU.csdata,"",@progbits
; Kernel info:
; codeLenInByte = 10816
; TotalNumSgprs: 48
; NumVgprs: 239
; ScratchSize: 0
; MemoryBound: 1
; FloatMode: 240
; IeeeMode: 1
; LDSByteSize: 19200 bytes/workgroup (compile time only)
; SGPRBlocks: 12
; VGPRBlocks: 59
; NumSGPRsForWavesPerEU: 102
; NumVGPRsForWavesPerEU: 239
; Occupancy: 1
; WaveLimiterHint : 1
; COMPUTE_PGM_RSRC2:SCRATCH_EN: 0
; COMPUTE_PGM_RSRC2:USER_SGPR: 6
; COMPUTE_PGM_RSRC2:TRAP_HANDLER: 0
; COMPUTE_PGM_RSRC2:TGID_X_EN: 1
; COMPUTE_PGM_RSRC2:TGID_Y_EN: 0
; COMPUTE_PGM_RSRC2:TGID_Z_EN: 1
; COMPUTE_PGM_RSRC2:TIDIG_COMP_CNT: 1
	.section	.text._ZL26rocblas_hemvn_kernel_lowerILb0ELi64ELi4ELi33ELi32ELi16ElPK19rocblas_complex_numIdES3_PS1_EviT6_lT7_lT5_lS6_lS7_lS5_lT8_i,"axG",@progbits,_ZL26rocblas_hemvn_kernel_lowerILb0ELi64ELi4ELi33ELi32ELi16ElPK19rocblas_complex_numIdES3_PS1_EviT6_lT7_lT5_lS6_lS7_lS5_lT8_i,comdat
	.globl	_ZL26rocblas_hemvn_kernel_lowerILb0ELi64ELi4ELi33ELi32ELi16ElPK19rocblas_complex_numIdES3_PS1_EviT6_lT7_lT5_lS6_lS7_lS5_lT8_i ; -- Begin function _ZL26rocblas_hemvn_kernel_lowerILb0ELi64ELi4ELi33ELi32ELi16ElPK19rocblas_complex_numIdES3_PS1_EviT6_lT7_lT5_lS6_lS7_lS5_lT8_i
	.p2align	8
	.type	_ZL26rocblas_hemvn_kernel_lowerILb0ELi64ELi4ELi33ELi32ELi16ElPK19rocblas_complex_numIdES3_PS1_EviT6_lT7_lT5_lS6_lS7_lS5_lT8_i,@function
_ZL26rocblas_hemvn_kernel_lowerILb0ELi64ELi4ELi33ELi32ELi16ElPK19rocblas_complex_numIdES3_PS1_EviT6_lT7_lT5_lS6_lS7_lS5_lT8_i: ; @_ZL26rocblas_hemvn_kernel_lowerILb0ELi64ELi4ELi33ELi32ELi16ElPK19rocblas_complex_numIdES3_PS1_EviT6_lT7_lT5_lS6_lS7_lS5_lT8_i
; %bb.0:
	s_load_dwordx2 s[2:3], s[4:5], 0x84
	s_add_u32 s0, s4, 0x78
	s_addc_u32 s1, s5, 0
	s_waitcnt lgkmcnt(0)
	s_lshr_b32 s8, s2, 16
	s_and_b32 s2, s2, 0xffff
	s_and_b32 s3, s3, 0xffff
	s_mul_i32 s2, s8, s2
	s_mul_i32 s2, s2, s3
	s_cmpk_lg_i32 s2, 0x100
	s_cbranch_scc1 .LBB126_105
; %bb.1:
	s_load_dwordx16 s[12:27], s[4:5], 0x8
	s_waitcnt lgkmcnt(0)
	s_mul_i32 s3, s15, s7
	s_mul_hi_u32 s8, s14, s7
	s_mul_i32 s2, s14, s7
	s_add_i32 s3, s8, s3
	s_lshl_b64 s[2:3], s[2:3], 4
	s_add_u32 s2, s12, s2
	s_addc_u32 s3, s13, s3
	s_load_dwordx4 s[8:11], s[2:3], 0x0
	s_load_dwordx2 s[28:29], s[4:5], 0x68
	s_load_dwordx8 s[36:43], s[4:5], 0x48
	s_waitcnt lgkmcnt(0)
	v_cmp_neq_f64_e64 s[2:3], s[8:9], 0
	v_cmp_neq_f64_e64 s[8:9], s[10:11], 0
	s_or_b64 s[2:3], s[2:3], s[8:9]
	s_mov_b64 s[8:9], -1
	s_and_b64 vcc, exec, s[2:3]
	s_cbranch_vccnz .LBB126_3
; %bb.2:
	s_mul_i32 s8, s43, s7
	s_mul_hi_u32 s9, s42, s7
	s_add_i32 s9, s9, s8
	s_mul_i32 s8, s42, s7
	s_lshl_b64 s[8:9], s[8:9], 4
	s_add_u32 s12, s40, s8
	s_addc_u32 s13, s41, s9
	s_load_dwordx4 s[8:11], s[12:13], 0x0
	s_waitcnt lgkmcnt(0)
	v_cmp_neq_f64_e64 s[8:9], s[8:9], 1.0
	v_cmp_neq_f64_e64 s[10:11], s[10:11], 0
	s_or_b64 s[8:9], s[8:9], s[10:11]
.LBB126_3:
	s_andn2_b64 vcc, exec, s[8:9]
	s_cbranch_vccnz .LBB126_105
; %bb.4:
	s_andn2_b64 vcc, exec, s[2:3]
	s_cbranch_vccnz .LBB126_105
; %bb.5:
	s_load_dword s40, s[0:1], 0x0
	s_load_dword s33, s[4:5], 0x0
	s_mul_i32 s0, s39, s7
	s_mul_hi_u32 s1, s38, s7
	s_add_i32 s1, s1, s0
	s_mul_i32 s0, s38, s7
	s_lshl_b64 s[0:1], s[0:1], 4
	s_add_u32 s2, s24, s0
	s_addc_u32 s3, s25, s1
	s_lshl_b64 s[0:1], s[26:27], 4
	s_add_u32 s2, s2, s0
	s_addc_u32 s3, s3, s1
	s_lshl_b32 s26, s6, 6
	s_waitcnt lgkmcnt(0)
	s_ashr_i32 s41, s33, 31
	s_lshr_b32 s0, s41, 26
	v_add_u32_e32 v142, s26, v0
	s_add_i32 s0, s33, s0
	v_ashrrev_i32_e32 v143, 31, v142
	s_and_b32 s5, s0, 0xffffffc0
	v_mul_lo_u32 v4, s36, v143
	v_mul_lo_u32 v5, s37, v142
	v_mad_u64_u32 v[2:3], s[0:1], s36, v142, 0
	s_add_i32 s4, s40, -1
	s_sub_i32 s0, s33, s5
	v_add3_u32 v3, v3, v4, v5
	v_lshlrev_b64 v[2:3], 4, v[2:3]
	s_cmp_eq_u32 s6, s4
	v_mov_b32_e32 v4, s3
	v_add_co_u32_e32 v38, vcc, s2, v2
	s_cselect_b32 s24, s0, 0
	v_addc_co_u32_e32 v39, vcc, v4, v3, vcc
	v_cmp_ne_u32_e64 s[0:1], 0, v1
	v_cmp_eq_u32_e64 s[2:3], 0, v1
	s_and_saveexec_b64 s[4:5], s[2:3]
	s_cbranch_execz .LBB126_10
; %bb.6:
	s_cmp_lg_u32 s24, 0
	s_cselect_b64 s[8:9], -1, 0
	v_cmp_le_i32_e32 vcc, s24, v0
	v_mov_b32_e32 v2, 0x4700
	s_and_b64 s[8:9], s[8:9], vcc
	v_lshl_add_u32 v2, v0, 4, v2
	s_and_saveexec_b64 s[10:11], s[8:9]
	s_xor_b64 s[8:9], exec, s[10:11]
; %bb.7:
	v_mov_b32_e32 v3, 0
	v_mov_b32_e32 v4, v3
	;; [unrolled: 1-line block ×4, first 2 shown]
	ds_write_b128 v2, v[3:6]
                                        ; implicit-def: $vgpr2
; %bb.8:
	s_andn2_saveexec_b64 s[8:9], s[8:9]
	s_cbranch_execz .LBB126_10
; %bb.9:
	global_load_dwordx4 v[3:6], v[38:39], off
	s_waitcnt vmcnt(0)
	ds_write2_b64 v2, v[3:4], v[5:6] offset1:1
.LBB126_10:
	s_or_b64 exec, exec, s[4:5]
	v_lshl_add_u32 v44, v1, 6, v0
	s_mul_i32 s4, s23, s7
	s_mul_hi_u32 s5, s22, s7
	v_and_b32_e32 v6, 31, v0
	v_lshrrev_b32_e32 v11, 5, v44
	s_add_i32 s5, s5, s4
	s_mul_i32 s4, s22, s7
	v_mov_b32_e32 v7, 0
	s_lshl_b64 s[4:5], s[4:5], 4
	v_mad_u64_u32 v[2:3], s[8:9], s20, v11, v[6:7]
	s_add_u32 s10, s16, s4
	s_addc_u32 s11, s17, s5
	s_lshl_b64 s[4:5], s[18:19], 4
	s_add_u32 s8, s10, s4
	s_addc_u32 s9, s11, s5
	v_mad_u64_u32 v[3:4], s[4:5], s21, v11, v[3:4]
	s_ashr_i32 s27, s26, 31
	s_lshl_b64 s[4:5], s[26:27], 4
	s_add_u32 s4, s8, s4
	v_lshlrev_b64 v[40:41], 4, v[2:3]
	s_addc_u32 s5, s9, s5
	v_mov_b32_e32 v2, s5
	v_add_co_u32_e32 v3, vcc, s4, v40
	s_mul_hi_u32 s4, s20, s26
	s_mul_i32 s5, s20, s27
	s_add_i32 s4, s4, s5
	s_mul_i32 s5, s21, s26
	s_add_i32 s5, s4, s5
	s_mul_i32 s4, s20, s26
	v_addc_co_u32_e32 v2, vcc, v2, v41, vcc
	s_lshl_b64 s[22:23], s[4:5], 4
	v_mov_b32_e32 v4, s23
	v_add_co_u32_e32 v7, vcc, s22, v3
	s_cmp_lg_u32 s24, 0
	v_addc_co_u32_e32 v8, vcc, v2, v4, vcc
	s_cselect_b64 s[30:31], -1, 0
	s_cmp_eq_u32 s24, 0
	s_cselect_b64 s[16:17], -1, 0
	s_mov_b64 s[4:5], -1
	s_and_b64 vcc, exec, s[30:31]
	s_cbranch_vccnz .LBB126_12
; %bb.11:
	s_lshl_b64 s[4:5], s[20:21], 7
	v_mov_b32_e32 v22, s5
	v_add_co_u32_e32 v9, vcc, s4, v7
	v_addc_co_u32_e32 v10, vcc, v8, v22, vcc
	v_add_co_u32_e32 v20, vcc, s4, v9
	global_load_dwordx4 v[2:5], v[7:8], off
	v_addc_co_u32_e32 v21, vcc, v10, v22, vcc
	global_load_dwordx4 v[12:15], v[9:10], off
	global_load_dwordx4 v[16:19], v[20:21], off
	v_add_co_u32_e32 v9, vcc, s4, v20
	v_addc_co_u32_e32 v10, vcc, v21, v22, vcc
	global_load_dwordx4 v[20:23], v[9:10], off
	v_mul_u32_u24_e32 v9, 0x210, v11
	v_lshl_add_u32 v9, v6, 4, v9
	s_mov_b64 s[4:5], 0
	v_add_u32_e32 v10, 0x1080, v9
	v_add_u32_e32 v24, 0x2100, v9
	;; [unrolled: 1-line block ×3, first 2 shown]
	s_waitcnt vmcnt(3)
	ds_write2_b64 v9, v[2:3], v[4:5] offset1:1
	s_waitcnt vmcnt(2)
	ds_write2_b64 v10, v[12:13], v[14:15] offset1:1
	;; [unrolled: 2-line block ×4, first 2 shown]
.LBB126_12:
	s_andn2_b64 vcc, exec, s[4:5]
	v_lshlrev_b32_e32 v12, 4, v6
	s_cbranch_vccnz .LBB126_30
; %bb.13:
	v_lshlrev_b32_e32 v4, 4, v6
	v_sub_co_u32_e32 v2, vcc, v7, v4
	s_ashr_i32 s25, s24, 31
	v_subbrev_co_u32_e32 v3, vcc, 0, v8, vcc
	s_lshl_b64 s[8:9], s[24:25], 4
	v_mov_b32_e32 v5, s9
	v_add_co_u32_e32 v2, vcc, s8, v2
	v_addc_co_u32_e32 v3, vcc, v3, v5, vcc
	v_add_co_u32_e32 v2, vcc, -16, v2
	v_addc_co_u32_e32 v3, vcc, -1, v3, vcc
	v_cmp_gt_i32_e32 vcc, s24, v6
	s_movk_i32 s10, 0x210
	v_cndmask_b32_e32 v3, v3, v8, vcc
	v_cndmask_b32_e32 v2, v2, v7, vcc
	v_cmp_le_i32_e64 s[4:5], s24, v11
	v_mad_u32_u24 v5, v11, s10, v12
	s_and_saveexec_b64 s[10:11], s[4:5]
	s_xor_b64 s[4:5], exec, s[10:11]
; %bb.14:
	v_mov_b32_e32 v13, 0
	v_mov_b32_e32 v14, v13
	;; [unrolled: 1-line block ×4, first 2 shown]
	ds_write_b128 v5, v[13:16]
                                        ; implicit-def: $vgpr5
; %bb.15:
	s_andn2_saveexec_b64 s[4:5], s[4:5]
	s_cbranch_execz .LBB126_17
; %bb.16:
	global_load_dwordx4 v[13:16], v[2:3], off
	s_waitcnt vmcnt(0)
	ds_write2_b64 v5, v[13:14], v[15:16] offset1:1
.LBB126_17:
	s_or_b64 exec, exec, s[4:5]
	v_add_u32_e32 v9, 8, v11
	v_mul_u32_u24_e32 v5, 0x210, v11
	v_cmp_le_i32_e64 s[4:5], s24, v9
	s_and_saveexec_b64 s[10:11], s[4:5]
	s_xor_b64 s[4:5], exec, s[10:11]
	s_cbranch_execz .LBB126_19
; %bb.18:
	v_mov_b32_e32 v13, 0
	v_add_u32_e32 v9, v5, v12
	v_mov_b32_e32 v14, v13
	v_mov_b32_e32 v15, v13
	v_mov_b32_e32 v16, v13
	ds_write_b128 v9, v[13:16] offset:4224
.LBB126_19:
	s_andn2_saveexec_b64 s[10:11], s[4:5]
	s_cbranch_execz .LBB126_21
; %bb.20:
	s_lshl_b64 s[4:5], s[20:21], 7
	v_mov_b32_e32 v10, s5
	v_add_co_u32_e64 v9, s[4:5], s4, v2
	v_addc_co_u32_e64 v10, s[4:5], v3, v10, s[4:5]
	global_load_dwordx4 v[13:16], v[9:10], off
	s_movk_i32 s4, 0x1080
	v_add3_u32 v9, v5, v12, s4
	s_waitcnt vmcnt(0)
	ds_write2_b64 v9, v[13:14], v[15:16] offset1:1
.LBB126_21:
	s_or_b64 exec, exec, s[10:11]
	v_add_u32_e32 v9, 16, v11
	v_cmp_le_i32_e64 s[4:5], s24, v9
	s_and_saveexec_b64 s[10:11], s[4:5]
	s_xor_b64 s[4:5], exec, s[10:11]
	s_cbranch_execz .LBB126_23
; %bb.22:
	v_mov_b32_e32 v13, 0
	v_add_u32_e32 v9, v5, v12
	v_mov_b32_e32 v14, v13
	v_mov_b32_e32 v15, v13
	v_mov_b32_e32 v16, v13
	ds_write_b128 v9, v[13:16] offset:8448
.LBB126_23:
	s_andn2_saveexec_b64 s[10:11], s[4:5]
	s_cbranch_execz .LBB126_25
; %bb.24:
	s_lshl_b64 s[4:5], s[20:21], 8
	v_mov_b32_e32 v10, s5
	v_add_co_u32_e64 v9, s[4:5], s4, v2
	v_addc_co_u32_e64 v10, s[4:5], v3, v10, s[4:5]
	global_load_dwordx4 v[13:16], v[9:10], off
	s_movk_i32 s4, 0x2100
	v_add3_u32 v9, v5, v12, s4
	s_waitcnt vmcnt(0)
	ds_write2_b64 v9, v[13:14], v[15:16] offset1:1
.LBB126_25:
	s_or_b64 exec, exec, s[10:11]
	v_add_u32_e32 v9, 24, v11
	v_cmp_le_i32_e64 s[4:5], s24, v9
	s_and_saveexec_b64 s[10:11], s[4:5]
	s_xor_b64 s[4:5], exec, s[10:11]
	s_cbranch_execz .LBB126_27
; %bb.26:
	v_mov_b32_e32 v13, 0
	v_add_u32_e32 v5, v5, v12
	v_mov_b32_e32 v14, v13
	v_mov_b32_e32 v15, v13
	;; [unrolled: 1-line block ×3, first 2 shown]
	ds_write_b128 v5, v[13:16] offset:12672
                                        ; implicit-def: $vgpr5
.LBB126_27:
	s_andn2_saveexec_b64 s[4:5], s[4:5]
	s_cbranch_execz .LBB126_29
; %bb.28:
	v_mov_b32_e32 v9, 0x180
	v_mad_u64_u32 v[9:10], s[10:11], s20, v9, v[2:3]
	s_mul_i32 s10, s21, 0x180
	v_add_u32_e32 v10, s10, v10
	global_load_dwordx4 v[13:16], v[9:10], off
	s_movk_i32 s10, 0x3180
	v_add3_u32 v5, v5, v12, s10
	s_waitcnt vmcnt(0)
	ds_write2_b64 v5, v[13:14], v[15:16] offset1:1
.LBB126_29:
	s_or_b64 exec, exec, s[4:5]
	v_add_co_u32_e64 v2, s[4:5], v2, v4
	v_addc_co_u32_e64 v3, s[4:5], 0, v3, s[4:5]
	v_mov_b32_e32 v4, s9
	v_subrev_co_u32_e64 v2, s[4:5], s8, v2
	v_subb_co_u32_e64 v3, s[4:5], v3, v4, s[4:5]
	v_add_co_u32_e64 v2, s[4:5], 16, v2
	v_addc_co_u32_e64 v3, s[4:5], 0, v3, s[4:5]
	v_cndmask_b32_e32 v8, v3, v8, vcc
	v_cndmask_b32_e32 v7, v2, v7, vcc
.LBB126_30:
	v_lshlrev_b32_e32 v13, 2, v11
	v_lshl_or_b32 v4, v6, 9, v12
	v_cmp_lt_u32_e64 s[18:19], v13, v6
	s_waitcnt lgkmcnt(0)
	s_barrier
	s_and_saveexec_b64 s[4:5], s[18:19]
	s_cbranch_execz .LBB126_32
; %bb.31:
	s_movk_i32 s8, 0x840
	v_mad_u32_u24 v2, v11, s8, v12
	ds_read_b128 v[14:17], v2
	v_lshl_add_u32 v2, v13, 4, v4
	s_waitcnt lgkmcnt(0)
	ds_write_b128 v2, v[14:17]
.LBB126_32:
	s_or_b64 exec, exec, s[4:5]
	v_or_b32_e32 v2, 1, v13
	v_cmp_lt_u32_e64 s[8:9], v2, v6
	s_and_saveexec_b64 s[4:5], s[8:9]
	s_cbranch_execz .LBB126_34
; %bb.33:
	s_movk_i32 s10, 0x210
	v_mad_u32_u24 v3, v2, s10, v12
	ds_read_b128 v[14:17], v3
	v_lshl_add_u32 v3, v13, 4, v4
	s_waitcnt lgkmcnt(0)
	ds_write_b128 v3, v[14:17] offset:16
.LBB126_34:
	s_or_b64 exec, exec, s[4:5]
	v_or_b32_e32 v3, 2, v13
	v_cmp_lt_u32_e64 s[10:11], v3, v6
	s_and_saveexec_b64 s[4:5], s[10:11]
	s_cbranch_execz .LBB126_36
; %bb.35:
	s_movk_i32 s12, 0x210
	v_mad_u32_u24 v3, v3, s12, v12
	ds_read_b128 v[14:17], v3
	v_lshl_add_u32 v3, v13, 4, v4
	s_waitcnt lgkmcnt(0)
	ds_write_b128 v3, v[14:17] offset:32
.LBB126_36:
	s_or_b64 exec, exec, s[4:5]
	v_or_b32_e32 v5, 3, v13
	v_cmp_lt_u32_e64 s[12:13], v5, v6
	v_cmp_ge_u32_e32 vcc, v5, v6
                                        ; implicit-def: $vgpr3
	s_and_saveexec_b64 s[4:5], vcc
	s_xor_b64 s[4:5], exec, s[4:5]
; %bb.37:
	v_mul_u32_u24_e32 v3, 0x210, v5
                                        ; implicit-def: $vgpr4
                                        ; implicit-def: $vgpr5
; %bb.38:
	s_andn2_saveexec_b64 s[4:5], s[4:5]
	s_cbranch_execz .LBB126_40
; %bb.39:
	s_movk_i32 s14, 0x210
	v_mad_u32_u24 v3, v5, s14, v12
	ds_read_b128 v[14:17], v3
	v_lshl_add_u32 v4, v13, 4, v4
	v_mul_u32_u24_e32 v3, 0x210, v5
	s_waitcnt lgkmcnt(0)
	ds_write_b128 v4, v[14:17] offset:48
.LBB126_40:
	s_or_b64 exec, exec, s[4:5]
	s_movk_i32 s4, 0x840
	v_mad_u32_u24 v15, v11, s4, v12
	s_waitcnt lgkmcnt(0)
	s_barrier
	v_lshlrev_b32_e32 v18, 4, v13
	ds_read_b128 v[19:22], v15
	ds_read_b128 v[23:26], v18 offset:18176
	ds_read_b128 v[27:30], v18 offset:18192
	s_movk_i32 s25, 0x210
	v_mad_u32_u24 v17, v2, s25, v12
	ds_read_b128 v[31:34], v17
	s_waitcnt lgkmcnt(2)
	v_mul_f64 v[4:5], v[25:26], v[21:22]
	v_mul_f64 v[9:10], v[23:24], v[21:22]
	v_add_u32_e32 v16, v12, v3
	v_cmp_gt_u32_e64 s[4:5], 32, v44
	v_fma_f64 v[42:43], v[23:24], v[19:20], -v[4:5]
	ds_read_b128 v[21:24], v17 offset:528
	s_waitcnt lgkmcnt(1)
	v_mul_f64 v[49:50], v[29:30], v[33:34]
	v_mul_f64 v[51:52], v[27:28], v[33:34]
	v_fma_f64 v[9:10], v[25:26], v[19:20], v[9:10]
	ds_read_b128 v[2:5], v18 offset:18208
	ds_read_b128 v[33:36], v18 offset:18224
	ds_read_b128 v[45:48], v16
	s_waitcnt lgkmcnt(0)
	v_add_f64 v[19:20], v[42:43], 0
	s_barrier
	v_mul_f64 v[25:26], v[4:5], v[23:24]
	v_fma_f64 v[27:28], v[27:28], v[31:32], -v[49:50]
	v_fma_f64 v[29:30], v[29:30], v[31:32], v[51:52]
	v_mul_f64 v[23:24], v[2:3], v[23:24]
	v_add_f64 v[9:10], v[9:10], 0
	v_mul_f64 v[31:32], v[35:36], v[47:48]
	v_fma_f64 v[2:3], v[2:3], v[21:22], -v[25:26]
	v_add_f64 v[19:20], v[19:20], v[27:28]
	v_mul_f64 v[25:26], v[33:34], v[47:48]
	v_fma_f64 v[4:5], v[4:5], v[21:22], v[23:24]
	v_add_f64 v[9:10], v[9:10], v[29:30]
	v_fma_f64 v[21:22], v[33:34], v[45:46], -v[31:32]
	v_add_f64 v[19:20], v[19:20], v[2:3]
	v_fma_f64 v[23:24], v[35:36], v[45:46], v[25:26]
	v_mov_b32_e32 v2, 0
	v_add_f64 v[4:5], v[9:10], v[4:5]
	v_mul_u32_u24_e32 v9, 33, v6
	v_lshlrev_b32_e32 v45, 4, v9
	v_mov_b32_e32 v3, 0
	v_lshl_add_u32 v46, v11, 4, v45
	v_add_f64 v[19:20], v[19:20], v[21:22]
	v_add_f64 v[21:22], v[4:5], v[23:24]
	v_mov_b32_e32 v4, 0
	v_mov_b32_e32 v5, 0
	ds_write_b128 v46, v[19:22]
	s_waitcnt lgkmcnt(0)
	s_barrier
	s_and_saveexec_b64 s[14:15], s[4:5]
	s_cbranch_execz .LBB126_42
; %bb.41:
	ds_read_b128 v[2:5], v45
	ds_read_b128 v[19:22], v45 offset:16
	s_waitcnt lgkmcnt(0)
	v_add_f64 v[9:10], v[19:20], v[2:3]
	v_add_f64 v[23:24], v[21:22], v[4:5]
	ds_read_b128 v[2:5], v45 offset:32
	ds_read_b128 v[19:22], v45 offset:48
	s_waitcnt lgkmcnt(1)
	v_add_f64 v[2:3], v[9:10], v[2:3]
	v_add_f64 v[4:5], v[23:24], v[4:5]
	s_waitcnt lgkmcnt(0)
	v_add_f64 v[9:10], v[2:3], v[19:20]
	v_add_f64 v[23:24], v[4:5], v[21:22]
	ds_read_b128 v[2:5], v45 offset:64
	ds_read_b128 v[19:22], v45 offset:80
	s_waitcnt lgkmcnt(1)
	v_add_f64 v[2:3], v[9:10], v[2:3]
	v_add_f64 v[4:5], v[23:24], v[4:5]
	;; [unrolled: 8-line block ×3, first 2 shown]
	s_waitcnt lgkmcnt(0)
	v_add_f64 v[2:3], v[2:3], v[19:20]
	v_add_f64 v[4:5], v[4:5], v[21:22]
.LBB126_42:
	s_or_b64 exec, exec, s[14:15]
	s_lshl_b64 s[14:15], s[20:21], 9
	v_mov_b32_e32 v10, s15
	v_add_co_u32_e32 v9, vcc, s14, v7
	v_addc_co_u32_e32 v10, vcc, v8, v10, vcc
	v_add_co_u32_e32 v7, vcc, 0x200, v9
	v_addc_co_u32_e32 v8, vcc, 0, v10, vcc
	v_cndmask_b32_e64 v19, 0, 1, s[16:17]
	v_mad_u32_u24 v14, v11, s25, v12
	v_cmp_ne_u32_e64 s[14:15], 1, v19
	s_andn2_b64 vcc, exec, s[16:17]
	s_mov_b64 s[16:17], -1
	s_barrier
	s_cbranch_vccnz .LBB126_44
; %bb.43:
	s_lshl_b64 s[16:17], s[20:21], 7
	v_mov_b32_e32 v35, s17
	v_add_co_u32_e32 v31, vcc, s16, v9
	v_addc_co_u32_e32 v32, vcc, v10, v35, vcc
	v_add_co_u32_e32 v33, vcc, s16, v31
	global_load_dwordx4 v[19:22], v[7:8], off
	v_addc_co_u32_e32 v34, vcc, v32, v35, vcc
	global_load_dwordx4 v[23:26], v[31:32], off offset:512
	global_load_dwordx4 v[27:30], v[33:34], off offset:512
	v_add_co_u32_e32 v31, vcc, s16, v33
	v_addc_co_u32_e32 v32, vcc, v34, v35, vcc
	global_load_dwordx4 v[31:34], v[31:32], off offset:512
	s_mov_b64 s[16:17], 0
	v_add_u32_e32 v35, 0x1080, v14
	v_add_u32_e32 v36, 0x2100, v14
	;; [unrolled: 1-line block ×3, first 2 shown]
	s_waitcnt vmcnt(3)
	ds_write2_b64 v14, v[19:20], v[21:22] offset1:1
	s_waitcnt vmcnt(2)
	ds_write2_b64 v35, v[23:24], v[25:26] offset1:1
	;; [unrolled: 2-line block ×4, first 2 shown]
.LBB126_44:
	s_andn2_b64 vcc, exec, s[16:17]
	s_cbranch_vccnz .LBB126_62
; %bb.45:
	v_lshlrev_b32_e32 v19, 4, v6
	v_sub_co_u32_e32 v9, vcc, v9, v19
	s_ashr_i32 s25, s24, 31
	v_subbrev_co_u32_e32 v10, vcc, 0, v10, vcc
	s_lshl_b64 s[34:35], s[24:25], 4
	v_mov_b32_e32 v21, s35
	v_add_co_u32_e32 v9, vcc, s34, v9
	v_addc_co_u32_e32 v10, vcc, v10, v21, vcc
	v_or_b32_e32 v20, 32, v6
	v_add_co_u32_e32 v9, vcc, -16, v9
	v_addc_co_u32_e32 v10, vcc, -1, v10, vcc
	v_cmp_gt_i32_e64 s[16:17], s24, v20
	s_sub_i32 s25, s24, 32
	v_cndmask_b32_e64 v10, v10, v8, s[16:17]
	v_cndmask_b32_e64 v9, v9, v7, s[16:17]
	v_cmp_le_i32_e32 vcc, s25, v11
	s_and_saveexec_b64 s[38:39], vcc
	s_xor_b64 s[38:39], exec, s[38:39]
; %bb.46:
	v_mov_b32_e32 v20, 0
	v_mov_b32_e32 v21, v20
	;; [unrolled: 1-line block ×4, first 2 shown]
	ds_write_b128 v14, v[20:23]
; %bb.47:
	s_andn2_saveexec_b64 s[38:39], s[38:39]
	s_cbranch_execz .LBB126_49
; %bb.48:
	global_load_dwordx4 v[20:23], v[9:10], off
	s_waitcnt vmcnt(0)
	ds_write2_b64 v14, v[20:21], v[22:23] offset1:1
.LBB126_49:
	s_or_b64 exec, exec, s[38:39]
	v_add_u32_e32 v21, 8, v11
	v_mul_u32_u24_e32 v20, 0x210, v11
	v_cmp_le_i32_e32 vcc, s25, v21
	s_and_saveexec_b64 s[38:39], vcc
	s_xor_b64 s[38:39], exec, s[38:39]
	s_cbranch_execz .LBB126_51
; %bb.50:
	v_mov_b32_e32 v21, 0
	v_add_u32_e32 v25, v20, v12
	v_mov_b32_e32 v22, v21
	v_mov_b32_e32 v23, v21
	;; [unrolled: 1-line block ×3, first 2 shown]
	ds_write_b128 v25, v[21:24] offset:4224
.LBB126_51:
	s_andn2_saveexec_b64 s[38:39], s[38:39]
	s_cbranch_execz .LBB126_53
; %bb.52:
	s_lshl_b64 s[42:43], s[20:21], 7
	v_mov_b32_e32 v22, s43
	v_add_co_u32_e32 v21, vcc, s42, v9
	v_addc_co_u32_e32 v22, vcc, v10, v22, vcc
	global_load_dwordx4 v[21:24], v[21:22], off
	s_movk_i32 s42, 0x1080
	v_add3_u32 v25, v20, v12, s42
	s_waitcnt vmcnt(0)
	ds_write2_b64 v25, v[21:22], v[23:24] offset1:1
.LBB126_53:
	s_or_b64 exec, exec, s[38:39]
	v_add_u32_e32 v21, 16, v11
	v_cmp_le_i32_e32 vcc, s25, v21
	s_and_saveexec_b64 s[38:39], vcc
	s_xor_b64 s[38:39], exec, s[38:39]
	s_cbranch_execz .LBB126_55
; %bb.54:
	v_mov_b32_e32 v21, 0
	v_add_u32_e32 v25, v20, v12
	v_mov_b32_e32 v22, v21
	v_mov_b32_e32 v23, v21
	;; [unrolled: 1-line block ×3, first 2 shown]
	ds_write_b128 v25, v[21:24] offset:8448
.LBB126_55:
	s_andn2_saveexec_b64 s[38:39], s[38:39]
	s_cbranch_execz .LBB126_57
; %bb.56:
	s_lshl_b64 s[42:43], s[20:21], 8
	v_mov_b32_e32 v22, s43
	v_add_co_u32_e32 v21, vcc, s42, v9
	v_addc_co_u32_e32 v22, vcc, v10, v22, vcc
	global_load_dwordx4 v[21:24], v[21:22], off
	s_movk_i32 s42, 0x2100
	v_add3_u32 v25, v20, v12, s42
	s_waitcnt vmcnt(0)
	ds_write2_b64 v25, v[21:22], v[23:24] offset1:1
.LBB126_57:
	s_or_b64 exec, exec, s[38:39]
	v_add_u32_e32 v21, 24, v11
	v_cmp_le_i32_e32 vcc, s25, v21
	s_and_saveexec_b64 s[38:39], vcc
	s_xor_b64 s[38:39], exec, s[38:39]
	s_cbranch_execz .LBB126_59
; %bb.58:
	v_add_u32_e32 v24, v20, v12
	v_mov_b32_e32 v20, 0
	v_mov_b32_e32 v21, v20
	;; [unrolled: 1-line block ×4, first 2 shown]
	ds_write_b128 v24, v[20:23] offset:12672
                                        ; implicit-def: $vgpr20
.LBB126_59:
	s_andn2_saveexec_b64 s[38:39], s[38:39]
	s_cbranch_execz .LBB126_61
; %bb.60:
	v_mov_b32_e32 v21, 0x180
	v_mad_u64_u32 v[21:22], s[42:43], s20, v21, v[9:10]
	s_mul_i32 s25, s21, 0x180
	v_add_u32_e32 v22, s25, v22
	global_load_dwordx4 v[21:24], v[21:22], off
	s_movk_i32 s25, 0x3180
	v_add3_u32 v20, v20, v12, s25
	s_waitcnt vmcnt(0)
	ds_write2_b64 v20, v[21:22], v[23:24] offset1:1
.LBB126_61:
	s_or_b64 exec, exec, s[38:39]
	v_add_co_u32_e32 v9, vcc, v9, v19
	v_addc_co_u32_e32 v10, vcc, 0, v10, vcc
	v_mov_b32_e32 v19, s35
	v_subrev_co_u32_e32 v9, vcc, s34, v9
	v_subb_co_u32_e32 v10, vcc, v10, v19, vcc
	v_add_co_u32_e32 v9, vcc, 0x210, v9
	v_addc_co_u32_e32 v10, vcc, 0, v10, vcc
	v_cndmask_b32_e64 v8, v10, v8, s[16:17]
	v_cndmask_b32_e64 v7, v9, v7, s[16:17]
.LBB126_62:
	v_add_u32_e32 v9, 0x4700, v18
	v_add_u32_e32 v10, 0x210, v17
	s_lshl_b64 s[16:17], s[20:21], 5
	s_waitcnt lgkmcnt(0)
	s_barrier
	s_and_saveexec_b64 s[34:35], s[18:19]
	s_cbranch_execnz .LBB126_71
; %bb.63:
	s_or_b64 exec, exec, s[34:35]
	s_and_saveexec_b64 s[18:19], s[8:9]
	s_cbranch_execnz .LBB126_72
.LBB126_64:
	s_or_b64 exec, exec, s[18:19]
	s_and_saveexec_b64 s[8:9], s[10:11]
	s_cbranch_execnz .LBB126_73
.LBB126_65:
	s_or_b64 exec, exec, s[8:9]
	s_and_saveexec_b64 s[8:9], s[12:13]
	s_cbranch_execz .LBB126_67
.LBB126_66:
	ds_read_b128 v[18:21], v16
	v_lshl_add_u32 v22, v13, 4, v45
	s_waitcnt lgkmcnt(0)
	ds_write_b128 v22, v[18:21] offset:48
.LBB126_67:
	s_or_b64 exec, exec, s[8:9]
	s_waitcnt lgkmcnt(0)
	s_barrier
	ds_read_b128 v[18:21], v9 offset:512
	ds_read_b128 v[22:25], v15
	v_cmp_eq_u32_e64 s[10:11], 1, v11
	s_waitcnt lgkmcnt(0)
	v_mul_f64 v[36:37], v[20:21], v[24:25]
	v_mul_f64 v[42:43], v[18:19], v[24:25]
	ds_read_b128 v[24:27], v17
	ds_read_b128 v[28:31], v9 offset:528
	ds_read_b128 v[32:35], v9 offset:544
	ds_read_b128 v[47:50], v10
	s_waitcnt lgkmcnt(2)
	v_mul_f64 v[55:56], v[30:31], v[26:27]
	v_mul_f64 v[26:27], v[28:29], v[26:27]
	v_fma_f64 v[36:37], v[18:19], v[22:23], -v[36:37]
	v_fma_f64 v[21:22], v[20:21], v[22:23], v[42:43]
	ds_read_b128 v[17:20], v9 offset:560
	ds_read_b128 v[51:54], v16
	s_waitcnt lgkmcnt(2)
	v_mul_f64 v[15:16], v[34:35], v[49:50]
	v_mul_f64 v[42:43], v[32:33], v[49:50]
	v_fma_f64 v[28:29], v[28:29], v[24:25], -v[55:56]
	v_fma_f64 v[23:24], v[30:31], v[24:25], v[26:27]
	s_waitcnt lgkmcnt(0)
	v_mul_f64 v[30:31], v[19:20], v[53:54]
	v_add_f64 v[25:26], v[36:37], 0
	v_add_f64 v[21:22], v[21:22], 0
	v_mul_f64 v[36:37], v[17:18], v[53:54]
	v_fma_f64 v[15:16], v[32:33], v[47:48], -v[15:16]
	v_fma_f64 v[32:33], v[34:35], v[47:48], v[42:43]
	s_barrier
	v_fma_f64 v[17:18], v[17:18], v[51:52], -v[30:31]
	v_add_f64 v[25:26], v[25:26], v[28:29]
	v_add_f64 v[21:22], v[21:22], v[23:24]
	v_fma_f64 v[19:20], v[19:20], v[51:52], v[36:37]
	v_add_f64 v[15:16], v[25:26], v[15:16]
	v_add_f64 v[21:22], v[21:22], v[32:33]
	v_add_f64 v[15:16], v[15:16], v[17:18]
	v_add_f64 v[17:18], v[21:22], v[19:20]
	ds_write_b128 v46, v[15:18]
	s_waitcnt lgkmcnt(0)
	s_barrier
	s_and_saveexec_b64 s[8:9], s[10:11]
	s_cbranch_execz .LBB126_69
; %bb.68:
	ds_read_b128 v[2:5], v45
	ds_read_b128 v[15:18], v45 offset:16
	s_waitcnt lgkmcnt(0)
	v_add_f64 v[19:20], v[15:16], v[2:3]
	v_add_f64 v[21:22], v[17:18], v[4:5]
	ds_read_b128 v[2:5], v45 offset:32
	ds_read_b128 v[15:18], v45 offset:48
	s_waitcnt lgkmcnt(1)
	v_add_f64 v[2:3], v[19:20], v[2:3]
	v_add_f64 v[4:5], v[21:22], v[4:5]
	s_waitcnt lgkmcnt(0)
	v_add_f64 v[19:20], v[2:3], v[15:16]
	v_add_f64 v[21:22], v[4:5], v[17:18]
	ds_read_b128 v[2:5], v45 offset:64
	ds_read_b128 v[15:18], v45 offset:80
	s_waitcnt lgkmcnt(1)
	v_add_f64 v[2:3], v[19:20], v[2:3]
	v_add_f64 v[4:5], v[21:22], v[4:5]
	;; [unrolled: 8-line block ×3, first 2 shown]
	s_waitcnt lgkmcnt(0)
	v_add_f64 v[2:3], v[2:3], v[15:16]
	v_add_f64 v[4:5], v[4:5], v[17:18]
.LBB126_69:
	s_or_b64 exec, exec, s[8:9]
	s_lshl_b64 s[8:9], s[16:17], 4
	v_mov_b32_e32 v10, s9
	v_subrev_co_u32_e64 v42, s[8:9], s8, v7
	s_and_b64 vcc, exec, s[14:15]
	v_subb_co_u32_e64 v43, s[8:9], v8, v10, s[8:9]
	s_barrier
	s_cbranch_vccnz .LBB126_74
; %bb.70:
	s_lshl_b64 s[8:9], s[20:21], 7
	v_mov_b32_e32 v10, s9
	v_add_co_u32_e32 v7, vcc, s8, v42
	v_addc_co_u32_e32 v8, vcc, v43, v10, vcc
	v_add_co_u32_e32 v15, vcc, s8, v7
	global_load_dwordx4 v[18:21], v[42:43], off
	v_addc_co_u32_e32 v16, vcc, v8, v10, vcc
	global_load_dwordx4 v[22:25], v[7:8], off
	global_load_dwordx4 v[26:29], v[15:16], off
	v_add_co_u32_e32 v7, vcc, s8, v15
	v_addc_co_u32_e32 v8, vcc, v16, v10, vcc
	global_load_dwordx4 v[30:33], v[7:8], off
	v_add_u32_e32 v8, 8, v11
	s_movk_i32 s8, 0x210
	v_mov_b32_e32 v7, 0x1080
	v_mov_b32_e32 v16, 0x2100
	v_add_u32_e32 v15, 16, v11
	v_add_u32_e32 v10, 24, v11
	v_mul_u32_u24_e32 v17, 0x210, v8
	v_mad_u32_u24 v34, v8, s8, v12
	v_mad_u32_u24 v7, v8, s8, v7
	;; [unrolled: 1-line block ×3, first 2 shown]
	v_add_u32_e32 v35, v12, v7
	v_add_u32_e32 v36, v12, v16
	s_waitcnt vmcnt(3)
	ds_write2_b64 v14, v[18:19], v[20:21] offset1:1
	s_waitcnt vmcnt(2)
	ds_write2_b64 v34, v[22:23], v[24:25] offset1:1
	s_waitcnt vmcnt(1)
	ds_write2_b64 v35, v[26:27], v[28:29] offset1:1
	s_waitcnt vmcnt(0)
	ds_write2_b64 v36, v[30:31], v[32:33] offset1:1
	s_cbranch_execz .LBB126_75
	s_branch .LBB126_92
.LBB126_71:
	ds_read_b128 v[18:21], v15
	v_lshl_add_u32 v22, v13, 4, v45
	s_waitcnt lgkmcnt(0)
	ds_write_b128 v22, v[18:21]
	s_or_b64 exec, exec, s[34:35]
	s_and_saveexec_b64 s[18:19], s[8:9]
	s_cbranch_execz .LBB126_64
.LBB126_72:
	ds_read_b128 v[18:21], v17
	v_lshl_add_u32 v22, v13, 4, v45
	s_waitcnt lgkmcnt(0)
	ds_write_b128 v22, v[18:21] offset:16
	s_or_b64 exec, exec, s[18:19]
	s_and_saveexec_b64 s[8:9], s[10:11]
	s_cbranch_execz .LBB126_65
.LBB126_73:
	ds_read_b128 v[18:21], v10
	v_lshl_add_u32 v22, v13, 4, v45
	s_waitcnt lgkmcnt(0)
	ds_write_b128 v22, v[18:21] offset:32
	s_or_b64 exec, exec, s[8:9]
	s_and_saveexec_b64 s[8:9], s[12:13]
	s_cbranch_execnz .LBB126_66
	s_branch .LBB126_67
.LBB126_74:
                                        ; implicit-def: $vgpr8
                                        ; implicit-def: $vgpr17
                                        ; implicit-def: $vgpr15
                                        ; implicit-def: $vgpr7
                                        ; implicit-def: $vgpr10
                                        ; implicit-def: $vgpr16
.LBB126_75:
	v_lshlrev_b32_e32 v17, 4, v6
	v_or_b32_e32 v7, 32, v6
	v_sub_co_u32_e32 v6, vcc, v42, v17
	s_ashr_i32 s25, s24, 31
	v_subbrev_co_u32_e32 v8, vcc, 0, v43, vcc
	s_lshl_b64 s[12:13], s[24:25], 4
	v_mov_b32_e32 v10, s13
	v_add_co_u32_e32 v6, vcc, s12, v6
	v_addc_co_u32_e32 v8, vcc, v8, v10, vcc
	v_add_co_u32_e32 v6, vcc, 0xfffffdf0, v6
	v_addc_co_u32_e32 v8, vcc, -1, v8, vcc
	v_cmp_gt_i32_e64 s[8:9], s24, v7
	v_cndmask_b32_e64 v7, v8, v43, s[8:9]
	v_cndmask_b32_e64 v6, v6, v42, s[8:9]
	v_cmp_le_i32_e32 vcc, s24, v11
	s_and_saveexec_b64 s[14:15], vcc
	s_xor_b64 s[14:15], exec, s[14:15]
; %bb.76:
	v_mov_b32_e32 v18, 0
	v_mov_b32_e32 v19, v18
	;; [unrolled: 1-line block ×4, first 2 shown]
	ds_write_b128 v14, v[18:21]
; %bb.77:
	s_andn2_saveexec_b64 s[14:15], s[14:15]
	s_cbranch_execz .LBB126_79
; %bb.78:
	global_load_dwordx4 v[18:21], v[6:7], off
	s_waitcnt vmcnt(0)
	ds_write2_b64 v14, v[18:19], v[20:21] offset1:1
.LBB126_79:
	s_or_b64 exec, exec, s[14:15]
	v_add_u32_e32 v8, 8, v11
	v_cmp_le_i32_e32 vcc, s24, v8
	s_and_saveexec_b64 s[14:15], vcc
	s_xor_b64 s[14:15], exec, s[14:15]
	s_cbranch_execz .LBB126_81
; %bb.80:
	s_movk_i32 s16, 0x210
	v_mov_b32_e32 v18, 0
	v_mad_u32_u24 v10, v8, s16, v12
	v_mov_b32_e32 v19, v18
	v_mov_b32_e32 v20, v18
	;; [unrolled: 1-line block ×3, first 2 shown]
	ds_write_b128 v10, v[18:21]
.LBB126_81:
	s_andn2_saveexec_b64 s[14:15], s[14:15]
	s_cbranch_execz .LBB126_83
; %bb.82:
	s_lshl_b64 s[16:17], s[20:21], 7
	v_mov_b32_e32 v10, s17
	v_add_co_u32_e32 v15, vcc, s16, v6
	v_addc_co_u32_e32 v16, vcc, v7, v10, vcc
	global_load_dwordx4 v[18:21], v[15:16], off
	s_movk_i32 s16, 0x210
	v_mad_u32_u24 v10, v8, s16, v12
	s_waitcnt vmcnt(0)
	ds_write2_b64 v10, v[18:19], v[20:21] offset1:1
.LBB126_83:
	s_or_b64 exec, exec, s[14:15]
	v_add_u32_e32 v15, 16, v11
	v_cmp_le_i32_e32 vcc, s24, v15
	s_and_saveexec_b64 s[14:15], vcc
	s_xor_b64 s[14:15], exec, s[14:15]
	s_cbranch_execz .LBB126_85
; %bb.84:
	s_movk_i32 s16, 0x210
	v_mov_b32_e32 v18, 0
	v_mad_u32_u24 v10, v15, s16, v12
	v_mov_b32_e32 v19, v18
	v_mov_b32_e32 v20, v18
	;; [unrolled: 1-line block ×3, first 2 shown]
	ds_write_b128 v10, v[18:21]
.LBB126_85:
	s_andn2_saveexec_b64 s[14:15], s[14:15]
	s_cbranch_execz .LBB126_87
; %bb.86:
	s_lshl_b64 s[16:17], s[20:21], 8
	v_mov_b32_e32 v10, s17
	v_add_co_u32_e32 v18, vcc, s16, v6
	v_addc_co_u32_e32 v19, vcc, v7, v10, vcc
	global_load_dwordx4 v[18:21], v[18:19], off
	s_movk_i32 s16, 0x210
	v_mad_u32_u24 v10, v15, s16, v12
	s_waitcnt vmcnt(0)
	ds_write2_b64 v10, v[18:19], v[20:21] offset1:1
.LBB126_87:
	s_or_b64 exec, exec, s[14:15]
	v_add_u32_e32 v10, 24, v11
	v_cmp_le_i32_e32 vcc, s24, v10
                                        ; implicit-def: $vgpr16
	s_and_saveexec_b64 s[14:15], vcc
	s_xor_b64 s[14:15], exec, s[14:15]
	s_cbranch_execz .LBB126_89
; %bb.88:
	s_movk_i32 s16, 0x210
	v_mov_b32_e32 v18, 0
	v_mul_u32_u24_e32 v16, 0x210, v10
	v_mad_u32_u24 v22, v10, s16, v12
	v_mov_b32_e32 v19, v18
	v_mov_b32_e32 v20, v18
	;; [unrolled: 1-line block ×3, first 2 shown]
	ds_write_b128 v22, v[18:21]
.LBB126_89:
	s_andn2_saveexec_b64 s[14:15], s[14:15]
	s_cbranch_execz .LBB126_91
; %bb.90:
	v_mov_b32_e32 v16, 0x180
	v_mad_u64_u32 v[18:19], s[16:17], s20, v16, v[6:7]
	s_mul_i32 s16, s21, 0x180
	v_mul_u32_u24_e32 v16, 0x210, v10
	v_add_u32_e32 v19, s16, v19
	global_load_dwordx4 v[18:21], v[18:19], off
	s_movk_i32 s16, 0x210
	v_mad_u32_u24 v22, v10, s16, v12
	s_waitcnt vmcnt(0)
	ds_write2_b64 v22, v[18:19], v[20:21] offset1:1
.LBB126_91:
	s_or_b64 exec, exec, s[14:15]
	v_add_co_u32_e32 v6, vcc, v6, v17
	v_addc_co_u32_e32 v7, vcc, 0, v7, vcc
	v_mov_b32_e32 v17, s13
	v_subrev_co_u32_e32 v6, vcc, s12, v6
	v_subb_co_u32_e32 v7, vcc, v7, v17, vcc
	v_add_co_u32_e32 v6, vcc, 0x210, v6
	s_movk_i32 s12, 0x210
	v_addc_co_u32_e32 v7, vcc, 0, v7, vcc
	v_cndmask_b32_e64 v42, v6, v42, s[8:9]
	v_mov_b32_e32 v6, 0x1080
	v_cndmask_b32_e64 v43, v7, v43, s[8:9]
	v_mul_u32_u24_e32 v17, 0x210, v8
	v_mad_u32_u24 v7, v8, s12, v6
.LBB126_92:
	v_lshlrev_b32_e32 v6, 4, v11
	s_waitcnt lgkmcnt(0)
	s_barrier
	ds_read_b128 v[18:21], v6 offset:18176
	ds_read_b128 v[22:25], v14
	v_add_u32_e32 v6, v12, v17
	v_lshlrev_b32_e32 v8, 4, v8
	ds_read_b128 v[26:29], v8 offset:18176
	ds_read_b128 v[30:33], v6
	v_add_u32_e32 v6, v12, v7
	v_lshlrev_b32_e32 v7, 4, v15
	s_waitcnt lgkmcnt(2)
	v_mul_f64 v[51:52], v[20:21], v[24:25]
	ds_read_b128 v[34:37], v7 offset:18176
	ds_read_b128 v[47:50], v6
	v_mul_f64 v[6:7], v[18:19], v[24:25]
	s_waitcnt lgkmcnt(2)
	v_mul_f64 v[53:54], v[28:29], v[32:33]
	v_mul_f64 v[32:33], v[26:27], v[32:33]
	v_lshlrev_b32_e32 v10, 4, v10
	s_waitcnt lgkmcnt(0)
	v_mul_f64 v[24:25], v[36:37], v[49:50]
	v_add_u32_e32 v8, v12, v16
	v_fma_f64 v[14:15], v[18:19], v[22:23], -v[51:52]
	v_lshl_add_u32 v51, v13, 4, v45
	v_fma_f64 v[6:7], v[20:21], v[22:23], v[6:7]
	v_fma_f64 v[26:27], v[26:27], v[30:31], -v[53:54]
	v_fma_f64 v[24:25], v[34:35], v[47:48], -v[24:25]
	v_add_f64 v[22:23], v[14:15], 0
	ds_read_b128 v[14:17], v10 offset:18176
	ds_read2_b64 v[18:21], v8 offset1:1
	v_fma_f64 v[10:11], v[28:29], v[30:31], v[32:33]
	v_mul_f64 v[28:29], v[34:35], v[49:50]
	v_add_f64 v[6:7], v[6:7], 0
	v_add_f64 v[22:23], v[22:23], v[26:27]
	s_waitcnt lgkmcnt(0)
	v_mul_f64 v[26:27], v[16:17], v[20:21]
	v_mul_f64 v[20:21], v[14:15], v[20:21]
	v_fma_f64 v[28:29], v[36:37], v[47:48], v[28:29]
	v_add_f64 v[6:7], v[6:7], v[10:11]
	v_fma_f64 v[14:15], v[14:15], v[18:19], -v[26:27]
	v_fma_f64 v[16:17], v[16:17], v[18:19], v[20:21]
	v_add_f64 v[18:19], v[22:23], v[24:25]
	v_add_f64 v[20:21], v[6:7], v[28:29]
	ds_read_b128 v[30:33], v9 offset:512
	ds_read_b128 v[22:25], v9 offset:528
	;; [unrolled: 1-line block ×4, first 2 shown]
	v_add_f64 v[47:48], v[18:19], v[14:15]
	v_add_f64 v[49:50], v[20:21], v[16:17]
	ds_read_b128 v[34:37], v51
	ds_read_b128 v[26:29], v51 offset:16
	ds_read_b128 v[18:21], v51 offset:32
	;; [unrolled: 1-line block ×3, first 2 shown]
	s_waitcnt lgkmcnt(0)
	s_barrier
	ds_write_b128 v46, v[47:50]
	s_waitcnt lgkmcnt(0)
	s_barrier
	s_and_saveexec_b64 s[8:9], s[10:11]
	s_cbranch_execz .LBB126_94
; %bb.93:
	ds_read_b128 v[47:50], v45
	ds_read_b128 v[51:54], v45 offset:16
	s_waitcnt lgkmcnt(1)
	v_add_f64 v[2:3], v[2:3], v[47:48]
	v_add_f64 v[4:5], v[4:5], v[49:50]
	s_waitcnt lgkmcnt(0)
	v_add_f64 v[51:52], v[2:3], v[51:52]
	v_add_f64 v[53:54], v[4:5], v[53:54]
	ds_read_b128 v[2:5], v45 offset:32
	ds_read_b128 v[47:50], v45 offset:48
	s_waitcnt lgkmcnt(1)
	v_add_f64 v[2:3], v[51:52], v[2:3]
	v_add_f64 v[4:5], v[53:54], v[4:5]
	s_waitcnt lgkmcnt(0)
	v_add_f64 v[51:52], v[2:3], v[47:48]
	v_add_f64 v[53:54], v[4:5], v[49:50]
	ds_read_b128 v[2:5], v45 offset:64
	;; [unrolled: 8-line block ×3, first 2 shown]
	ds_read_b128 v[47:50], v45 offset:112
	s_waitcnt lgkmcnt(1)
	v_add_f64 v[2:3], v[51:52], v[2:3]
	v_add_f64 v[4:5], v[53:54], v[4:5]
	s_waitcnt lgkmcnt(0)
	v_add_f64 v[2:3], v[2:3], v[47:48]
	v_add_f64 v[4:5], v[4:5], v[49:50]
.LBB126_94:
	s_or_b64 exec, exec, s[8:9]
	v_mul_f64 v[47:48], v[36:37], v[32:33]
	v_mul_f64 v[32:33], v[34:35], v[32:33]
	;; [unrolled: 1-line block ×4, first 2 shown]
	s_barrier
	v_fma_f64 v[34:35], v[34:35], v[30:31], -v[47:48]
	v_fma_f64 v[30:31], v[36:37], v[30:31], v[32:33]
	v_mul_f64 v[32:33], v[20:21], v[12:13]
	v_mul_f64 v[12:13], v[18:19], v[12:13]
	v_fma_f64 v[26:27], v[26:27], v[22:23], -v[49:50]
	v_fma_f64 v[22:23], v[28:29], v[22:23], v[24:25]
	v_add_f64 v[24:25], v[34:35], 0
	v_add_f64 v[28:29], v[30:31], 0
	v_mul_f64 v[30:31], v[16:17], v[8:9]
	v_mul_f64 v[8:9], v[14:15], v[8:9]
	v_fma_f64 v[18:19], v[18:19], v[10:11], -v[32:33]
	v_fma_f64 v[10:11], v[20:21], v[10:11], v[12:13]
	v_add_f64 v[12:13], v[24:25], v[26:27]
	v_add_f64 v[20:21], v[28:29], v[22:23]
	v_fma_f64 v[14:15], v[14:15], v[6:7], -v[30:31]
	v_fma_f64 v[8:9], v[16:17], v[6:7], v[8:9]
	v_add_f64 v[6:7], v[12:13], v[18:19]
	v_add_f64 v[10:11], v[20:21], v[10:11]
	;; [unrolled: 1-line block ×4, first 2 shown]
	ds_write_b128 v46, v[6:9]
	s_waitcnt lgkmcnt(0)
	s_barrier
	s_and_saveexec_b64 s[8:9], s[4:5]
	s_cbranch_execz .LBB126_96
; %bb.95:
	ds_read_b128 v[6:9], v45
	ds_read_b128 v[10:13], v45 offset:16
	s_waitcnt lgkmcnt(1)
	v_add_f64 v[2:3], v[2:3], v[6:7]
	v_add_f64 v[4:5], v[4:5], v[8:9]
	s_waitcnt lgkmcnt(0)
	v_add_f64 v[10:11], v[2:3], v[10:11]
	v_add_f64 v[12:13], v[4:5], v[12:13]
	ds_read_b128 v[2:5], v45 offset:32
	ds_read_b128 v[6:9], v45 offset:48
	s_waitcnt lgkmcnt(1)
	v_add_f64 v[2:3], v[10:11], v[2:3]
	v_add_f64 v[4:5], v[12:13], v[4:5]
	s_waitcnt lgkmcnt(0)
	v_add_f64 v[10:11], v[2:3], v[6:7]
	v_add_f64 v[12:13], v[4:5], v[8:9]
	ds_read_b128 v[2:5], v45 offset:64
	;; [unrolled: 8-line block ×3, first 2 shown]
	ds_read_b128 v[6:9], v45 offset:112
	s_waitcnt lgkmcnt(1)
	v_add_f64 v[2:3], v[10:11], v[2:3]
	v_add_f64 v[4:5], v[12:13], v[4:5]
	s_waitcnt lgkmcnt(0)
	v_add_f64 v[2:3], v[2:3], v[6:7]
	v_add_f64 v[4:5], v[4:5], v[8:9]
.LBB126_96:
	s_or_b64 exec, exec, s[8:9]
	s_mul_hi_u32 s4, s33, s7
	s_mul_i32 s41, s41, s7
	s_add_i32 s4, s4, s41
	s_mul_i32 s7, s33, s7
	s_mul_i32 s4, s4, s40
	s_mul_hi_u32 s5, s7, s40
	s_add_i32 s5, s5, s4
	s_mul_i32 s4, s7, s40
	s_lshl_b64 s[4:5], s[4:5], 4
	s_add_u32 s7, s28, s4
	s_mul_i32 s4, s33, s6
	s_addc_u32 s8, s29, s5
	s_ashr_i32 s5, s4, 31
	s_lshl_b64 s[4:5], s[4:5], 4
	s_add_u32 s7, s7, s4
	v_cmp_le_i32_e32 vcc, s24, v0
	s_addc_u32 s14, s8, s5
	s_and_b64 vcc, s[30:31], vcc
	s_cmp_lt_i32 s6, 1
	v_lshlrev_b32_e32 v148, 4, v0
	s_barrier
	s_cbranch_scc1 .LBB126_103
; %bb.97:
	s_mul_i32 s4, s36, s27
	s_mul_hi_u32 s5, s36, s26
	s_add_i32 s4, s5, s4
	s_mul_i32 s5, s37, s26
	s_add_i32 s5, s4, s5
	s_mul_i32 s4, s36, s26
	s_lshl_b64 s[4:5], s[4:5], 4
	v_mov_b32_e32 v6, s5
	v_subrev_co_u32_e64 v149, s[4:5], s4, v38
	v_lshlrev_b32_e32 v10, 2, v1
	v_subb_co_u32_e64 v150, s[4:5], v39, v6, s[4:5]
	v_mad_u64_u32 v[6:7], s[4:5], s20, v10, 0
	v_mov_b32_e32 v8, s23
	v_subrev_co_u32_e64 v11, s[4:5], s22, v42
	v_subb_co_u32_e64 v13, s[4:5], v43, v8, s[4:5]
	v_mad_u64_u32 v[7:8], s[4:5], s21, v10, v[7:8]
	v_sub_co_u32_e64 v8, s[4:5], v11, v40
	v_lshlrev_b64 v[6:7], 4, v[6:7]
	v_subb_co_u32_e64 v10, s[4:5], v13, v41, s[4:5]
	v_add_co_u32_e64 v6, s[4:5], v8, v6
	v_addc_co_u32_e64 v7, s[4:5], v10, v7, s[4:5]
	s_ashr_i32 s25, s24, 31
	s_lshl_b64 s[4:5], s[24:25], 4
	v_mov_b32_e32 v8, s5
	v_add_co_u32_e64 v10, s[4:5], s4, v6
	v_addc_co_u32_e64 v8, s[4:5], v7, v8, s[4:5]
	s_movk_i32 s4, 0xfdf0
	v_add_co_u32_e64 v10, s[4:5], s4, v10
	v_addc_co_u32_e64 v8, s[4:5], -1, v8, s[4:5]
	v_add_co_u32_e64 v6, s[4:5], v6, v148
	v_addc_co_u32_e64 v7, s[4:5], 0, v7, s[4:5]
	s_movk_i32 s4, 0xfe00
	v_add_co_u32_e64 v6, s[4:5], s4, v6
	v_addc_co_u32_e64 v7, s[4:5], -1, v7, s[4:5]
	v_cndmask_b32_e32 v11, v7, v8, vcc
	v_and_b32_e32 v7, 48, v0
	v_lshrrev_b32_e32 v9, 4, v44
	v_and_b32_e32 v12, 15, v0
	v_cndmask_b32_e32 v10, v6, v10, vcc
	v_mov_b32_e32 v6, 0x4300
	s_movk_i32 s8, 0x430
	v_lshlrev_b32_e32 v7, 4, v7
	v_lshl_add_u32 v152, v1, 6, v6
	v_lshlrev_b32_e32 v6, 6, v9
	v_mad_u32_u24 v156, v12, s8, v7
	v_or_b32_e32 v7, 0xf0, v148
	v_mad_u32_u24 v155, v12, s8, v6
	v_mad_u32_u24 v157, v12, s8, v7
	s_mul_i32 s8, s21, 0xd0
	s_mul_hi_u32 s9, s20, 0xd0
	s_movk_i32 s4, 0x10c0
	v_mul_i32_i24_e32 v6, 0xffffffd0, v9
	s_lshl_b64 s[10:11], s[20:21], 4
	s_add_i32 s15, s9, s8
	v_mov_b32_e32 v145, 0
	v_add_u32_e32 v151, 0x4300, v148
	v_add_u32_e32 v153, 0x4700, v148
	v_mad_u32_u24 v154, v1, s4, v148
	v_cmp_gt_u32_e64 s[4:5], 64, v44
	s_mul_i32 s16, s20, 0xd0
	s_mov_b32 s17, 0
	v_mov_b32_e32 v158, s11
	v_mov_b32_e32 v159, s15
	v_add_u32_e32 v160, v155, v6
	s_branch .LBB126_99
.LBB126_98:                             ;   in Loop: Header=BB126_99 Depth=1
	s_or_b64 exec, exec, s[12:13]
	v_mul_f64 v[86:87], v[8:9], v[36:37]
	v_mul_f64 v[36:37], v[6:7], v[36:37]
	;; [unrolled: 1-line block ×4, first 2 shown]
	s_add_i32 s17, s17, 64
	s_add_i32 s6, s6, -1
	s_cmp_eq_u32 s6, 0
	v_fma_f64 v[6:7], v[6:7], v[34:35], -v[86:87]
	v_fma_f64 v[8:9], v[8:9], v[34:35], v[36:37]
	v_mul_f64 v[34:35], v[16:17], v[28:29]
	v_mul_f64 v[28:29], v[14:15], v[28:29]
	v_fma_f64 v[18:19], v[18:19], v[30:31], -v[88:89]
	v_fma_f64 v[20:21], v[20:21], v[30:31], v[32:33]
	s_waitcnt vmcnt(0)
	s_barrier
	v_add_f64 v[2:3], v[2:3], v[6:7]
	v_add_f64 v[4:5], v[4:5], v[8:9]
	v_mul_f64 v[6:7], v[12:13], v[24:25]
	v_mul_f64 v[8:9], v[10:11], v[24:25]
	v_fma_f64 v[14:15], v[14:15], v[26:27], -v[34:35]
	v_fma_f64 v[16:17], v[16:17], v[26:27], v[28:29]
	v_add_f64 v[2:3], v[2:3], v[18:19]
	v_add_f64 v[4:5], v[4:5], v[20:21]
	v_mul_f64 v[18:19], v[48:49], v[84:85]
	v_mul_f64 v[20:21], v[46:47], v[84:85]
	v_fma_f64 v[6:7], v[10:11], v[22:23], -v[6:7]
	v_fma_f64 v[8:9], v[12:13], v[22:23], v[8:9]
	v_mul_f64 v[10:11], v[52:53], v[80:81]
	v_mul_f64 v[12:13], v[50:51], v[80:81]
	v_add_f64 v[2:3], v[2:3], v[14:15]
	v_add_f64 v[4:5], v[4:5], v[16:17]
	v_fma_f64 v[14:15], v[46:47], v[82:83], -v[18:19]
	v_fma_f64 v[16:17], v[48:49], v[82:83], v[20:21]
	v_fma_f64 v[10:11], v[50:51], v[78:79], -v[10:11]
	v_fma_f64 v[12:13], v[52:53], v[78:79], v[12:13]
	v_add_f64 v[2:3], v[2:3], v[6:7]
	v_add_f64 v[4:5], v[4:5], v[8:9]
	v_mul_f64 v[6:7], v[44:45], v[76:77]
	v_mul_f64 v[8:9], v[42:43], v[76:77]
	v_add_f64 v[2:3], v[2:3], v[14:15]
	v_add_f64 v[4:5], v[4:5], v[16:17]
	v_mul_f64 v[14:15], v[40:41], v[72:73]
	v_mul_f64 v[16:17], v[38:39], v[72:73]
	v_fma_f64 v[6:7], v[42:43], v[74:75], -v[6:7]
	v_fma_f64 v[8:9], v[44:45], v[74:75], v[8:9]
	v_add_f64 v[2:3], v[2:3], v[10:11]
	v_add_f64 v[4:5], v[4:5], v[12:13]
	v_mul_f64 v[10:11], v[64:65], v[124:125]
	v_mul_f64 v[12:13], v[62:63], v[124:125]
	v_fma_f64 v[14:15], v[38:39], v[70:71], -v[14:15]
	v_fma_f64 v[16:17], v[40:41], v[70:71], v[16:17]
	;; [unrolled: 6-line block ×9, first 2 shown]
	v_add_f64 v[2:3], v[2:3], v[14:15]
	v_add_f64 v[4:5], v[4:5], v[16:17]
	v_fma_f64 v[6:7], v[106:107], v[126:127], -v[6:7]
	v_fma_f64 v[8:9], v[108:109], v[126:127], v[8:9]
	v_add_f64 v[2:3], v[2:3], v[10:11]
	v_add_f64 v[4:5], v[4:5], v[12:13]
	v_add_co_u32_e64 v10, s[8:9], s16, v146
	v_add_f64 v[2:3], v[2:3], v[6:7]
	v_add_f64 v[4:5], v[4:5], v[8:9]
	v_mov_b32_e32 v6, s15
	v_addc_co_u32_e64 v11, s[8:9], v147, v6, s[8:9]
	s_cbranch_scc1 .LBB126_103
.LBB126_99:                             ; =>This Inner Loop Header: Depth=1
	s_and_saveexec_b64 s[12:13], s[2:3]
	s_cbranch_execz .LBB126_101
; %bb.100:                              ;   in Loop: Header=BB126_99 Depth=1
	s_mul_i32 s8, s37, s17
	s_mul_hi_u32 s9, s36, s17
	s_add_i32 s9, s9, s8
	s_mul_i32 s8, s36, s17
	s_lshl_b64 s[8:9], s[8:9], 4
	v_mov_b32_e32 v7, s9
	v_add_co_u32_e64 v6, s[8:9], s8, v149
	v_addc_co_u32_e64 v7, s[8:9], v150, v7, s[8:9]
	global_load_dwordx4 v[6:9], v[6:7], off
	s_waitcnt vmcnt(0)
	ds_write2_b64 v151, v[6:7], v[8:9] offset1:1
.LBB126_101:                            ;   in Loop: Header=BB126_99 Depth=1
	s_or_b64 exec, exec, s[12:13]
	s_waitcnt lgkmcnt(0)
	s_barrier
	global_load_dwordx4 v[6:9], v[10:11], off
	v_add_co_u32_e64 v10, s[8:9], s10, v10
	v_addc_co_u32_e64 v11, s[8:9], v11, v158, s[8:9]
	v_add_co_u32_e64 v12, s[8:9], s10, v10
	v_addc_co_u32_e64 v13, s[8:9], v11, v158, s[8:9]
	v_add_co_u32_e64 v42, s[8:9], s10, v12
	global_load_dwordx4 v[18:21], v[10:11], off
	global_load_dwordx4 v[14:17], v[12:13], off
	v_addc_co_u32_e64 v43, s[8:9], v13, v158, s[8:9]
	global_load_dwordx4 v[10:13], v[42:43], off
	ds_read_b128 v[38:41], v153
	ds_read_b128 v[34:37], v152
	ds_read_b128 v[30:33], v152 offset:16
	ds_read_b128 v[26:29], v152 offset:32
	ds_read_b128 v[22:25], v152 offset:48
	v_add_co_u32_e64 v56, s[8:9], s16, v42
	v_addc_co_u32_e64 v57, s[8:9], v43, v159, s[8:9]
	v_add_co_u32_e64 v58, s[8:9], s10, v56
	v_addc_co_u32_e64 v59, s[8:9], v57, v158, s[8:9]
	s_waitcnt vmcnt(3) lgkmcnt(4)
	v_mul_f64 v[42:43], v[8:9], v[40:41]
	v_mul_f64 v[44:45], v[6:7], v[40:41]
	s_waitcnt vmcnt(2)
	v_mul_f64 v[46:47], v[20:21], v[40:41]
	v_mul_f64 v[48:49], v[18:19], v[40:41]
	s_waitcnt vmcnt(1)
	;; [unrolled: 3-line block ×3, first 2 shown]
	v_mul_f64 v[54:55], v[12:13], v[40:41]
	v_mul_f64 v[60:61], v[10:11], v[40:41]
	v_fma_f64 v[40:41], v[6:7], v[38:39], -v[42:43]
	v_fma_f64 v[42:43], v[8:9], v[38:39], v[44:45]
	v_fma_f64 v[44:45], v[18:19], v[38:39], -v[46:47]
	v_fma_f64 v[46:47], v[20:21], v[38:39], v[48:49]
	;; [unrolled: 2-line block ×4, first 2 shown]
	v_add_co_u32_e64 v38, s[8:9], s10, v58
	v_addc_co_u32_e64 v39, s[8:9], v59, v158, s[8:9]
	ds_write_b128 v154, v[40:43]
	ds_write_b128 v154, v[44:47] offset:1072
	ds_write_b128 v154, v[48:51] offset:2144
	;; [unrolled: 1-line block ×3, first 2 shown]
	v_add_co_u32_e64 v54, s[8:9], s10, v38
	s_waitcnt lgkmcnt(0)
	s_barrier
	ds_read_b128 v[126:129], v155
	ds_read_b128 v[130:133], v155 offset:16
	ds_read_b128 v[90:93], v155 offset:32
	;; [unrolled: 1-line block ×3, first 2 shown]
	s_waitcnt lgkmcnt(0)
	s_barrier
	global_load_dwordx4 v[46:49], v[56:57], off
	global_load_dwordx4 v[50:53], v[58:59], off
	;; [unrolled: 1-line block ×3, first 2 shown]
	v_addc_co_u32_e64 v55, s[8:9], v39, v158, s[8:9]
	global_load_dwordx4 v[38:41], v[54:55], off
	v_add_co_u32_e64 v68, s[8:9], s16, v54
	v_addc_co_u32_e64 v69, s[8:9], v55, v159, s[8:9]
	ds_read_b128 v[54:57], v153
	v_add_co_u32_e64 v98, s[8:9], s10, v68
	v_addc_co_u32_e64 v99, s[8:9], v69, v158, s[8:9]
	v_add_co_u32_e64 v100, s[8:9], s10, v98
	v_addc_co_u32_e64 v101, s[8:9], v99, v158, s[8:9]
	s_waitcnt vmcnt(3) lgkmcnt(0)
	v_mul_f64 v[58:59], v[48:49], v[56:57]
	v_mul_f64 v[60:61], v[46:47], v[56:57]
	s_waitcnt vmcnt(2)
	v_mul_f64 v[62:63], v[52:53], v[56:57]
	v_mul_f64 v[64:65], v[50:51], v[56:57]
	s_waitcnt vmcnt(1)
	;; [unrolled: 3-line block ×3, first 2 shown]
	v_mul_f64 v[72:73], v[40:41], v[56:57]
	v_mul_f64 v[74:75], v[38:39], v[56:57]
	v_fma_f64 v[56:57], v[46:47], v[54:55], -v[58:59]
	v_fma_f64 v[58:59], v[48:49], v[54:55], v[60:61]
	v_fma_f64 v[60:61], v[50:51], v[54:55], -v[62:63]
	v_fma_f64 v[62:63], v[52:53], v[54:55], v[64:65]
	v_fma_f64 v[64:65], v[42:43], v[54:55], -v[66:67]
	v_fma_f64 v[66:67], v[44:45], v[54:55], v[70:71]
	v_fma_f64 v[94:95], v[38:39], v[54:55], -v[72:73]
	v_fma_f64 v[96:97], v[40:41], v[54:55], v[74:75]
	ds_read_b128 v[82:85], v152 offset:256
	ds_read_b128 v[78:81], v152 offset:272
	;; [unrolled: 1-line block ×4, first 2 shown]
	ds_write_b128 v154, v[56:59]
	ds_write_b128 v154, v[60:63] offset:1072
	ds_write_b128 v154, v[64:67] offset:2144
	;; [unrolled: 1-line block ×3, first 2 shown]
	v_add_co_u32_e64 v94, s[8:9], s10, v100
	s_waitcnt lgkmcnt(0)
	s_barrier
	ds_read_b128 v[161:164], v155
	ds_read_b128 v[165:168], v155 offset:16
	ds_read_b128 v[169:172], v155 offset:32
	;; [unrolled: 1-line block ×3, first 2 shown]
	s_waitcnt lgkmcnt(0)
	s_barrier
	global_load_dwordx4 v[62:65], v[68:69], off
	global_load_dwordx4 v[58:61], v[98:99], off
	;; [unrolled: 1-line block ×3, first 2 shown]
	v_addc_co_u32_e64 v95, s[8:9], v101, v158, s[8:9]
	global_load_dwordx4 v[66:69], v[94:95], off
	v_add_co_u32_e64 v108, s[8:9], s16, v94
	v_addc_co_u32_e64 v109, s[8:9], v95, v159, s[8:9]
	ds_read_b128 v[94:97], v153
	v_add_co_u32_e64 v138, s[8:9], s10, v108
	v_addc_co_u32_e64 v139, s[8:9], v109, v158, s[8:9]
	v_add_co_u32_e64 v140, s[8:9], s10, v138
	v_addc_co_u32_e64 v141, s[8:9], v139, v158, s[8:9]
	;; [unrolled: 2-line block ×3, first 2 shown]
	v_add_f64 v[213:214], v[161:162], 0
	v_add_f64 v[165:166], v[213:214], v[165:166]
	;; [unrolled: 1-line block ×3, first 2 shown]
	s_waitcnt vmcnt(3) lgkmcnt(0)
	v_mul_f64 v[98:99], v[64:65], v[96:97]
	v_mul_f64 v[100:101], v[62:63], v[96:97]
	s_waitcnt vmcnt(2)
	v_mul_f64 v[102:103], v[60:61], v[96:97]
	v_mul_f64 v[104:105], v[58:59], v[96:97]
	s_waitcnt vmcnt(1)
	;; [unrolled: 3-line block ×3, first 2 shown]
	v_mul_f64 v[112:113], v[68:69], v[96:97]
	v_mul_f64 v[114:115], v[66:67], v[96:97]
	v_fma_f64 v[96:97], v[62:63], v[94:95], -v[98:99]
	v_fma_f64 v[98:99], v[64:65], v[94:95], v[100:101]
	v_fma_f64 v[100:101], v[58:59], v[94:95], -v[102:103]
	v_fma_f64 v[102:103], v[60:61], v[94:95], v[104:105]
	;; [unrolled: 2-line block ×4, first 2 shown]
	ds_read_b128 v[122:125], v152 offset:512
	ds_read_b128 v[118:121], v152 offset:528
	;; [unrolled: 1-line block ×4, first 2 shown]
	ds_write_b128 v154, v[96:99]
	ds_write_b128 v154, v[100:103] offset:1072
	ds_write_b128 v154, v[104:107] offset:2144
	;; [unrolled: 1-line block ×3, first 2 shown]
	s_waitcnt lgkmcnt(0)
	s_barrier
	ds_read_b128 v[177:180], v155
	ds_read_b128 v[181:184], v155 offset:16
	ds_read_b128 v[185:188], v155 offset:32
	;; [unrolled: 1-line block ×3, first 2 shown]
	s_waitcnt lgkmcnt(0)
	s_barrier
	global_load_dwordx4 v[98:101], v[108:109], off
	global_load_dwordx4 v[94:97], v[138:139], off
	;; [unrolled: 1-line block ×3, first 2 shown]
	v_add_f64 v[134:135], v[126:127], 0
	global_load_dwordx4 v[106:109], v[146:147], off
	v_add_f64 v[136:137], v[128:129], 0
	ds_read_b128 v[126:129], v153
	v_add_f64 v[177:178], v[177:178], 0
	v_add_f64 v[179:180], v[179:180], 0
	;; [unrolled: 1-line block ×9, first 2 shown]
	s_waitcnt vmcnt(3) lgkmcnt(0)
	v_mul_f64 v[130:131], v[100:101], v[128:129]
	v_mul_f64 v[132:133], v[98:99], v[128:129]
	s_waitcnt vmcnt(2)
	v_mul_f64 v[134:135], v[96:97], v[128:129]
	v_mul_f64 v[136:137], v[94:95], v[128:129]
	s_waitcnt vmcnt(1)
	;; [unrolled: 3-line block ×3, first 2 shown]
	v_mul_f64 v[161:162], v[108:109], v[128:129]
	v_mul_f64 v[128:129], v[106:107], v[128:129]
	v_fma_f64 v[193:194], v[98:99], v[126:127], -v[130:131]
	v_fma_f64 v[195:196], v[100:101], v[126:127], v[132:133]
	v_fma_f64 v[197:198], v[94:95], v[126:127], -v[134:135]
	v_fma_f64 v[199:200], v[96:97], v[126:127], v[136:137]
	v_fma_f64 v[201:202], v[102:103], v[126:127], -v[138:139]
	v_fma_f64 v[203:204], v[104:105], v[126:127], v[140:141]
	v_fma_f64 v[205:206], v[106:107], v[126:127], -v[161:162]
	v_fma_f64 v[207:208], v[108:109], v[126:127], v[128:129]
	ds_read_b128 v[138:141], v152 offset:768
	ds_read_b128 v[134:137], v152 offset:784
	;; [unrolled: 1-line block ×4, first 2 shown]
	ds_write_b128 v154, v[193:196]
	ds_write_b128 v154, v[197:200] offset:1072
	ds_write_b128 v154, v[201:204] offset:2144
	;; [unrolled: 1-line block ×3, first 2 shown]
	s_waitcnt lgkmcnt(0)
	s_barrier
	ds_read_b128 v[193:196], v155
	v_add_f64 v[197:198], v[163:164], 0
	ds_read_b128 v[161:164], v155 offset:16
	v_add_f64 v[199:200], v[209:210], v[90:91]
	ds_read_b128 v[90:93], v155 offset:32
	s_waitcnt lgkmcnt(2)
	v_add_f64 v[193:194], v[193:194], 0
	v_add_f64 v[195:196], v[195:196], 0
	;; [unrolled: 1-line block ×4, first 2 shown]
	s_waitcnt lgkmcnt(1)
	v_add_f64 v[183:184], v[193:194], v[161:162]
	v_add_f64 v[193:194], v[195:196], v[163:164]
	ds_read_b128 v[161:164], v155 offset:48
	s_waitcnt lgkmcnt(0)
	v_add_f64 v[167:168], v[167:168], v[171:172]
	v_add_f64 v[171:172], v[179:180], v[187:188]
	s_barrier
	v_add_f64 v[177:178], v[183:184], v[90:91]
	v_add_f64 v[179:180], v[193:194], v[92:93]
	;; [unrolled: 1-line block ×8, first 2 shown]
	ds_write_b128 v160, v[86:89]
	ds_write_b128 v160, v[90:93] offset:256
	ds_write_b128 v160, v[165:168] offset:512
	ds_write_b128 v160, v[161:164] offset:768
	s_waitcnt lgkmcnt(0)
	s_barrier
	s_and_saveexec_b64 s[12:13], s[4:5]
	s_cbranch_execz .LBB126_98
; %bb.102:                              ;   in Loop: Header=BB126_99 Depth=1
	ds_read_b128 v[86:89], v156
	ds_read_b128 v[90:93], v156 offset:16
	v_add_u32_e32 v144, s17, v0
	s_waitcnt lgkmcnt(0)
	v_add_f64 v[161:162], v[90:91], v[86:87]
	v_add_f64 v[163:164], v[92:93], v[88:89]
	ds_read_b128 v[86:89], v156 offset:32
	ds_read_b128 v[90:93], v156 offset:48
	s_waitcnt lgkmcnt(1)
	v_add_f64 v[86:87], v[161:162], v[86:87]
	v_add_f64 v[88:89], v[163:164], v[88:89]
	s_waitcnt lgkmcnt(0)
	v_add_f64 v[161:162], v[86:87], v[90:91]
	v_add_f64 v[163:164], v[88:89], v[92:93]
	ds_read_b128 v[86:89], v156 offset:64
	ds_read_b128 v[90:93], v156 offset:80
	s_waitcnt lgkmcnt(1)
	v_add_f64 v[86:87], v[161:162], v[86:87]
	v_add_f64 v[88:89], v[163:164], v[88:89]
	;; [unrolled: 8-line block ×6, first 2 shown]
	s_waitcnt lgkmcnt(0)
	v_add_f64 v[161:162], v[86:87], v[90:91]
	v_add_f64 v[163:164], v[88:89], v[92:93]
	ds_read_b128 v[86:89], v156 offset:224
	ds_read_b128 v[90:93], v157
	s_waitcnt lgkmcnt(1)
	v_add_f64 v[86:87], v[161:162], v[86:87]
	v_add_f64 v[88:89], v[163:164], v[88:89]
	s_waitcnt lgkmcnt(0)
	v_add_f64 v[86:87], v[86:87], v[90:91]
	v_add_f64 v[88:89], v[88:89], v[92:93]
	v_lshlrev_b64 v[90:91], 4, v[144:145]
	v_mov_b32_e32 v92, s14
	v_add_co_u32_e64 v90, s[8:9], s7, v90
	v_addc_co_u32_e64 v91, s[8:9], v92, v91, s[8:9]
	global_store_dwordx4 v[90:91], v[86:89], off
	s_branch .LBB126_98
.LBB126_103:
	s_movk_i32 s2, 0x430
	v_mad_u32_u24 v0, v1, s2, v148
	s_nor_b64 s[0:1], s[0:1], vcc
	ds_write_b128 v0, v[2:5]
	s_waitcnt lgkmcnt(0)
	s_barrier
	s_and_saveexec_b64 s[2:3], s[0:1]
	s_cbranch_execz .LBB126_105
; %bb.104:
	ds_read_b128 v[0:3], v148 offset:1072
	ds_read_b128 v[4:7], v148
	s_waitcnt lgkmcnt(0)
	v_add_f64 v[8:9], v[0:1], v[4:5]
	v_add_f64 v[10:11], v[2:3], v[6:7]
	ds_read_b128 v[0:3], v148 offset:2144
	ds_read_b128 v[4:7], v148 offset:3216
	s_waitcnt lgkmcnt(1)
	v_add_f64 v[0:1], v[8:9], v[0:1]
	v_add_f64 v[2:3], v[10:11], v[2:3]
	s_waitcnt lgkmcnt(0)
	v_add_f64 v[0:1], v[0:1], v[4:5]
	v_add_f64 v[2:3], v[2:3], v[6:7]
	v_lshlrev_b64 v[4:5], 4, v[142:143]
	v_mov_b32_e32 v6, s14
	v_add_co_u32_e32 v4, vcc, s7, v4
	v_addc_co_u32_e32 v5, vcc, v6, v5, vcc
	global_store_dwordx4 v[4:5], v[0:3], off
.LBB126_105:
	s_endpgm
	.section	.rodata,"a",@progbits
	.p2align	6, 0x0
	.amdhsa_kernel _ZL26rocblas_hemvn_kernel_lowerILb0ELi64ELi4ELi33ELi32ELi16ElPK19rocblas_complex_numIdES3_PS1_EviT6_lT7_lT5_lS6_lS7_lS5_lT8_i
		.amdhsa_group_segment_fixed_size 19200
		.amdhsa_private_segment_fixed_size 0
		.amdhsa_kernarg_size 376
		.amdhsa_user_sgpr_count 6
		.amdhsa_user_sgpr_private_segment_buffer 1
		.amdhsa_user_sgpr_dispatch_ptr 0
		.amdhsa_user_sgpr_queue_ptr 0
		.amdhsa_user_sgpr_kernarg_segment_ptr 1
		.amdhsa_user_sgpr_dispatch_id 0
		.amdhsa_user_sgpr_flat_scratch_init 0
		.amdhsa_user_sgpr_private_segment_size 0
		.amdhsa_uses_dynamic_stack 0
		.amdhsa_system_sgpr_private_segment_wavefront_offset 0
		.amdhsa_system_sgpr_workgroup_id_x 1
		.amdhsa_system_sgpr_workgroup_id_y 0
		.amdhsa_system_sgpr_workgroup_id_z 1
		.amdhsa_system_sgpr_workgroup_info 0
		.amdhsa_system_vgpr_workitem_id 1
		.amdhsa_next_free_vgpr 215
		.amdhsa_next_free_sgpr 98
		.amdhsa_reserve_vcc 1
		.amdhsa_reserve_flat_scratch 0
		.amdhsa_float_round_mode_32 0
		.amdhsa_float_round_mode_16_64 0
		.amdhsa_float_denorm_mode_32 3
		.amdhsa_float_denorm_mode_16_64 3
		.amdhsa_dx10_clamp 1
		.amdhsa_ieee_mode 1
		.amdhsa_fp16_overflow 0
		.amdhsa_exception_fp_ieee_invalid_op 0
		.amdhsa_exception_fp_denorm_src 0
		.amdhsa_exception_fp_ieee_div_zero 0
		.amdhsa_exception_fp_ieee_overflow 0
		.amdhsa_exception_fp_ieee_underflow 0
		.amdhsa_exception_fp_ieee_inexact 0
		.amdhsa_exception_int_div_zero 0
	.end_amdhsa_kernel
	.section	.text._ZL26rocblas_hemvn_kernel_lowerILb0ELi64ELi4ELi33ELi32ELi16ElPK19rocblas_complex_numIdES3_PS1_EviT6_lT7_lT5_lS6_lS7_lS5_lT8_i,"axG",@progbits,_ZL26rocblas_hemvn_kernel_lowerILb0ELi64ELi4ELi33ELi32ELi16ElPK19rocblas_complex_numIdES3_PS1_EviT6_lT7_lT5_lS6_lS7_lS5_lT8_i,comdat
.Lfunc_end126:
	.size	_ZL26rocblas_hemvn_kernel_lowerILb0ELi64ELi4ELi33ELi32ELi16ElPK19rocblas_complex_numIdES3_PS1_EviT6_lT7_lT5_lS6_lS7_lS5_lT8_i, .Lfunc_end126-_ZL26rocblas_hemvn_kernel_lowerILb0ELi64ELi4ELi33ELi32ELi16ElPK19rocblas_complex_numIdES3_PS1_EviT6_lT7_lT5_lS6_lS7_lS5_lT8_i
                                        ; -- End function
	.set _ZL26rocblas_hemvn_kernel_lowerILb0ELi64ELi4ELi33ELi32ELi16ElPK19rocblas_complex_numIdES3_PS1_EviT6_lT7_lT5_lS6_lS7_lS5_lT8_i.num_vgpr, 215
	.set _ZL26rocblas_hemvn_kernel_lowerILb0ELi64ELi4ELi33ELi32ELi16ElPK19rocblas_complex_numIdES3_PS1_EviT6_lT7_lT5_lS6_lS7_lS5_lT8_i.num_agpr, 0
	.set _ZL26rocblas_hemvn_kernel_lowerILb0ELi64ELi4ELi33ELi32ELi16ElPK19rocblas_complex_numIdES3_PS1_EviT6_lT7_lT5_lS6_lS7_lS5_lT8_i.numbered_sgpr, 44
	.set _ZL26rocblas_hemvn_kernel_lowerILb0ELi64ELi4ELi33ELi32ELi16ElPK19rocblas_complex_numIdES3_PS1_EviT6_lT7_lT5_lS6_lS7_lS5_lT8_i.num_named_barrier, 0
	.set _ZL26rocblas_hemvn_kernel_lowerILb0ELi64ELi4ELi33ELi32ELi16ElPK19rocblas_complex_numIdES3_PS1_EviT6_lT7_lT5_lS6_lS7_lS5_lT8_i.private_seg_size, 0
	.set _ZL26rocblas_hemvn_kernel_lowerILb0ELi64ELi4ELi33ELi32ELi16ElPK19rocblas_complex_numIdES3_PS1_EviT6_lT7_lT5_lS6_lS7_lS5_lT8_i.uses_vcc, 1
	.set _ZL26rocblas_hemvn_kernel_lowerILb0ELi64ELi4ELi33ELi32ELi16ElPK19rocblas_complex_numIdES3_PS1_EviT6_lT7_lT5_lS6_lS7_lS5_lT8_i.uses_flat_scratch, 0
	.set _ZL26rocblas_hemvn_kernel_lowerILb0ELi64ELi4ELi33ELi32ELi16ElPK19rocblas_complex_numIdES3_PS1_EviT6_lT7_lT5_lS6_lS7_lS5_lT8_i.has_dyn_sized_stack, 0
	.set _ZL26rocblas_hemvn_kernel_lowerILb0ELi64ELi4ELi33ELi32ELi16ElPK19rocblas_complex_numIdES3_PS1_EviT6_lT7_lT5_lS6_lS7_lS5_lT8_i.has_recursion, 0
	.set _ZL26rocblas_hemvn_kernel_lowerILb0ELi64ELi4ELi33ELi32ELi16ElPK19rocblas_complex_numIdES3_PS1_EviT6_lT7_lT5_lS6_lS7_lS5_lT8_i.has_indirect_call, 0
	.section	.AMDGPU.csdata,"",@progbits
; Kernel info:
; codeLenInByte = 9472
; TotalNumSgprs: 48
; NumVgprs: 215
; ScratchSize: 0
; MemoryBound: 0
; FloatMode: 240
; IeeeMode: 1
; LDSByteSize: 19200 bytes/workgroup (compile time only)
; SGPRBlocks: 12
; VGPRBlocks: 53
; NumSGPRsForWavesPerEU: 102
; NumVGPRsForWavesPerEU: 215
; Occupancy: 1
; WaveLimiterHint : 0
; COMPUTE_PGM_RSRC2:SCRATCH_EN: 0
; COMPUTE_PGM_RSRC2:USER_SGPR: 6
; COMPUTE_PGM_RSRC2:TRAP_HANDLER: 0
; COMPUTE_PGM_RSRC2:TGID_X_EN: 1
; COMPUTE_PGM_RSRC2:TGID_Y_EN: 0
; COMPUTE_PGM_RSRC2:TGID_Z_EN: 1
; COMPUTE_PGM_RSRC2:TIDIG_COMP_CNT: 1
	.section	.text._ZL26rocblas_hemvn_kernel_lowerILb0ELi64ELi4ELi33ELi32ELi16EiPK19rocblas_complex_numIdES3_PS1_EviT6_lT7_lT5_lS6_lS7_lS5_lT8_i,"axG",@progbits,_ZL26rocblas_hemvn_kernel_lowerILb0ELi64ELi4ELi33ELi32ELi16EiPK19rocblas_complex_numIdES3_PS1_EviT6_lT7_lT5_lS6_lS7_lS5_lT8_i,comdat
	.globl	_ZL26rocblas_hemvn_kernel_lowerILb0ELi64ELi4ELi33ELi32ELi16EiPK19rocblas_complex_numIdES3_PS1_EviT6_lT7_lT5_lS6_lS7_lS5_lT8_i ; -- Begin function _ZL26rocblas_hemvn_kernel_lowerILb0ELi64ELi4ELi33ELi32ELi16EiPK19rocblas_complex_numIdES3_PS1_EviT6_lT7_lT5_lS6_lS7_lS5_lT8_i
	.p2align	8
	.type	_ZL26rocblas_hemvn_kernel_lowerILb0ELi64ELi4ELi33ELi32ELi16EiPK19rocblas_complex_numIdES3_PS1_EviT6_lT7_lT5_lS6_lS7_lS5_lT8_i,@function
_ZL26rocblas_hemvn_kernel_lowerILb0ELi64ELi4ELi33ELi32ELi16EiPK19rocblas_complex_numIdES3_PS1_EviT6_lT7_lT5_lS6_lS7_lS5_lT8_i: ; @_ZL26rocblas_hemvn_kernel_lowerILb0ELi64ELi4ELi33ELi32ELi16EiPK19rocblas_complex_numIdES3_PS1_EviT6_lT7_lT5_lS6_lS7_lS5_lT8_i
; %bb.0:
	s_load_dwordx2 s[2:3], s[4:5], 0x84
	s_add_u32 s0, s4, 0x78
	s_addc_u32 s1, s5, 0
	s_waitcnt lgkmcnt(0)
	s_lshr_b32 s8, s2, 16
	s_and_b32 s2, s2, 0xffff
	s_and_b32 s3, s3, 0xffff
	s_mul_i32 s2, s8, s2
	s_mul_i32 s2, s2, s3
	s_cmpk_lg_i32 s2, 0x100
	s_cbranch_scc1 .LBB127_105
; %bb.1:
	s_load_dwordx8 s[8:15], s[4:5], 0x8
	s_load_dwordx8 s[16:23], s[4:5], 0x50
	v_mov_b32_e32 v2, v1
	s_waitcnt lgkmcnt(0)
	s_mul_i32 s3, s11, s7
	s_mul_hi_u32 s11, s10, s7
	s_mul_i32 s2, s10, s7
	s_add_i32 s3, s11, s3
	s_lshl_b64 s[2:3], s[2:3], 4
	s_add_u32 s2, s8, s2
	s_addc_u32 s3, s9, s3
	s_load_dwordx4 s[8:11], s[2:3], 0x0
	s_waitcnt lgkmcnt(0)
	v_cmp_neq_f64_e64 s[2:3], s[8:9], 0
	v_cmp_neq_f64_e64 s[8:9], s[10:11], 0
	s_or_b64 s[2:3], s[2:3], s[8:9]
	s_mov_b64 s[8:9], -1
	s_and_b64 vcc, exec, s[2:3]
	s_cbranch_vccnz .LBB127_3
; %bb.2:
	s_mul_i32 s8, s21, s7
	s_mul_hi_u32 s9, s20, s7
	s_add_i32 s9, s9, s8
	s_mul_i32 s8, s20, s7
	s_lshl_b64 s[8:9], s[8:9], 4
	s_add_u32 s18, s18, s8
	s_addc_u32 s19, s19, s9
	s_load_dwordx4 s[8:11], s[18:19], 0x0
	s_waitcnt lgkmcnt(0)
	v_cmp_neq_f64_e64 s[8:9], s[8:9], 1.0
	v_cmp_neq_f64_e64 s[10:11], s[10:11], 0
	s_or_b64 s[8:9], s[8:9], s[10:11]
.LBB127_3:
	s_andn2_b64 vcc, exec, s[8:9]
	s_cbranch_vccnz .LBB127_105
; %bb.4:
	s_andn2_b64 vcc, exec, s[2:3]
	s_cbranch_vccnz .LBB127_105
; %bb.5:
	s_load_dword s41, s[0:1], 0x0
	s_load_dword s40, s[4:5], 0x0
	s_load_dwordx4 s[8:11], s[4:5], 0x30
	s_load_dwordx2 s[2:3], s[4:5], 0x40
	s_load_dword s33, s[4:5], 0x48
	s_mul_i32 s0, s17, s7
	s_mul_hi_u32 s1, s16, s7
	s_add_i32 s1, s1, s0
	s_mul_i32 s0, s16, s7
	s_lshl_b64 s[0:1], s[0:1], 4
	s_waitcnt lgkmcnt(0)
	s_add_u32 s10, s10, s0
	s_addc_u32 s11, s11, s1
	s_lshl_b64 s[0:1], s[2:3], 4
	s_add_u32 s0, s10, s0
	s_addc_u32 s1, s11, s1
	s_lshl_b32 s24, s6, 6
	v_add_u32_e32 v143, s24, v0
	v_mul_lo_u32 v3, s33, v143
	s_ashr_i32 s42, s40, 31
	s_lshr_b32 s3, s42, 26
	s_add_i32 s3, s40, s3
	v_ashrrev_i32_e32 v4, 31, v3
	s_andn2_b32 s3, s3, 63
	v_lshlrev_b64 v[3:4], 4, v[3:4]
	s_add_i32 s2, s41, -1
	s_sub_i32 s3, s40, s3
	s_cmp_eq_u32 s6, s2
	v_mov_b32_e32 v1, s1
	v_add_co_u32_e32 v39, vcc, s0, v3
	s_cselect_b32 s20, s3, 0
	v_addc_co_u32_e32 v40, vcc, v1, v4, vcc
	v_cmp_ne_u32_e64 s[0:1], 0, v2
	v_cmp_eq_u32_e64 s[2:3], 0, v2
	s_and_saveexec_b64 s[10:11], s[2:3]
	s_cbranch_execz .LBB127_10
; %bb.6:
	s_cmp_lg_u32 s20, 0
	s_cselect_b64 s[16:17], -1, 0
	v_cmp_le_i32_e32 vcc, s20, v0
	v_mov_b32_e32 v1, 0x4700
	s_and_b64 s[16:17], s[16:17], vcc
	v_lshl_add_u32 v1, v0, 4, v1
	s_and_saveexec_b64 s[18:19], s[16:17]
	s_xor_b64 s[16:17], exec, s[18:19]
; %bb.7:
	v_mov_b32_e32 v3, 0
	v_mov_b32_e32 v4, v3
	;; [unrolled: 1-line block ×4, first 2 shown]
	ds_write_b128 v1, v[3:6]
                                        ; implicit-def: $vgpr1
; %bb.8:
	s_andn2_saveexec_b64 s[16:17], s[16:17]
	s_cbranch_execz .LBB127_10
; %bb.9:
	global_load_dwordx4 v[3:6], v[39:40], off
	s_waitcnt vmcnt(0)
	ds_write2_b64 v1, v[3:4], v[5:6] offset1:1
.LBB127_10:
	s_or_b64 exec, exec, s[10:11]
	s_load_dword s26, s[4:5], 0x28
	v_lshl_add_u32 v45, v2, 6, v0
	s_mul_i32 s9, s9, s7
	s_mul_hi_u32 s10, s8, s7
	v_and_b32_e32 v1, 31, v0
	v_lshrrev_b32_e32 v11, 5, v45
	s_add_i32 s9, s10, s9
	s_mul_i32 s8, s8, s7
	s_lshl_b64 s[8:9], s[8:9], 4
	s_waitcnt lgkmcnt(0)
	v_mad_u64_u32 v[3:4], s[4:5], s26, v11, v[1:2]
	s_add_u32 s10, s12, s8
	s_addc_u32 s11, s13, s9
	s_lshl_b64 s[8:9], s[14:15], 4
	s_add_u32 s8, s10, s8
	s_addc_u32 s9, s11, s9
	s_ashr_i32 s25, s24, 31
	v_ashrrev_i32_e32 v4, 31, v3
	s_lshl_b64 s[4:5], s[24:25], 4
	v_lshlrev_b64 v[41:42], 4, v[3:4]
	s_add_u32 s4, s8, s4
	s_addc_u32 s5, s9, s5
	v_add_co_u32_e32 v4, vcc, s4, v41
	s_mul_i32 s4, s26, s24
	v_mov_b32_e32 v3, s5
	s_ashr_i32 s5, s4, 31
	v_addc_co_u32_e32 v3, vcc, v3, v42, vcc
	s_lshl_b64 s[28:29], s[4:5], 4
	v_mov_b32_e32 v5, s29
	v_add_co_u32_e32 v7, vcc, s28, v4
	s_cmp_lg_u32 s20, 0
	v_addc_co_u32_e32 v8, vcc, v3, v5, vcc
	s_cselect_b64 s[30:31], -1, 0
	s_cmp_eq_u32 s20, 0
	s_cselect_b64 s[16:17], -1, 0
	s_mov_b64 s[4:5], -1
	s_and_b64 vcc, exec, s[30:31]
	s_cbranch_vccnz .LBB127_12
; %bb.11:
	s_lshl_b32 s4, s26, 3
	s_ashr_i32 s5, s4, 31
	s_lshl_b64 s[4:5], s[4:5], 4
	v_mov_b32_e32 v10, s5
	v_add_co_u32_e32 v9, vcc, s4, v7
	s_ashr_i32 s27, s26, 31
	v_addc_co_u32_e32 v10, vcc, v8, v10, vcc
	s_lshl_b64 s[4:5], s[26:27], 7
	v_mov_b32_e32 v22, s5
	v_add_co_u32_e32 v20, vcc, s4, v9
	global_load_dwordx4 v[3:6], v[7:8], off
	v_addc_co_u32_e32 v21, vcc, v10, v22, vcc
	global_load_dwordx4 v[12:15], v[9:10], off
	global_load_dwordx4 v[16:19], v[20:21], off
	v_add_co_u32_e32 v9, vcc, s4, v20
	v_addc_co_u32_e32 v10, vcc, v21, v22, vcc
	global_load_dwordx4 v[20:23], v[9:10], off
	v_mul_u32_u24_e32 v9, 0x210, v11
	v_lshl_add_u32 v9, v1, 4, v9
	s_mov_b64 s[4:5], 0
	v_add_u32_e32 v10, 0x1080, v9
	v_add_u32_e32 v24, 0x2100, v9
	;; [unrolled: 1-line block ×3, first 2 shown]
	s_waitcnt vmcnt(3)
	ds_write2_b64 v9, v[3:4], v[5:6] offset1:1
	s_waitcnt vmcnt(2)
	ds_write2_b64 v10, v[12:13], v[14:15] offset1:1
	;; [unrolled: 2-line block ×4, first 2 shown]
.LBB127_12:
	s_andn2_b64 vcc, exec, s[4:5]
	v_lshlrev_b32_e32 v12, 4, v1
	s_cbranch_vccnz .LBB127_30
; %bb.13:
	v_sub_co_u32_e32 v3, vcc, v7, v12
	s_ashr_i32 s21, s20, 31
	v_subbrev_co_u32_e32 v4, vcc, 0, v8, vcc
	s_lshl_b64 s[8:9], s[20:21], 4
	v_mov_b32_e32 v5, s9
	v_add_co_u32_e32 v3, vcc, s8, v3
	v_addc_co_u32_e32 v4, vcc, v4, v5, vcc
	v_add_co_u32_e32 v3, vcc, -16, v3
	v_addc_co_u32_e32 v4, vcc, -1, v4, vcc
	v_cmp_gt_i32_e32 vcc, s20, v1
	s_movk_i32 s10, 0x210
	v_cndmask_b32_e32 v4, v4, v8, vcc
	v_cndmask_b32_e32 v3, v3, v7, vcc
	v_cmp_le_i32_e64 s[4:5], s20, v11
	v_mad_u32_u24 v5, v11, s10, v12
	s_and_saveexec_b64 s[10:11], s[4:5]
	s_xor_b64 s[4:5], exec, s[10:11]
; %bb.14:
	v_mov_b32_e32 v13, 0
	v_mov_b32_e32 v14, v13
	;; [unrolled: 1-line block ×4, first 2 shown]
	ds_write_b128 v5, v[13:16]
                                        ; implicit-def: $vgpr5
; %bb.15:
	s_andn2_saveexec_b64 s[4:5], s[4:5]
	s_cbranch_execz .LBB127_17
; %bb.16:
	global_load_dwordx4 v[13:16], v[3:4], off
	s_waitcnt vmcnt(0)
	ds_write2_b64 v5, v[13:14], v[15:16] offset1:1
.LBB127_17:
	s_or_b64 exec, exec, s[4:5]
	v_add_u32_e32 v6, 8, v11
	v_mul_u32_u24_e32 v5, 0x210, v11
	v_cmp_le_i32_e64 s[4:5], s20, v6
	s_and_saveexec_b64 s[10:11], s[4:5]
	s_xor_b64 s[4:5], exec, s[10:11]
	s_cbranch_execz .LBB127_19
; %bb.18:
	v_mov_b32_e32 v13, 0
	v_add_u32_e32 v6, v5, v12
	v_mov_b32_e32 v14, v13
	v_mov_b32_e32 v15, v13
	;; [unrolled: 1-line block ×3, first 2 shown]
	ds_write_b128 v6, v[13:16] offset:4224
.LBB127_19:
	s_andn2_saveexec_b64 s[10:11], s[4:5]
	s_cbranch_execz .LBB127_21
; %bb.20:
	s_lshl_b32 s4, s26, 3
	s_ashr_i32 s5, s4, 31
	s_lshl_b64 s[4:5], s[4:5], 4
	v_mov_b32_e32 v6, s5
	v_add_co_u32_e64 v9, s[4:5], s4, v3
	v_addc_co_u32_e64 v10, s[4:5], v4, v6, s[4:5]
	global_load_dwordx4 v[13:16], v[9:10], off
	s_movk_i32 s4, 0x1080
	v_add3_u32 v6, v5, v12, s4
	s_waitcnt vmcnt(0)
	ds_write2_b64 v6, v[13:14], v[15:16] offset1:1
.LBB127_21:
	s_or_b64 exec, exec, s[10:11]
	v_add_u32_e32 v6, 16, v11
	v_cmp_le_i32_e64 s[4:5], s20, v6
	s_and_saveexec_b64 s[10:11], s[4:5]
	s_xor_b64 s[4:5], exec, s[10:11]
	s_cbranch_execz .LBB127_23
; %bb.22:
	v_mov_b32_e32 v13, 0
	v_add_u32_e32 v6, v5, v12
	v_mov_b32_e32 v14, v13
	v_mov_b32_e32 v15, v13
	;; [unrolled: 1-line block ×3, first 2 shown]
	ds_write_b128 v6, v[13:16] offset:8448
.LBB127_23:
	s_andn2_saveexec_b64 s[10:11], s[4:5]
	s_cbranch_execz .LBB127_25
; %bb.24:
	s_lshl_b32 s4, s26, 4
	s_ashr_i32 s5, s4, 31
	s_lshl_b64 s[4:5], s[4:5], 4
	v_mov_b32_e32 v6, s5
	v_add_co_u32_e64 v9, s[4:5], s4, v3
	v_addc_co_u32_e64 v10, s[4:5], v4, v6, s[4:5]
	global_load_dwordx4 v[13:16], v[9:10], off
	s_movk_i32 s4, 0x2100
	v_add3_u32 v6, v5, v12, s4
	s_waitcnt vmcnt(0)
	ds_write2_b64 v6, v[13:14], v[15:16] offset1:1
.LBB127_25:
	s_or_b64 exec, exec, s[10:11]
	v_add_u32_e32 v6, 24, v11
	v_cmp_le_i32_e64 s[4:5], s20, v6
	s_and_saveexec_b64 s[10:11], s[4:5]
	s_xor_b64 s[4:5], exec, s[10:11]
	s_cbranch_execz .LBB127_27
; %bb.26:
	v_mov_b32_e32 v13, 0
	v_add_u32_e32 v5, v5, v12
	v_mov_b32_e32 v14, v13
	v_mov_b32_e32 v15, v13
	;; [unrolled: 1-line block ×3, first 2 shown]
	ds_write_b128 v5, v[13:16] offset:12672
                                        ; implicit-def: $vgpr5
.LBB127_27:
	s_andn2_saveexec_b64 s[10:11], s[4:5]
	s_cbranch_execz .LBB127_29
; %bb.28:
	s_mul_i32 s4, s26, 24
	s_ashr_i32 s5, s4, 31
	s_lshl_b64 s[4:5], s[4:5], 4
	v_mov_b32_e32 v6, s5
	v_add_co_u32_e64 v9, s[4:5], s4, v3
	v_addc_co_u32_e64 v10, s[4:5], v4, v6, s[4:5]
	global_load_dwordx4 v[13:16], v[9:10], off
	s_movk_i32 s4, 0x3180
	v_add3_u32 v5, v5, v12, s4
	s_waitcnt vmcnt(0)
	ds_write2_b64 v5, v[13:14], v[15:16] offset1:1
.LBB127_29:
	s_or_b64 exec, exec, s[10:11]
	v_add_co_u32_e64 v3, s[4:5], v3, v12
	v_addc_co_u32_e64 v4, s[4:5], 0, v4, s[4:5]
	v_mov_b32_e32 v5, s9
	v_subrev_co_u32_e64 v3, s[4:5], s8, v3
	v_subb_co_u32_e64 v4, s[4:5], v4, v5, s[4:5]
	v_add_co_u32_e64 v3, s[4:5], 16, v3
	v_addc_co_u32_e64 v4, s[4:5], 0, v4, s[4:5]
	v_cndmask_b32_e32 v8, v4, v8, vcc
	v_cndmask_b32_e32 v7, v3, v7, vcc
.LBB127_30:
	v_lshlrev_b32_e32 v13, 2, v11
	v_lshl_or_b32 v5, v1, 9, v12
	v_cmp_lt_u32_e64 s[18:19], v13, v1
	s_waitcnt lgkmcnt(0)
	s_barrier
	s_and_saveexec_b64 s[4:5], s[18:19]
	s_cbranch_execz .LBB127_32
; %bb.31:
	s_movk_i32 s8, 0x840
	v_mad_u32_u24 v3, v11, s8, v12
	ds_read_b128 v[14:17], v3
	v_lshl_add_u32 v3, v13, 4, v5
	s_waitcnt lgkmcnt(0)
	ds_write_b128 v3, v[14:17]
.LBB127_32:
	s_or_b64 exec, exec, s[4:5]
	v_or_b32_e32 v3, 1, v13
	v_cmp_lt_u32_e64 s[8:9], v3, v1
	s_and_saveexec_b64 s[4:5], s[8:9]
	s_cbranch_execz .LBB127_34
; %bb.33:
	s_movk_i32 s10, 0x210
	v_mad_u32_u24 v4, v3, s10, v12
	ds_read_b128 v[14:17], v4
	v_lshl_add_u32 v4, v13, 4, v5
	s_waitcnt lgkmcnt(0)
	ds_write_b128 v4, v[14:17] offset:16
.LBB127_34:
	s_or_b64 exec, exec, s[4:5]
	v_or_b32_e32 v4, 2, v13
	v_cmp_lt_u32_e64 s[10:11], v4, v1
	s_and_saveexec_b64 s[4:5], s[10:11]
	s_cbranch_execz .LBB127_36
; %bb.35:
	s_movk_i32 s12, 0x210
	v_mad_u32_u24 v4, v4, s12, v12
	ds_read_b128 v[14:17], v4
	v_lshl_add_u32 v4, v13, 4, v5
	s_waitcnt lgkmcnt(0)
	ds_write_b128 v4, v[14:17] offset:32
.LBB127_36:
	s_or_b64 exec, exec, s[4:5]
	v_or_b32_e32 v6, 3, v13
	v_cmp_lt_u32_e64 s[12:13], v6, v1
	v_cmp_ge_u32_e32 vcc, v6, v1
                                        ; implicit-def: $vgpr4
	s_and_saveexec_b64 s[4:5], vcc
	s_xor_b64 s[4:5], exec, s[4:5]
; %bb.37:
	v_mul_u32_u24_e32 v4, 0x210, v6
                                        ; implicit-def: $vgpr5
                                        ; implicit-def: $vgpr6
; %bb.38:
	s_andn2_saveexec_b64 s[4:5], s[4:5]
	s_cbranch_execz .LBB127_40
; %bb.39:
	s_movk_i32 s14, 0x210
	v_mad_u32_u24 v4, v6, s14, v12
	ds_read_b128 v[14:17], v4
	v_lshl_add_u32 v5, v13, 4, v5
	v_mul_u32_u24_e32 v4, 0x210, v6
	s_waitcnt lgkmcnt(0)
	ds_write_b128 v5, v[14:17] offset:48
.LBB127_40:
	s_or_b64 exec, exec, s[4:5]
	s_movk_i32 s4, 0x840
	v_mad_u32_u24 v14, v11, s4, v12
	s_waitcnt lgkmcnt(0)
	s_barrier
	v_lshlrev_b32_e32 v15, 4, v13
	ds_read_b128 v[18:21], v14
	ds_read_b128 v[22:25], v15 offset:18176
	ds_read_b128 v[26:29], v15 offset:18192
	s_movk_i32 s4, 0x210
	v_mad_u32_u24 v17, v3, s4, v12
	ds_read_b128 v[30:33], v17
	s_waitcnt lgkmcnt(2)
	v_mul_f64 v[5:6], v[24:25], v[20:21]
	v_mul_f64 v[9:10], v[22:23], v[20:21]
	v_add_u32_e32 v16, v12, v4
	v_cmp_gt_u32_e64 s[4:5], 32, v45
	v_fma_f64 v[36:37], v[22:23], v[18:19], -v[5:6]
	ds_read_b128 v[3:6], v15 offset:18208
	s_waitcnt lgkmcnt(1)
	v_mul_f64 v[43:44], v[28:29], v[32:33]
	v_mul_f64 v[50:51], v[26:27], v[32:33]
	v_fma_f64 v[9:10], v[24:25], v[18:19], v[9:10]
	ds_read_b128 v[20:23], v17 offset:528
	ds_read_b128 v[32:35], v15 offset:18224
	ds_read_b128 v[46:49], v16
	s_waitcnt lgkmcnt(0)
	v_add_f64 v[18:19], v[36:37], 0
	s_barrier
	v_mul_f64 v[24:25], v[5:6], v[22:23]
	v_fma_f64 v[26:27], v[26:27], v[30:31], -v[43:44]
	v_fma_f64 v[28:29], v[28:29], v[30:31], v[50:51]
	v_mul_f64 v[22:23], v[3:4], v[22:23]
	v_add_f64 v[9:10], v[9:10], 0
	v_mul_f64 v[30:31], v[34:35], v[48:49]
	v_fma_f64 v[3:4], v[3:4], v[20:21], -v[24:25]
	v_add_f64 v[18:19], v[18:19], v[26:27]
	v_mul_f64 v[24:25], v[32:33], v[48:49]
	v_fma_f64 v[5:6], v[5:6], v[20:21], v[22:23]
	v_add_f64 v[9:10], v[9:10], v[28:29]
	v_fma_f64 v[20:21], v[32:33], v[46:47], -v[30:31]
	v_add_f64 v[18:19], v[18:19], v[3:4]
	v_fma_f64 v[22:23], v[34:35], v[46:47], v[24:25]
	v_mov_b32_e32 v3, 0
	v_add_f64 v[5:6], v[9:10], v[5:6]
	v_mul_u32_u24_e32 v9, 33, v1
	v_lshlrev_b32_e32 v46, 4, v9
	v_mov_b32_e32 v4, 0
	v_lshl_add_u32 v47, v11, 4, v46
	v_add_f64 v[18:19], v[18:19], v[20:21]
	v_add_f64 v[20:21], v[5:6], v[22:23]
	v_mov_b32_e32 v5, 0
	v_mov_b32_e32 v6, 0
	ds_write_b128 v47, v[18:21]
	s_waitcnt lgkmcnt(0)
	s_barrier
	s_and_saveexec_b64 s[14:15], s[4:5]
	s_cbranch_execz .LBB127_42
; %bb.41:
	ds_read_b128 v[3:6], v46
	ds_read_b128 v[18:21], v46 offset:16
	s_waitcnt lgkmcnt(0)
	v_add_f64 v[9:10], v[18:19], v[3:4]
	v_add_f64 v[22:23], v[20:21], v[5:6]
	ds_read_b128 v[3:6], v46 offset:32
	ds_read_b128 v[18:21], v46 offset:48
	s_waitcnt lgkmcnt(1)
	v_add_f64 v[3:4], v[9:10], v[3:4]
	v_add_f64 v[5:6], v[22:23], v[5:6]
	s_waitcnt lgkmcnt(0)
	v_add_f64 v[9:10], v[3:4], v[18:19]
	v_add_f64 v[22:23], v[5:6], v[20:21]
	ds_read_b128 v[3:6], v46 offset:64
	ds_read_b128 v[18:21], v46 offset:80
	s_waitcnt lgkmcnt(1)
	v_add_f64 v[3:4], v[9:10], v[3:4]
	v_add_f64 v[5:6], v[22:23], v[5:6]
	;; [unrolled: 8-line block ×3, first 2 shown]
	s_waitcnt lgkmcnt(0)
	v_add_f64 v[3:4], v[3:4], v[18:19]
	v_add_f64 v[5:6], v[5:6], v[20:21]
.LBB127_42:
	s_or_b64 exec, exec, s[14:15]
	s_lshl_b32 s14, s26, 5
	s_ashr_i32 s15, s14, 31
	s_lshl_b64 s[34:35], s[14:15], 4
	v_mov_b32_e32 v10, s35
	v_add_co_u32_e32 v9, vcc, s34, v7
	v_addc_co_u32_e32 v10, vcc, v8, v10, vcc
	v_add_co_u32_e32 v7, vcc, 0x200, v9
	v_addc_co_u32_e32 v8, vcc, 0, v10, vcc
	v_cndmask_b32_e64 v18, 0, 1, s[16:17]
	v_cmp_ne_u32_e64 s[14:15], 1, v18
	s_andn2_b64 vcc, exec, s[16:17]
	s_mov_b64 s[16:17], -1
	s_barrier
	s_cbranch_vccnz .LBB127_44
; %bb.43:
	s_lshl_b32 s16, s26, 3
	s_ashr_i32 s17, s16, 31
	s_lshl_b64 s[16:17], s[16:17], 4
	v_mov_b32_e32 v22, s17
	v_add_co_u32_e32 v30, vcc, s16, v9
	s_ashr_i32 s27, s26, 31
	v_addc_co_u32_e32 v31, vcc, v10, v22, vcc
	s_lshl_b64 s[16:17], s[26:27], 7
	v_mov_b32_e32 v34, s17
	v_add_co_u32_e32 v32, vcc, s16, v30
	global_load_dwordx4 v[18:21], v[7:8], off
	v_addc_co_u32_e32 v33, vcc, v31, v34, vcc
	global_load_dwordx4 v[22:25], v[30:31], off offset:512
	global_load_dwordx4 v[26:29], v[32:33], off offset:512
	v_add_co_u32_e32 v30, vcc, s16, v32
	v_addc_co_u32_e32 v31, vcc, v33, v34, vcc
	global_load_dwordx4 v[30:33], v[30:31], off offset:512
	s_movk_i32 s16, 0x210
	v_mad_u32_u24 v34, v11, s16, v12
	s_mov_b64 s[16:17], 0
	v_add_u32_e32 v35, 0x1080, v34
	v_add_u32_e32 v36, 0x2100, v34
	;; [unrolled: 1-line block ×3, first 2 shown]
	s_waitcnt vmcnt(3)
	ds_write2_b64 v34, v[18:19], v[20:21] offset1:1
	s_waitcnt vmcnt(2)
	ds_write2_b64 v35, v[22:23], v[24:25] offset1:1
	s_waitcnt vmcnt(1)
	ds_write2_b64 v36, v[26:27], v[28:29] offset1:1
	s_waitcnt vmcnt(0)
	ds_write2_b64 v37, v[30:31], v[32:33] offset1:1
.LBB127_44:
	s_andn2_b64 vcc, exec, s[16:17]
	s_cbranch_vccnz .LBB127_62
; %bb.45:
	v_sub_co_u32_e32 v9, vcc, v9, v12
	s_ashr_i32 s21, s20, 31
	v_subbrev_co_u32_e32 v10, vcc, 0, v10, vcc
	s_lshl_b64 s[36:37], s[20:21], 4
	v_mov_b32_e32 v19, s37
	v_add_co_u32_e32 v9, vcc, s36, v9
	v_addc_co_u32_e32 v10, vcc, v10, v19, vcc
	v_or_b32_e32 v18, 32, v1
	v_add_co_u32_e32 v9, vcc, -16, v9
	v_addc_co_u32_e32 v10, vcc, -1, v10, vcc
	v_cmp_gt_i32_e64 s[16:17], s20, v18
	s_sub_i32 s21, s20, 32
	s_movk_i32 s25, 0x210
	v_cndmask_b32_e64 v10, v10, v8, s[16:17]
	v_cndmask_b32_e64 v9, v9, v7, s[16:17]
	v_cmp_le_i32_e32 vcc, s21, v11
	v_mad_u32_u24 v18, v11, s25, v12
	s_and_saveexec_b64 s[38:39], vcc
	s_xor_b64 s[38:39], exec, s[38:39]
; %bb.46:
	v_mov_b32_e32 v19, 0
	v_mov_b32_e32 v20, v19
	;; [unrolled: 1-line block ×4, first 2 shown]
	ds_write_b128 v18, v[19:22]
                                        ; implicit-def: $vgpr18
; %bb.47:
	s_andn2_saveexec_b64 s[38:39], s[38:39]
	s_cbranch_execz .LBB127_49
; %bb.48:
	global_load_dwordx4 v[19:22], v[9:10], off
	s_waitcnt vmcnt(0)
	ds_write2_b64 v18, v[19:20], v[21:22] offset1:1
.LBB127_49:
	s_or_b64 exec, exec, s[38:39]
	v_add_u32_e32 v19, 8, v11
	v_mul_u32_u24_e32 v18, 0x210, v11
	v_cmp_le_i32_e32 vcc, s21, v19
	s_and_saveexec_b64 s[38:39], vcc
	s_xor_b64 s[38:39], exec, s[38:39]
	s_cbranch_execz .LBB127_51
; %bb.50:
	v_mov_b32_e32 v19, 0
	v_add_u32_e32 v23, v18, v12
	v_mov_b32_e32 v20, v19
	v_mov_b32_e32 v21, v19
	;; [unrolled: 1-line block ×3, first 2 shown]
	ds_write_b128 v23, v[19:22] offset:4224
.LBB127_51:
	s_andn2_saveexec_b64 s[38:39], s[38:39]
	s_cbranch_execz .LBB127_53
; %bb.52:
	s_lshl_b32 s44, s26, 3
	s_ashr_i32 s45, s44, 31
	s_lshl_b64 s[44:45], s[44:45], 4
	v_mov_b32_e32 v20, s45
	v_add_co_u32_e32 v19, vcc, s44, v9
	v_addc_co_u32_e32 v20, vcc, v10, v20, vcc
	global_load_dwordx4 v[19:22], v[19:20], off
	s_movk_i32 s25, 0x1080
	v_add3_u32 v23, v18, v12, s25
	s_waitcnt vmcnt(0)
	ds_write2_b64 v23, v[19:20], v[21:22] offset1:1
.LBB127_53:
	s_or_b64 exec, exec, s[38:39]
	v_add_u32_e32 v19, 16, v11
	v_cmp_le_i32_e32 vcc, s21, v19
	s_and_saveexec_b64 s[38:39], vcc
	s_xor_b64 s[38:39], exec, s[38:39]
	s_cbranch_execz .LBB127_55
; %bb.54:
	v_mov_b32_e32 v19, 0
	v_add_u32_e32 v23, v18, v12
	v_mov_b32_e32 v20, v19
	v_mov_b32_e32 v21, v19
	;; [unrolled: 1-line block ×3, first 2 shown]
	ds_write_b128 v23, v[19:22] offset:8448
.LBB127_55:
	s_andn2_saveexec_b64 s[38:39], s[38:39]
	s_cbranch_execz .LBB127_57
; %bb.56:
	s_lshl_b32 s44, s26, 4
	s_ashr_i32 s45, s44, 31
	s_lshl_b64 s[44:45], s[44:45], 4
	v_mov_b32_e32 v20, s45
	v_add_co_u32_e32 v19, vcc, s44, v9
	v_addc_co_u32_e32 v20, vcc, v10, v20, vcc
	global_load_dwordx4 v[19:22], v[19:20], off
	s_movk_i32 s25, 0x2100
	v_add3_u32 v23, v18, v12, s25
	s_waitcnt vmcnt(0)
	ds_write2_b64 v23, v[19:20], v[21:22] offset1:1
.LBB127_57:
	s_or_b64 exec, exec, s[38:39]
	v_add_u32_e32 v19, 24, v11
	v_cmp_le_i32_e32 vcc, s21, v19
	s_and_saveexec_b64 s[38:39], vcc
	s_xor_b64 s[38:39], exec, s[38:39]
	s_cbranch_execz .LBB127_59
; %bb.58:
	v_add_u32_e32 v22, v18, v12
	v_mov_b32_e32 v18, 0
	v_mov_b32_e32 v19, v18
	;; [unrolled: 1-line block ×4, first 2 shown]
	ds_write_b128 v22, v[18:21] offset:12672
                                        ; implicit-def: $vgpr18
.LBB127_59:
	s_andn2_saveexec_b64 s[38:39], s[38:39]
	s_cbranch_execz .LBB127_61
; %bb.60:
	s_mul_i32 s44, s26, 24
	s_ashr_i32 s45, s44, 31
	s_lshl_b64 s[44:45], s[44:45], 4
	v_mov_b32_e32 v20, s45
	v_add_co_u32_e32 v19, vcc, s44, v9
	v_addc_co_u32_e32 v20, vcc, v10, v20, vcc
	global_load_dwordx4 v[19:22], v[19:20], off
	s_movk_i32 s21, 0x3180
	v_add3_u32 v18, v18, v12, s21
	s_waitcnt vmcnt(0)
	ds_write2_b64 v18, v[19:20], v[21:22] offset1:1
.LBB127_61:
	s_or_b64 exec, exec, s[38:39]
	v_add_co_u32_e32 v9, vcc, v9, v12
	v_addc_co_u32_e32 v10, vcc, 0, v10, vcc
	v_mov_b32_e32 v18, s37
	v_subrev_co_u32_e32 v9, vcc, s36, v9
	v_subb_co_u32_e32 v10, vcc, v10, v18, vcc
	v_add_co_u32_e32 v9, vcc, 0x210, v9
	v_addc_co_u32_e32 v10, vcc, 0, v10, vcc
	v_cndmask_b32_e64 v8, v10, v8, s[16:17]
	v_cndmask_b32_e64 v7, v9, v7, s[16:17]
.LBB127_62:
	v_add_u32_e32 v15, 0x4700, v15
	v_add_u32_e32 v9, 0x210, v17
	s_waitcnt lgkmcnt(0)
	s_barrier
	s_and_saveexec_b64 s[16:17], s[18:19]
	s_cbranch_execnz .LBB127_71
; %bb.63:
	s_or_b64 exec, exec, s[16:17]
	s_and_saveexec_b64 s[16:17], s[8:9]
	s_cbranch_execnz .LBB127_72
.LBB127_64:
	s_or_b64 exec, exec, s[16:17]
	s_and_saveexec_b64 s[8:9], s[10:11]
	s_cbranch_execnz .LBB127_73
.LBB127_65:
	s_or_b64 exec, exec, s[8:9]
	s_and_saveexec_b64 s[8:9], s[12:13]
	s_cbranch_execz .LBB127_67
.LBB127_66:
	ds_read_b128 v[18:21], v16
	v_lshl_add_u32 v10, v13, 4, v46
	s_waitcnt lgkmcnt(0)
	ds_write_b128 v10, v[18:21] offset:48
.LBB127_67:
	s_or_b64 exec, exec, s[8:9]
	s_waitcnt lgkmcnt(0)
	s_barrier
	ds_read_b128 v[18:21], v15 offset:512
	ds_read_b128 v[22:25], v14
	v_cmp_eq_u32_e64 s[10:11], 1, v11
	s_waitcnt lgkmcnt(0)
	v_mul_f64 v[36:37], v[20:21], v[24:25]
	v_mul_f64 v[43:44], v[18:19], v[24:25]
	ds_read_b128 v[24:27], v17
	ds_read_b128 v[28:31], v15 offset:528
	ds_read_b128 v[32:35], v15 offset:544
	ds_read_b128 v[48:51], v9
	s_waitcnt lgkmcnt(2)
	v_mul_f64 v[9:10], v[30:31], v[26:27]
	v_mul_f64 v[26:27], v[28:29], v[26:27]
	v_fma_f64 v[36:37], v[18:19], v[22:23], -v[36:37]
	v_fma_f64 v[21:22], v[20:21], v[22:23], v[43:44]
	s_waitcnt lgkmcnt(0)
	v_mul_f64 v[43:44], v[34:35], v[50:51]
	v_mul_f64 v[50:51], v[32:33], v[50:51]
	ds_read_b128 v[17:20], v15 offset:560
	ds_read_b128 v[52:55], v16
	v_fma_f64 v[9:10], v[28:29], v[24:25], -v[9:10]
	v_fma_f64 v[23:24], v[30:31], v[24:25], v[26:27]
	s_waitcnt lgkmcnt(0)
	v_add_f64 v[25:26], v[36:37], 0
	v_add_f64 v[21:22], v[21:22], 0
	v_mul_f64 v[27:28], v[19:20], v[54:55]
	v_mul_f64 v[29:30], v[17:18], v[54:55]
	v_fma_f64 v[31:32], v[32:33], v[48:49], -v[43:44]
	v_fma_f64 v[33:34], v[34:35], v[48:49], v[50:51]
	s_barrier
	v_add_f64 v[9:10], v[25:26], v[9:10]
	v_add_f64 v[21:22], v[21:22], v[23:24]
	v_fma_f64 v[16:17], v[17:18], v[52:53], -v[27:28]
	v_fma_f64 v[18:19], v[19:20], v[52:53], v[29:30]
	v_add_f64 v[9:10], v[9:10], v[31:32]
	v_add_f64 v[20:21], v[21:22], v[33:34]
	v_add_f64 v[16:17], v[9:10], v[16:17]
	v_add_f64 v[18:19], v[20:21], v[18:19]
	ds_write_b128 v47, v[16:19]
	s_waitcnt lgkmcnt(0)
	s_barrier
	s_and_saveexec_b64 s[8:9], s[10:11]
	s_cbranch_execz .LBB127_69
; %bb.68:
	ds_read_b128 v[3:6], v46
	ds_read_b128 v[16:19], v46 offset:16
	s_waitcnt lgkmcnt(0)
	v_add_f64 v[9:10], v[16:17], v[3:4]
	v_add_f64 v[20:21], v[18:19], v[5:6]
	ds_read_b128 v[3:6], v46 offset:32
	ds_read_b128 v[16:19], v46 offset:48
	s_waitcnt lgkmcnt(1)
	v_add_f64 v[3:4], v[9:10], v[3:4]
	v_add_f64 v[5:6], v[20:21], v[5:6]
	s_waitcnt lgkmcnt(0)
	v_add_f64 v[9:10], v[3:4], v[16:17]
	v_add_f64 v[20:21], v[5:6], v[18:19]
	ds_read_b128 v[3:6], v46 offset:64
	ds_read_b128 v[16:19], v46 offset:80
	s_waitcnt lgkmcnt(1)
	v_add_f64 v[3:4], v[9:10], v[3:4]
	v_add_f64 v[5:6], v[20:21], v[5:6]
	;; [unrolled: 8-line block ×3, first 2 shown]
	s_waitcnt lgkmcnt(0)
	v_add_f64 v[3:4], v[3:4], v[16:17]
	v_add_f64 v[5:6], v[5:6], v[18:19]
.LBB127_69:
	s_or_b64 exec, exec, s[8:9]
	v_mov_b32_e32 v9, s35
	v_subrev_co_u32_e64 v43, s[8:9], s34, v7
	s_and_b64 vcc, exec, s[14:15]
	v_subb_co_u32_e64 v44, s[8:9], v8, v9, s[8:9]
	s_barrier
	s_cbranch_vccnz .LBB127_74
; %bb.70:
	s_lshl_b32 s8, s26, 3
	s_ashr_i32 s9, s8, 31
	s_lshl_b64 s[8:9], s[8:9], 4
	v_mov_b32_e32 v8, s9
	v_add_co_u32_e32 v7, vcc, s8, v43
	s_ashr_i32 s27, s26, 31
	v_addc_co_u32_e32 v8, vcc, v44, v8, vcc
	s_lshl_b64 s[8:9], s[26:27], 7
	v_mov_b32_e32 v14, s9
	v_add_co_u32_e32 v9, vcc, s8, v7
	global_load_dwordx4 v[18:21], v[43:44], off
	v_addc_co_u32_e32 v10, vcc, v8, v14, vcc
	global_load_dwordx4 v[22:25], v[7:8], off
	global_load_dwordx4 v[26:29], v[9:10], off
	v_add_co_u32_e32 v7, vcc, s8, v9
	v_addc_co_u32_e32 v8, vcc, v10, v14, vcc
	global_load_dwordx4 v[30:33], v[7:8], off
	s_movk_i32 s8, 0x210
	v_mov_b32_e32 v7, 0x1080
	v_mov_b32_e32 v17, 0x2100
	;; [unrolled: 1-line block ×3, first 2 shown]
	v_mul_u32_u24_e32 v14, 0x210, v11
	v_add_u32_e32 v10, 8, v11
	v_add_u32_e32 v9, 16, v11
	;; [unrolled: 1-line block ×3, first 2 shown]
	v_mad_u32_u24 v35, v11, s8, v12
	v_mad_u32_u24 v8, v11, s8, v7
	;; [unrolled: 1-line block ×4, first 2 shown]
	v_add_u32_e32 v34, v12, v8
	v_add_u32_e32 v36, v12, v7
	;; [unrolled: 1-line block ×3, first 2 shown]
	s_waitcnt vmcnt(3)
	ds_write2_b64 v35, v[18:19], v[20:21] offset1:1
	s_waitcnt vmcnt(2)
	ds_write2_b64 v34, v[22:23], v[24:25] offset1:1
	;; [unrolled: 2-line block ×4, first 2 shown]
	s_cbranch_execz .LBB127_75
	s_branch .LBB127_92
.LBB127_71:
	ds_read_b128 v[18:21], v14
	v_lshl_add_u32 v10, v13, 4, v46
	s_waitcnt lgkmcnt(0)
	ds_write_b128 v10, v[18:21]
	s_or_b64 exec, exec, s[16:17]
	s_and_saveexec_b64 s[16:17], s[8:9]
	s_cbranch_execz .LBB127_64
.LBB127_72:
	ds_read_b128 v[18:21], v17
	v_lshl_add_u32 v10, v13, 4, v46
	s_waitcnt lgkmcnt(0)
	ds_write_b128 v10, v[18:21] offset:16
	s_or_b64 exec, exec, s[16:17]
	s_and_saveexec_b64 s[8:9], s[10:11]
	s_cbranch_execz .LBB127_65
.LBB127_73:
	ds_read_b128 v[18:21], v9
	v_lshl_add_u32 v10, v13, 4, v46
	s_waitcnt lgkmcnt(0)
	ds_write_b128 v10, v[18:21] offset:32
	s_or_b64 exec, exec, s[8:9]
	s_and_saveexec_b64 s[8:9], s[12:13]
	s_cbranch_execnz .LBB127_66
	s_branch .LBB127_67
.LBB127_74:
                                        ; implicit-def: $vgpr14
                                        ; implicit-def: $vgpr10
                                        ; implicit-def: $vgpr8
                                        ; implicit-def: $vgpr9
                                        ; implicit-def: $vgpr7
                                        ; implicit-def: $vgpr16
                                        ; implicit-def: $vgpr17
.LBB127_75:
	v_sub_co_u32_e32 v7, vcc, v43, v12
	s_ashr_i32 s21, s20, 31
	v_subbrev_co_u32_e32 v8, vcc, 0, v44, vcc
	s_lshl_b64 s[12:13], s[20:21], 4
	v_mov_b32_e32 v9, s13
	v_add_co_u32_e32 v7, vcc, s12, v7
	v_addc_co_u32_e32 v8, vcc, v8, v9, vcc
	v_or_b32_e32 v1, 32, v1
	v_add_co_u32_e32 v7, vcc, 0xfffffdf0, v7
	v_addc_co_u32_e32 v8, vcc, -1, v8, vcc
	v_cmp_gt_i32_e64 s[8:9], s20, v1
	s_movk_i32 s14, 0x210
	v_cndmask_b32_e64 v8, v8, v44, s[8:9]
	v_cndmask_b32_e64 v7, v7, v43, s[8:9]
	v_cmp_le_i32_e32 vcc, s20, v11
	v_mad_u32_u24 v1, v11, s14, v12
	s_and_saveexec_b64 s[14:15], vcc
	s_xor_b64 s[14:15], exec, s[14:15]
; %bb.76:
	v_mov_b32_e32 v16, 0
	v_mov_b32_e32 v17, v16
	;; [unrolled: 1-line block ×4, first 2 shown]
	ds_write_b128 v1, v[16:19]
                                        ; implicit-def: $vgpr1
; %bb.77:
	s_andn2_saveexec_b64 s[14:15], s[14:15]
	s_cbranch_execz .LBB127_79
; %bb.78:
	global_load_dwordx4 v[16:19], v[7:8], off
	s_waitcnt vmcnt(0)
	ds_write2_b64 v1, v[16:17], v[18:19] offset1:1
.LBB127_79:
	s_or_b64 exec, exec, s[14:15]
	v_add_u32_e32 v10, 8, v11
	v_mul_u32_u24_e32 v14, 0x210, v11
	v_cmp_le_i32_e32 vcc, s20, v10
	s_and_saveexec_b64 s[14:15], vcc
	s_xor_b64 s[14:15], exec, s[14:15]
	s_cbranch_execz .LBB127_81
; %bb.80:
	v_mov_b32_e32 v16, 0
	v_add_u32_e32 v1, v14, v12
	v_mov_b32_e32 v17, v16
	v_mov_b32_e32 v18, v16
	;; [unrolled: 1-line block ×3, first 2 shown]
	ds_write_b128 v1, v[16:19] offset:4224
.LBB127_81:
	s_andn2_saveexec_b64 s[14:15], s[14:15]
	s_cbranch_execz .LBB127_83
; %bb.82:
	s_lshl_b32 s16, s26, 3
	s_ashr_i32 s17, s16, 31
	s_lshl_b64 s[16:17], s[16:17], 4
	v_mov_b32_e32 v1, s17
	v_add_co_u32_e32 v16, vcc, s16, v7
	v_addc_co_u32_e32 v17, vcc, v8, v1, vcc
	global_load_dwordx4 v[16:19], v[16:17], off
	s_movk_i32 s16, 0x1080
	v_add3_u32 v1, v14, v12, s16
	s_waitcnt vmcnt(0)
	ds_write2_b64 v1, v[16:17], v[18:19] offset1:1
.LBB127_83:
	s_or_b64 exec, exec, s[14:15]
	v_add_u32_e32 v9, 16, v11
	v_cmp_le_i32_e32 vcc, s20, v9
	s_and_saveexec_b64 s[14:15], vcc
	s_xor_b64 s[14:15], exec, s[14:15]
	s_cbranch_execz .LBB127_85
; %bb.84:
	v_mov_b32_e32 v16, 0
	v_add_u32_e32 v1, v14, v12
	v_mov_b32_e32 v17, v16
	v_mov_b32_e32 v18, v16
	;; [unrolled: 1-line block ×3, first 2 shown]
	ds_write_b128 v1, v[16:19] offset:8448
.LBB127_85:
	s_andn2_saveexec_b64 s[14:15], s[14:15]
	s_cbranch_execz .LBB127_87
; %bb.86:
	s_lshl_b32 s16, s26, 4
	s_ashr_i32 s17, s16, 31
	s_lshl_b64 s[16:17], s[16:17], 4
	v_mov_b32_e32 v1, s17
	v_add_co_u32_e32 v16, vcc, s16, v7
	v_addc_co_u32_e32 v17, vcc, v8, v1, vcc
	global_load_dwordx4 v[16:19], v[16:17], off
	s_movk_i32 s16, 0x2100
	v_add3_u32 v1, v14, v12, s16
	s_waitcnt vmcnt(0)
	ds_write2_b64 v1, v[16:17], v[18:19] offset1:1
.LBB127_87:
	s_or_b64 exec, exec, s[14:15]
	v_add_u32_e32 v16, 24, v11
	v_cmp_le_i32_e32 vcc, s20, v16
                                        ; implicit-def: $vgpr17
	s_and_saveexec_b64 s[14:15], vcc
	s_xor_b64 s[14:15], exec, s[14:15]
	s_cbranch_execz .LBB127_89
; %bb.88:
	v_add_u32_e32 v17, 0x3180, v14
	v_mov_b32_e32 v18, 0
	v_add_u32_e32 v1, v12, v17
	v_mov_b32_e32 v19, v18
	v_mov_b32_e32 v20, v18
	;; [unrolled: 1-line block ×3, first 2 shown]
	ds_write_b128 v1, v[18:21]
.LBB127_89:
	s_andn2_saveexec_b64 s[14:15], s[14:15]
	s_cbranch_execz .LBB127_91
; %bb.90:
	s_mul_i32 s16, s26, 24
	s_ashr_i32 s17, s16, 31
	s_lshl_b64 s[16:17], s[16:17], 4
	v_mov_b32_e32 v1, s17
	v_add_co_u32_e32 v17, vcc, s16, v7
	v_addc_co_u32_e32 v18, vcc, v8, v1, vcc
	global_load_dwordx4 v[18:21], v[17:18], off
	v_add_u32_e32 v17, 0x3180, v14
	v_add_u32_e32 v1, v12, v17
	s_waitcnt vmcnt(0)
	ds_write2_b64 v1, v[18:19], v[20:21] offset1:1
.LBB127_91:
	s_or_b64 exec, exec, s[14:15]
	v_add_co_u32_e32 v1, vcc, v7, v12
	v_addc_co_u32_e32 v7, vcc, 0, v8, vcc
	v_mov_b32_e32 v8, s13
	v_subrev_co_u32_e32 v1, vcc, s12, v1
	v_subb_co_u32_e32 v7, vcc, v7, v8, vcc
	v_add_co_u32_e32 v1, vcc, 0x210, v1
	v_addc_co_u32_e32 v7, vcc, 0, v7, vcc
	v_cndmask_b32_e64 v44, v7, v44, s[8:9]
	v_cndmask_b32_e64 v43, v1, v43, s[8:9]
	v_add_u32_e32 v8, 0x1080, v14
	v_add_u32_e32 v7, 0x2100, v14
.LBB127_92:
	v_lshlrev_b32_e32 v11, 4, v11
	s_waitcnt lgkmcnt(0)
	s_barrier
	v_add_u32_e32 v1, v12, v14
	ds_read_b128 v[18:21], v11 offset:18176
	ds_read_b128 v[22:25], v1
	v_add_u32_e32 v1, v12, v8
	v_lshlrev_b32_e32 v8, 4, v10
	ds_read_b128 v[26:29], v8 offset:18176
	ds_read_b128 v[30:33], v1
	v_add_u32_e32 v1, v12, v7
	s_waitcnt lgkmcnt(2)
	v_mul_f64 v[34:35], v[20:21], v[24:25]
	v_mul_f64 v[24:25], v[18:19], v[24:25]
	v_lshlrev_b32_e32 v7, 4, v9
	s_waitcnt lgkmcnt(0)
	v_mul_f64 v[48:49], v[28:29], v[32:33]
	v_mul_f64 v[32:33], v[26:27], v[32:33]
	v_lshlrev_b32_e32 v11, 4, v16
	v_fma_f64 v[18:19], v[18:19], v[22:23], -v[34:35]
	v_fma_f64 v[24:25], v[20:21], v[22:23], v[24:25]
	ds_read_b128 v[7:10], v7 offset:18176
	ds_read_b128 v[34:37], v1
	v_fma_f64 v[26:27], v[26:27], v[30:31], -v[48:49]
	v_add_u32_e32 v1, v12, v17
	v_fma_f64 v[28:29], v[28:29], v[30:31], v[32:33]
	s_waitcnt lgkmcnt(0)
	v_mul_f64 v[50:51], v[9:10], v[36:37]
	v_add_f64 v[48:49], v[18:19], 0
	ds_read_b128 v[16:19], v11 offset:18176
	ds_read2_b64 v[20:23], v1 offset1:1
	v_mul_f64 v[11:12], v[7:8], v[36:37]
	v_add_f64 v[24:25], v[24:25], 0
	v_lshl_add_u32 v1, v13, 4, v46
	s_waitcnt lgkmcnt(0)
	v_mul_f64 v[30:31], v[18:19], v[22:23]
	v_fma_f64 v[7:8], v[7:8], v[34:35], -v[50:51]
	v_add_f64 v[26:27], v[48:49], v[26:27]
	v_fma_f64 v[9:10], v[9:10], v[34:35], v[11:12]
	v_mul_f64 v[11:12], v[16:17], v[22:23]
	v_add_f64 v[22:23], v[24:25], v[28:29]
	v_fma_f64 v[16:17], v[16:17], v[20:21], -v[30:31]
	v_add_f64 v[27:28], v[26:27], v[7:8]
	v_fma_f64 v[18:19], v[18:19], v[20:21], v[11:12]
	v_add_f64 v[20:21], v[22:23], v[9:10]
	ds_read_b128 v[31:34], v1
	ds_read_b128 v[23:26], v1 offset:16
	ds_read_b128 v[11:14], v1 offset:32
	;; [unrolled: 1-line block ×3, first 2 shown]
	v_add_f64 v[48:49], v[27:28], v[16:17]
	v_add_f64 v[50:51], v[20:21], v[18:19]
	ds_read_b128 v[35:38], v15 offset:512
	ds_read_b128 v[27:30], v15 offset:528
	;; [unrolled: 1-line block ×4, first 2 shown]
	s_waitcnt lgkmcnt(0)
	s_barrier
	ds_write_b128 v47, v[48:51]
	s_waitcnt lgkmcnt(0)
	s_barrier
	s_and_saveexec_b64 s[8:9], s[10:11]
	s_cbranch_execz .LBB127_94
; %bb.93:
	ds_read_b128 v[48:51], v46
	ds_read_b128 v[52:55], v46 offset:16
	s_waitcnt lgkmcnt(1)
	v_add_f64 v[3:4], v[3:4], v[48:49]
	v_add_f64 v[5:6], v[5:6], v[50:51]
	s_waitcnt lgkmcnt(0)
	v_add_f64 v[52:53], v[3:4], v[52:53]
	v_add_f64 v[54:55], v[5:6], v[54:55]
	ds_read_b128 v[3:6], v46 offset:32
	ds_read_b128 v[48:51], v46 offset:48
	s_waitcnt lgkmcnt(1)
	v_add_f64 v[3:4], v[52:53], v[3:4]
	v_add_f64 v[5:6], v[54:55], v[5:6]
	s_waitcnt lgkmcnt(0)
	v_add_f64 v[52:53], v[3:4], v[48:49]
	v_add_f64 v[54:55], v[5:6], v[50:51]
	ds_read_b128 v[3:6], v46 offset:64
	;; [unrolled: 8-line block ×3, first 2 shown]
	ds_read_b128 v[48:51], v46 offset:112
	s_waitcnt lgkmcnt(1)
	v_add_f64 v[3:4], v[52:53], v[3:4]
	v_add_f64 v[5:6], v[54:55], v[5:6]
	s_waitcnt lgkmcnt(0)
	v_add_f64 v[3:4], v[3:4], v[48:49]
	v_add_f64 v[5:6], v[5:6], v[50:51]
.LBB127_94:
	s_or_b64 exec, exec, s[8:9]
	v_mul_f64 v[48:49], v[33:34], v[37:38]
	v_mul_f64 v[37:38], v[31:32], v[37:38]
	;; [unrolled: 1-line block ×4, first 2 shown]
	s_barrier
	v_fma_f64 v[31:32], v[31:32], v[35:36], -v[48:49]
	v_fma_f64 v[33:34], v[33:34], v[35:36], v[37:38]
	v_mul_f64 v[35:36], v[13:14], v[21:22]
	v_mul_f64 v[21:22], v[11:12], v[21:22]
	v_fma_f64 v[23:24], v[23:24], v[27:28], -v[50:51]
	v_fma_f64 v[25:26], v[25:26], v[27:28], v[29:30]
	v_add_f64 v[27:28], v[31:32], 0
	v_add_f64 v[29:30], v[33:34], 0
	v_mul_f64 v[31:32], v[9:10], v[17:18]
	v_mul_f64 v[17:18], v[7:8], v[17:18]
	v_fma_f64 v[11:12], v[11:12], v[19:20], -v[35:36]
	v_fma_f64 v[13:14], v[13:14], v[19:20], v[21:22]
	v_add_f64 v[19:20], v[27:28], v[23:24]
	v_add_f64 v[21:22], v[29:30], v[25:26]
	v_fma_f64 v[7:8], v[7:8], v[15:16], -v[31:32]
	v_fma_f64 v[9:10], v[9:10], v[15:16], v[17:18]
	v_add_f64 v[11:12], v[19:20], v[11:12]
	v_add_f64 v[13:14], v[21:22], v[13:14]
	;; [unrolled: 1-line block ×4, first 2 shown]
	ds_write_b128 v47, v[7:10]
	s_waitcnt lgkmcnt(0)
	s_barrier
	s_and_saveexec_b64 s[8:9], s[4:5]
	s_cbranch_execz .LBB127_96
; %bb.95:
	ds_read_b128 v[7:10], v46
	ds_read_b128 v[11:14], v46 offset:16
	s_waitcnt lgkmcnt(1)
	v_add_f64 v[3:4], v[3:4], v[7:8]
	v_add_f64 v[5:6], v[5:6], v[9:10]
	s_waitcnt lgkmcnt(0)
	v_add_f64 v[11:12], v[3:4], v[11:12]
	v_add_f64 v[13:14], v[5:6], v[13:14]
	ds_read_b128 v[3:6], v46 offset:32
	ds_read_b128 v[7:10], v46 offset:48
	s_waitcnt lgkmcnt(1)
	v_add_f64 v[3:4], v[11:12], v[3:4]
	v_add_f64 v[5:6], v[13:14], v[5:6]
	s_waitcnt lgkmcnt(0)
	v_add_f64 v[11:12], v[3:4], v[7:8]
	v_add_f64 v[13:14], v[5:6], v[9:10]
	ds_read_b128 v[3:6], v46 offset:64
	;; [unrolled: 8-line block ×3, first 2 shown]
	ds_read_b128 v[7:10], v46 offset:112
	s_waitcnt lgkmcnt(1)
	v_add_f64 v[3:4], v[11:12], v[3:4]
	v_add_f64 v[5:6], v[13:14], v[5:6]
	s_waitcnt lgkmcnt(0)
	v_add_f64 v[3:4], v[3:4], v[7:8]
	v_add_f64 v[5:6], v[5:6], v[9:10]
.LBB127_96:
	s_or_b64 exec, exec, s[8:9]
	s_mul_hi_u32 s4, s40, s7
	s_mul_i32 s42, s42, s7
	s_add_i32 s4, s4, s42
	s_mul_i32 s7, s40, s7
	s_mul_i32 s4, s4, s41
	s_mul_hi_u32 s5, s7, s41
	s_add_i32 s5, s5, s4
	s_mul_i32 s4, s7, s41
	s_lshl_b64 s[4:5], s[4:5], 4
	s_add_u32 s7, s22, s4
	s_mul_i32 s4, s40, s6
	s_addc_u32 s8, s23, s5
	s_ashr_i32 s5, s4, 31
	s_lshl_b64 s[4:5], s[4:5], 4
	s_add_u32 s7, s7, s4
	v_cmp_le_i32_e32 vcc, s20, v0
	s_addc_u32 s16, s8, s5
	s_and_b64 vcc, s[30:31], vcc
	s_cmp_lt_i32 s6, 1
	v_lshlrev_b32_e32 v146, 4, v0
	s_barrier
	s_cbranch_scc1 .LBB127_103
; %bb.97:
	s_mul_i32 s4, s33, s24
	s_ashr_i32 s5, s4, 31
	s_lshl_b64 s[4:5], s[4:5], 4
	v_mov_b32_e32 v1, s5
	v_subrev_co_u32_e64 v147, s[4:5], s4, v39
	v_mul_lo_u32 v8, v2, s26
	v_subb_co_u32_e64 v148, s[4:5], v40, v1, s[4:5]
	v_mov_b32_e32 v1, s29
	v_subrev_co_u32_e64 v7, s[4:5], s28, v43
	v_subb_co_u32_e64 v1, s[4:5], v44, v1, s[4:5]
	v_sub_co_u32_e64 v11, s[4:5], v7, v41
	v_lshl_add_u32 v7, v8, 2, v0
	v_ashrrev_i32_e32 v8, 31, v7
	v_lshlrev_b64 v[7:8], 4, v[7:8]
	v_subb_co_u32_e64 v1, s[4:5], v1, v42, s[4:5]
	v_add_co_u32_e64 v7, s[4:5], v11, v7
	v_addc_co_u32_e64 v8, s[4:5], v1, v8, s[4:5]
	s_movk_i32 s4, 0xfe00
	v_add_co_u32_e64 v11, s[4:5], s4, v7
	v_addc_co_u32_e64 v12, s[4:5], -1, v8, s[4:5]
	v_sub_co_u32_e64 v7, s[4:5], v7, v146
	v_subbrev_co_u32_e64 v8, s[4:5], 0, v8, s[4:5]
	s_ashr_i32 s21, s20, 31
	s_lshl_b64 s[4:5], s[20:21], 4
	v_mov_b32_e32 v13, s5
	v_add_co_u32_e64 v7, s[4:5], s4, v7
	v_addc_co_u32_e64 v8, s[4:5], v8, v13, s[4:5]
	s_movk_i32 s4, 0xfdf0
	v_add_co_u32_e64 v7, s[4:5], s4, v7
	v_addc_co_u32_e64 v8, s[4:5], -1, v8, s[4:5]
	v_lshrrev_b32_e32 v9, 4, v45
	v_cndmask_b32_e32 v12, v12, v8, vcc
	v_cndmask_b32_e32 v11, v11, v7, vcc
	v_mov_b32_e32 v7, 0x4300
	v_and_b32_e32 v8, 48, v0
	v_and_b32_e32 v10, 15, v0
	v_lshl_add_u32 v150, v2, 6, v7
	v_lshlrev_b32_e32 v7, 6, v9
	s_movk_i32 s8, 0x430
	v_lshlrev_b32_e32 v8, 4, v8
	s_ashr_i32 s27, s26, 31
	s_movk_i32 s4, 0x10c0
	v_mad_u32_u24 v153, v10, s8, v7
	v_mul_i32_i24_e32 v7, 0xffffffd0, v9
	v_mad_u32_u24 v154, v10, s8, v8
	v_or_b32_e32 v8, 0xf0, v146
	s_lshl_b64 s[10:11], s[26:27], 4
	s_mul_hi_i32 s18, s26, 0xd0
	v_mov_b32_e32 v1, 0
	s_lshl_b32 s17, s33, 6
	v_add_u32_e32 v149, 0x4300, v146
	v_add_u32_e32 v151, 0x4700, v146
	v_mad_u32_u24 v152, v2, s4, v146
	v_cmp_gt_u32_e64 s[4:5], 64, v45
	v_mad_u32_u24 v155, v10, s8, v8
	s_mul_i32 s19, s26, 0xd0
	s_mov_b32 s12, 0
	v_mov_b32_e32 v156, s11
	v_mov_b32_e32 v157, s18
	v_add_u32_e32 v158, v153, v7
	s_branch .LBB127_99
.LBB127_98:                             ;   in Loop: Header=BB127_99 Depth=1
	s_or_b64 exec, exec, s[14:15]
	v_mul_f64 v[87:88], v[9:10], v[37:38]
	v_mul_f64 v[37:38], v[7:8], v[37:38]
	;; [unrolled: 1-line block ×4, first 2 shown]
	s_add_i32 s6, s6, -1
	s_add_i32 s12, s12, s17
	v_add_u32_e32 v0, 64, v0
	s_cmp_eq_u32 s6, 0
	v_fma_f64 v[7:8], v[7:8], v[35:36], -v[87:88]
	v_fma_f64 v[9:10], v[9:10], v[35:36], v[37:38]
	v_mul_f64 v[35:36], v[17:18], v[29:30]
	v_mul_f64 v[29:30], v[15:16], v[29:30]
	v_fma_f64 v[19:20], v[19:20], v[31:32], -v[89:90]
	v_fma_f64 v[21:22], v[21:22], v[31:32], v[33:34]
	s_waitcnt vmcnt(0)
	s_barrier
	v_add_f64 v[3:4], v[3:4], v[7:8]
	v_add_f64 v[5:6], v[5:6], v[9:10]
	v_mul_f64 v[7:8], v[13:14], v[25:26]
	v_mul_f64 v[9:10], v[11:12], v[25:26]
	v_fma_f64 v[15:16], v[15:16], v[27:28], -v[35:36]
	v_fma_f64 v[17:18], v[17:18], v[27:28], v[29:30]
	v_add_f64 v[3:4], v[3:4], v[19:20]
	v_add_f64 v[5:6], v[5:6], v[21:22]
	v_mul_f64 v[19:20], v[49:50], v[85:86]
	v_mul_f64 v[21:22], v[47:48], v[85:86]
	v_fma_f64 v[7:8], v[11:12], v[23:24], -v[7:8]
	v_fma_f64 v[9:10], v[13:14], v[23:24], v[9:10]
	v_mul_f64 v[11:12], v[53:54], v[81:82]
	v_mul_f64 v[13:14], v[51:52], v[81:82]
	v_add_f64 v[3:4], v[3:4], v[15:16]
	v_add_f64 v[5:6], v[5:6], v[17:18]
	v_fma_f64 v[15:16], v[47:48], v[83:84], -v[19:20]
	v_fma_f64 v[17:18], v[49:50], v[83:84], v[21:22]
	v_fma_f64 v[11:12], v[51:52], v[79:80], -v[11:12]
	v_fma_f64 v[13:14], v[53:54], v[79:80], v[13:14]
	v_add_f64 v[3:4], v[3:4], v[7:8]
	v_add_f64 v[5:6], v[5:6], v[9:10]
	v_mul_f64 v[7:8], v[45:46], v[77:78]
	v_mul_f64 v[9:10], v[43:44], v[77:78]
	v_add_f64 v[3:4], v[3:4], v[15:16]
	v_add_f64 v[5:6], v[5:6], v[17:18]
	v_mul_f64 v[15:16], v[41:42], v[73:74]
	v_mul_f64 v[17:18], v[39:40], v[73:74]
	v_fma_f64 v[7:8], v[43:44], v[75:76], -v[7:8]
	v_fma_f64 v[9:10], v[45:46], v[75:76], v[9:10]
	v_add_f64 v[3:4], v[3:4], v[11:12]
	v_add_f64 v[5:6], v[5:6], v[13:14]
	v_mul_f64 v[11:12], v[65:66], v[125:126]
	v_mul_f64 v[13:14], v[63:64], v[125:126]
	v_fma_f64 v[15:16], v[39:40], v[71:72], -v[15:16]
	v_fma_f64 v[17:18], v[41:42], v[71:72], v[17:18]
	;; [unrolled: 6-line block ×9, first 2 shown]
	v_add_f64 v[3:4], v[3:4], v[15:16]
	v_add_f64 v[5:6], v[5:6], v[17:18]
	v_fma_f64 v[7:8], v[107:108], v[127:128], -v[7:8]
	v_fma_f64 v[9:10], v[109:110], v[127:128], v[9:10]
	v_add_f64 v[3:4], v[3:4], v[11:12]
	v_add_f64 v[5:6], v[5:6], v[13:14]
	v_add_co_u32_e64 v11, s[8:9], s19, v144
	v_add_f64 v[3:4], v[3:4], v[7:8]
	v_add_f64 v[5:6], v[5:6], v[9:10]
	v_mov_b32_e32 v7, s18
	v_addc_co_u32_e64 v12, s[8:9], v145, v7, s[8:9]
	s_cbranch_scc1 .LBB127_103
.LBB127_99:                             ; =>This Inner Loop Header: Depth=1
	s_and_saveexec_b64 s[14:15], s[2:3]
	s_cbranch_execz .LBB127_101
; %bb.100:                              ;   in Loop: Header=BB127_99 Depth=1
	s_ashr_i32 s13, s12, 31
	s_lshl_b64 s[8:9], s[12:13], 4
	v_mov_b32_e32 v8, s9
	v_add_co_u32_e64 v7, s[8:9], s8, v147
	v_addc_co_u32_e64 v8, s[8:9], v148, v8, s[8:9]
	global_load_dwordx4 v[7:10], v[7:8], off
	s_waitcnt vmcnt(0)
	ds_write2_b64 v149, v[7:8], v[9:10] offset1:1
.LBB127_101:                            ;   in Loop: Header=BB127_99 Depth=1
	s_or_b64 exec, exec, s[14:15]
	s_waitcnt lgkmcnt(0)
	s_barrier
	global_load_dwordx4 v[7:10], v[11:12], off
	v_add_co_u32_e64 v11, s[8:9], s10, v11
	v_addc_co_u32_e64 v12, s[8:9], v12, v156, s[8:9]
	v_add_co_u32_e64 v13, s[8:9], s10, v11
	v_addc_co_u32_e64 v14, s[8:9], v12, v156, s[8:9]
	v_add_co_u32_e64 v43, s[8:9], s10, v13
	global_load_dwordx4 v[19:22], v[11:12], off
	global_load_dwordx4 v[15:18], v[13:14], off
	v_addc_co_u32_e64 v44, s[8:9], v14, v156, s[8:9]
	global_load_dwordx4 v[11:14], v[43:44], off
	ds_read_b128 v[39:42], v151
	ds_read_b128 v[35:38], v150
	ds_read_b128 v[31:34], v150 offset:16
	ds_read_b128 v[27:30], v150 offset:32
	;; [unrolled: 1-line block ×3, first 2 shown]
	v_add_co_u32_e64 v57, s[8:9], s19, v43
	v_addc_co_u32_e64 v58, s[8:9], v44, v157, s[8:9]
	v_add_co_u32_e64 v59, s[8:9], s10, v57
	v_addc_co_u32_e64 v60, s[8:9], v58, v156, s[8:9]
	s_waitcnt vmcnt(3) lgkmcnt(4)
	v_mul_f64 v[43:44], v[9:10], v[41:42]
	v_mul_f64 v[45:46], v[7:8], v[41:42]
	s_waitcnt vmcnt(2)
	v_mul_f64 v[47:48], v[21:22], v[41:42]
	v_mul_f64 v[49:50], v[19:20], v[41:42]
	s_waitcnt vmcnt(1)
	;; [unrolled: 3-line block ×3, first 2 shown]
	v_mul_f64 v[55:56], v[13:14], v[41:42]
	v_mul_f64 v[61:62], v[11:12], v[41:42]
	v_fma_f64 v[41:42], v[7:8], v[39:40], -v[43:44]
	v_fma_f64 v[43:44], v[9:10], v[39:40], v[45:46]
	v_fma_f64 v[45:46], v[19:20], v[39:40], -v[47:48]
	v_fma_f64 v[47:48], v[21:22], v[39:40], v[49:50]
	;; [unrolled: 2-line block ×4, first 2 shown]
	v_add_co_u32_e64 v39, s[8:9], s10, v59
	v_addc_co_u32_e64 v40, s[8:9], v60, v156, s[8:9]
	ds_write_b128 v152, v[41:44]
	ds_write_b128 v152, v[45:48] offset:1072
	ds_write_b128 v152, v[49:52] offset:2144
	;; [unrolled: 1-line block ×3, first 2 shown]
	v_add_co_u32_e64 v55, s[8:9], s10, v39
	s_waitcnt lgkmcnt(0)
	s_barrier
	ds_read_b128 v[127:130], v153
	ds_read_b128 v[131:134], v153 offset:16
	ds_read_b128 v[91:94], v153 offset:32
	;; [unrolled: 1-line block ×3, first 2 shown]
	s_waitcnt lgkmcnt(0)
	s_barrier
	global_load_dwordx4 v[47:50], v[57:58], off
	global_load_dwordx4 v[51:54], v[59:60], off
	;; [unrolled: 1-line block ×3, first 2 shown]
	v_addc_co_u32_e64 v56, s[8:9], v40, v156, s[8:9]
	global_load_dwordx4 v[39:42], v[55:56], off
	v_add_co_u32_e64 v69, s[8:9], s19, v55
	v_addc_co_u32_e64 v70, s[8:9], v56, v157, s[8:9]
	ds_read_b128 v[55:58], v151
	v_add_co_u32_e64 v99, s[8:9], s10, v69
	v_addc_co_u32_e64 v100, s[8:9], v70, v156, s[8:9]
	v_add_co_u32_e64 v101, s[8:9], s10, v99
	v_addc_co_u32_e64 v102, s[8:9], v100, v156, s[8:9]
	s_waitcnt vmcnt(3) lgkmcnt(0)
	v_mul_f64 v[59:60], v[49:50], v[57:58]
	v_mul_f64 v[61:62], v[47:48], v[57:58]
	s_waitcnt vmcnt(2)
	v_mul_f64 v[63:64], v[53:54], v[57:58]
	v_mul_f64 v[65:66], v[51:52], v[57:58]
	s_waitcnt vmcnt(1)
	;; [unrolled: 3-line block ×3, first 2 shown]
	v_mul_f64 v[73:74], v[41:42], v[57:58]
	v_mul_f64 v[75:76], v[39:40], v[57:58]
	v_fma_f64 v[57:58], v[47:48], v[55:56], -v[59:60]
	v_fma_f64 v[59:60], v[49:50], v[55:56], v[61:62]
	v_fma_f64 v[61:62], v[51:52], v[55:56], -v[63:64]
	v_fma_f64 v[63:64], v[53:54], v[55:56], v[65:66]
	v_fma_f64 v[65:66], v[43:44], v[55:56], -v[67:68]
	v_fma_f64 v[67:68], v[45:46], v[55:56], v[71:72]
	v_fma_f64 v[95:96], v[39:40], v[55:56], -v[73:74]
	v_fma_f64 v[97:98], v[41:42], v[55:56], v[75:76]
	ds_read_b128 v[83:86], v150 offset:256
	ds_read_b128 v[79:82], v150 offset:272
	;; [unrolled: 1-line block ×4, first 2 shown]
	ds_write_b128 v152, v[57:60]
	ds_write_b128 v152, v[61:64] offset:1072
	ds_write_b128 v152, v[65:68] offset:2144
	;; [unrolled: 1-line block ×3, first 2 shown]
	v_add_co_u32_e64 v95, s[8:9], s10, v101
	s_waitcnt lgkmcnt(0)
	s_barrier
	ds_read_b128 v[159:162], v153
	ds_read_b128 v[163:166], v153 offset:16
	ds_read_b128 v[167:170], v153 offset:32
	;; [unrolled: 1-line block ×3, first 2 shown]
	s_waitcnt lgkmcnt(0)
	s_barrier
	global_load_dwordx4 v[63:66], v[69:70], off
	global_load_dwordx4 v[59:62], v[99:100], off
	;; [unrolled: 1-line block ×3, first 2 shown]
	v_addc_co_u32_e64 v96, s[8:9], v102, v156, s[8:9]
	global_load_dwordx4 v[67:70], v[95:96], off
	v_add_co_u32_e64 v109, s[8:9], s19, v95
	v_addc_co_u32_e64 v110, s[8:9], v96, v157, s[8:9]
	ds_read_b128 v[95:98], v151
	v_add_co_u32_e64 v139, s[8:9], s10, v109
	v_addc_co_u32_e64 v140, s[8:9], v110, v156, s[8:9]
	v_add_co_u32_e64 v141, s[8:9], s10, v139
	v_addc_co_u32_e64 v142, s[8:9], v140, v156, s[8:9]
	v_add_co_u32_e64 v144, s[8:9], s10, v141
	v_addc_co_u32_e64 v145, s[8:9], v142, v156, s[8:9]
	v_add_f64 v[211:212], v[159:160], 0
	v_add_f64 v[163:164], v[211:212], v[163:164]
	;; [unrolled: 1-line block ×3, first 2 shown]
	s_waitcnt vmcnt(3) lgkmcnt(0)
	v_mul_f64 v[99:100], v[65:66], v[97:98]
	v_mul_f64 v[101:102], v[63:64], v[97:98]
	s_waitcnt vmcnt(2)
	v_mul_f64 v[103:104], v[61:62], v[97:98]
	v_mul_f64 v[105:106], v[59:60], v[97:98]
	s_waitcnt vmcnt(1)
	;; [unrolled: 3-line block ×3, first 2 shown]
	v_mul_f64 v[113:114], v[69:70], v[97:98]
	v_mul_f64 v[115:116], v[67:68], v[97:98]
	v_fma_f64 v[97:98], v[63:64], v[95:96], -v[99:100]
	v_fma_f64 v[99:100], v[65:66], v[95:96], v[101:102]
	v_fma_f64 v[101:102], v[59:60], v[95:96], -v[103:104]
	v_fma_f64 v[103:104], v[61:62], v[95:96], v[105:106]
	;; [unrolled: 2-line block ×4, first 2 shown]
	ds_read_b128 v[123:126], v150 offset:512
	ds_read_b128 v[119:122], v150 offset:528
	;; [unrolled: 1-line block ×4, first 2 shown]
	ds_write_b128 v152, v[97:100]
	ds_write_b128 v152, v[101:104] offset:1072
	ds_write_b128 v152, v[105:108] offset:2144
	;; [unrolled: 1-line block ×3, first 2 shown]
	s_waitcnt lgkmcnt(0)
	s_barrier
	ds_read_b128 v[175:178], v153
	ds_read_b128 v[179:182], v153 offset:16
	ds_read_b128 v[183:186], v153 offset:32
	;; [unrolled: 1-line block ×3, first 2 shown]
	s_waitcnt lgkmcnt(0)
	s_barrier
	global_load_dwordx4 v[99:102], v[109:110], off
	global_load_dwordx4 v[95:98], v[139:140], off
	;; [unrolled: 1-line block ×3, first 2 shown]
	v_add_f64 v[135:136], v[127:128], 0
	global_load_dwordx4 v[107:110], v[144:145], off
	v_add_f64 v[137:138], v[129:130], 0
	ds_read_b128 v[127:130], v151
	v_add_f64 v[175:176], v[175:176], 0
	v_add_f64 v[177:178], v[177:178], 0
	;; [unrolled: 1-line block ×9, first 2 shown]
	s_waitcnt vmcnt(3) lgkmcnt(0)
	v_mul_f64 v[131:132], v[101:102], v[129:130]
	v_mul_f64 v[133:134], v[99:100], v[129:130]
	s_waitcnt vmcnt(2)
	v_mul_f64 v[135:136], v[97:98], v[129:130]
	v_mul_f64 v[137:138], v[95:96], v[129:130]
	s_waitcnt vmcnt(1)
	;; [unrolled: 3-line block ×3, first 2 shown]
	v_mul_f64 v[159:160], v[109:110], v[129:130]
	v_mul_f64 v[129:130], v[107:108], v[129:130]
	v_fma_f64 v[191:192], v[99:100], v[127:128], -v[131:132]
	v_fma_f64 v[193:194], v[101:102], v[127:128], v[133:134]
	v_fma_f64 v[195:196], v[95:96], v[127:128], -v[135:136]
	v_fma_f64 v[197:198], v[97:98], v[127:128], v[137:138]
	;; [unrolled: 2-line block ×4, first 2 shown]
	ds_read_b128 v[139:142], v150 offset:768
	ds_read_b128 v[135:138], v150 offset:784
	;; [unrolled: 1-line block ×4, first 2 shown]
	ds_write_b128 v152, v[191:194]
	ds_write_b128 v152, v[195:198] offset:1072
	ds_write_b128 v152, v[199:202] offset:2144
	;; [unrolled: 1-line block ×3, first 2 shown]
	s_waitcnt lgkmcnt(0)
	s_barrier
	ds_read_b128 v[191:194], v153
	v_add_f64 v[195:196], v[161:162], 0
	ds_read_b128 v[159:162], v153 offset:16
	v_add_f64 v[197:198], v[207:208], v[91:92]
	ds_read_b128 v[91:94], v153 offset:32
	s_waitcnt lgkmcnt(2)
	v_add_f64 v[191:192], v[191:192], 0
	v_add_f64 v[193:194], v[193:194], 0
	;; [unrolled: 1-line block ×4, first 2 shown]
	s_waitcnt lgkmcnt(1)
	v_add_f64 v[181:182], v[191:192], v[159:160]
	v_add_f64 v[191:192], v[193:194], v[161:162]
	ds_read_b128 v[159:162], v153 offset:48
	s_waitcnt lgkmcnt(0)
	v_add_f64 v[165:166], v[165:166], v[169:170]
	v_add_f64 v[169:170], v[177:178], v[185:186]
	s_barrier
	v_add_f64 v[175:176], v[181:182], v[91:92]
	v_add_f64 v[177:178], v[191:192], v[93:94]
	;; [unrolled: 1-line block ×8, first 2 shown]
	ds_write_b128 v158, v[87:90]
	ds_write_b128 v158, v[91:94] offset:256
	ds_write_b128 v158, v[163:166] offset:512
	;; [unrolled: 1-line block ×3, first 2 shown]
	s_waitcnt lgkmcnt(0)
	s_barrier
	s_and_saveexec_b64 s[14:15], s[4:5]
	s_cbranch_execz .LBB127_98
; %bb.102:                              ;   in Loop: Header=BB127_99 Depth=1
	ds_read_b128 v[87:90], v154
	ds_read_b128 v[91:94], v154 offset:16
	s_waitcnt lgkmcnt(0)
	v_add_f64 v[159:160], v[91:92], v[87:88]
	v_add_f64 v[161:162], v[93:94], v[89:90]
	ds_read_b128 v[87:90], v154 offset:32
	ds_read_b128 v[91:94], v154 offset:48
	s_waitcnt lgkmcnt(1)
	v_add_f64 v[87:88], v[159:160], v[87:88]
	v_add_f64 v[89:90], v[161:162], v[89:90]
	s_waitcnt lgkmcnt(0)
	v_add_f64 v[159:160], v[87:88], v[91:92]
	v_add_f64 v[161:162], v[89:90], v[93:94]
	ds_read_b128 v[87:90], v154 offset:64
	ds_read_b128 v[91:94], v154 offset:80
	s_waitcnt lgkmcnt(1)
	v_add_f64 v[87:88], v[159:160], v[87:88]
	v_add_f64 v[89:90], v[161:162], v[89:90]
	;; [unrolled: 8-line block ×6, first 2 shown]
	s_waitcnt lgkmcnt(0)
	v_add_f64 v[159:160], v[87:88], v[91:92]
	v_add_f64 v[161:162], v[89:90], v[93:94]
	ds_read_b128 v[87:90], v154 offset:224
	ds_read_b128 v[91:94], v155
	s_waitcnt lgkmcnt(1)
	v_add_f64 v[87:88], v[159:160], v[87:88]
	v_add_f64 v[89:90], v[161:162], v[89:90]
	s_waitcnt lgkmcnt(0)
	v_add_f64 v[87:88], v[87:88], v[91:92]
	v_add_f64 v[89:90], v[89:90], v[93:94]
	v_lshlrev_b64 v[91:92], 4, v[0:1]
	v_mov_b32_e32 v93, s16
	v_add_co_u32_e64 v91, s[8:9], s7, v91
	v_addc_co_u32_e64 v92, s[8:9], v93, v92, s[8:9]
	global_store_dwordx4 v[91:92], v[87:90], off
	s_branch .LBB127_98
.LBB127_103:
	s_movk_i32 s2, 0x430
	v_mad_u32_u24 v0, v2, s2, v146
	s_nor_b64 s[0:1], s[0:1], vcc
	ds_write_b128 v0, v[3:6]
	s_waitcnt lgkmcnt(0)
	s_barrier
	s_and_saveexec_b64 s[2:3], s[0:1]
	s_cbranch_execz .LBB127_105
; %bb.104:
	ds_read_b128 v[0:3], v146 offset:1072
	ds_read_b128 v[4:7], v146
	v_ashrrev_i32_e32 v144, 31, v143
	s_waitcnt lgkmcnt(0)
	v_add_f64 v[8:9], v[0:1], v[4:5]
	v_add_f64 v[10:11], v[2:3], v[6:7]
	ds_read_b128 v[0:3], v146 offset:2144
	ds_read_b128 v[4:7], v146 offset:3216
	s_waitcnt lgkmcnt(1)
	v_add_f64 v[0:1], v[8:9], v[0:1]
	v_add_f64 v[2:3], v[10:11], v[2:3]
	s_waitcnt lgkmcnt(0)
	v_add_f64 v[0:1], v[0:1], v[4:5]
	v_add_f64 v[2:3], v[2:3], v[6:7]
	v_lshlrev_b64 v[4:5], 4, v[143:144]
	v_mov_b32_e32 v6, s16
	v_add_co_u32_e32 v4, vcc, s7, v4
	v_addc_co_u32_e32 v5, vcc, v6, v5, vcc
	global_store_dwordx4 v[4:5], v[0:3], off
.LBB127_105:
	s_endpgm
	.section	.rodata,"a",@progbits
	.p2align	6, 0x0
	.amdhsa_kernel _ZL26rocblas_hemvn_kernel_lowerILb0ELi64ELi4ELi33ELi32ELi16EiPK19rocblas_complex_numIdES3_PS1_EviT6_lT7_lT5_lS6_lS7_lS5_lT8_i
		.amdhsa_group_segment_fixed_size 19200
		.amdhsa_private_segment_fixed_size 0
		.amdhsa_kernarg_size 376
		.amdhsa_user_sgpr_count 6
		.amdhsa_user_sgpr_private_segment_buffer 1
		.amdhsa_user_sgpr_dispatch_ptr 0
		.amdhsa_user_sgpr_queue_ptr 0
		.amdhsa_user_sgpr_kernarg_segment_ptr 1
		.amdhsa_user_sgpr_dispatch_id 0
		.amdhsa_user_sgpr_flat_scratch_init 0
		.amdhsa_user_sgpr_private_segment_size 0
		.amdhsa_uses_dynamic_stack 0
		.amdhsa_system_sgpr_private_segment_wavefront_offset 0
		.amdhsa_system_sgpr_workgroup_id_x 1
		.amdhsa_system_sgpr_workgroup_id_y 0
		.amdhsa_system_sgpr_workgroup_id_z 1
		.amdhsa_system_sgpr_workgroup_info 0
		.amdhsa_system_vgpr_workitem_id 1
		.amdhsa_next_free_vgpr 213
		.amdhsa_next_free_sgpr 98
		.amdhsa_reserve_vcc 1
		.amdhsa_reserve_flat_scratch 0
		.amdhsa_float_round_mode_32 0
		.amdhsa_float_round_mode_16_64 0
		.amdhsa_float_denorm_mode_32 3
		.amdhsa_float_denorm_mode_16_64 3
		.amdhsa_dx10_clamp 1
		.amdhsa_ieee_mode 1
		.amdhsa_fp16_overflow 0
		.amdhsa_exception_fp_ieee_invalid_op 0
		.amdhsa_exception_fp_denorm_src 0
		.amdhsa_exception_fp_ieee_div_zero 0
		.amdhsa_exception_fp_ieee_overflow 0
		.amdhsa_exception_fp_ieee_underflow 0
		.amdhsa_exception_fp_ieee_inexact 0
		.amdhsa_exception_int_div_zero 0
	.end_amdhsa_kernel
	.section	.text._ZL26rocblas_hemvn_kernel_lowerILb0ELi64ELi4ELi33ELi32ELi16EiPK19rocblas_complex_numIdES3_PS1_EviT6_lT7_lT5_lS6_lS7_lS5_lT8_i,"axG",@progbits,_ZL26rocblas_hemvn_kernel_lowerILb0ELi64ELi4ELi33ELi32ELi16EiPK19rocblas_complex_numIdES3_PS1_EviT6_lT7_lT5_lS6_lS7_lS5_lT8_i,comdat
.Lfunc_end127:
	.size	_ZL26rocblas_hemvn_kernel_lowerILb0ELi64ELi4ELi33ELi32ELi16EiPK19rocblas_complex_numIdES3_PS1_EviT6_lT7_lT5_lS6_lS7_lS5_lT8_i, .Lfunc_end127-_ZL26rocblas_hemvn_kernel_lowerILb0ELi64ELi4ELi33ELi32ELi16EiPK19rocblas_complex_numIdES3_PS1_EviT6_lT7_lT5_lS6_lS7_lS5_lT8_i
                                        ; -- End function
	.set _ZL26rocblas_hemvn_kernel_lowerILb0ELi64ELi4ELi33ELi32ELi16EiPK19rocblas_complex_numIdES3_PS1_EviT6_lT7_lT5_lS6_lS7_lS5_lT8_i.num_vgpr, 213
	.set _ZL26rocblas_hemvn_kernel_lowerILb0ELi64ELi4ELi33ELi32ELi16EiPK19rocblas_complex_numIdES3_PS1_EviT6_lT7_lT5_lS6_lS7_lS5_lT8_i.num_agpr, 0
	.set _ZL26rocblas_hemvn_kernel_lowerILb0ELi64ELi4ELi33ELi32ELi16EiPK19rocblas_complex_numIdES3_PS1_EviT6_lT7_lT5_lS6_lS7_lS5_lT8_i.numbered_sgpr, 46
	.set _ZL26rocblas_hemvn_kernel_lowerILb0ELi64ELi4ELi33ELi32ELi16EiPK19rocblas_complex_numIdES3_PS1_EviT6_lT7_lT5_lS6_lS7_lS5_lT8_i.num_named_barrier, 0
	.set _ZL26rocblas_hemvn_kernel_lowerILb0ELi64ELi4ELi33ELi32ELi16EiPK19rocblas_complex_numIdES3_PS1_EviT6_lT7_lT5_lS6_lS7_lS5_lT8_i.private_seg_size, 0
	.set _ZL26rocblas_hemvn_kernel_lowerILb0ELi64ELi4ELi33ELi32ELi16EiPK19rocblas_complex_numIdES3_PS1_EviT6_lT7_lT5_lS6_lS7_lS5_lT8_i.uses_vcc, 1
	.set _ZL26rocblas_hemvn_kernel_lowerILb0ELi64ELi4ELi33ELi32ELi16EiPK19rocblas_complex_numIdES3_PS1_EviT6_lT7_lT5_lS6_lS7_lS5_lT8_i.uses_flat_scratch, 0
	.set _ZL26rocblas_hemvn_kernel_lowerILb0ELi64ELi4ELi33ELi32ELi16EiPK19rocblas_complex_numIdES3_PS1_EviT6_lT7_lT5_lS6_lS7_lS5_lT8_i.has_dyn_sized_stack, 0
	.set _ZL26rocblas_hemvn_kernel_lowerILb0ELi64ELi4ELi33ELi32ELi16EiPK19rocblas_complex_numIdES3_PS1_EviT6_lT7_lT5_lS6_lS7_lS5_lT8_i.has_recursion, 0
	.set _ZL26rocblas_hemvn_kernel_lowerILb0ELi64ELi4ELi33ELi32ELi16EiPK19rocblas_complex_numIdES3_PS1_EviT6_lT7_lT5_lS6_lS7_lS5_lT8_i.has_indirect_call, 0
	.section	.AMDGPU.csdata,"",@progbits
; Kernel info:
; codeLenInByte = 9532
; TotalNumSgprs: 50
; NumVgprs: 213
; ScratchSize: 0
; MemoryBound: 0
; FloatMode: 240
; IeeeMode: 1
; LDSByteSize: 19200 bytes/workgroup (compile time only)
; SGPRBlocks: 12
; VGPRBlocks: 53
; NumSGPRsForWavesPerEU: 102
; NumVGPRsForWavesPerEU: 213
; Occupancy: 1
; WaveLimiterHint : 1
; COMPUTE_PGM_RSRC2:SCRATCH_EN: 0
; COMPUTE_PGM_RSRC2:USER_SGPR: 6
; COMPUTE_PGM_RSRC2:TRAP_HANDLER: 0
; COMPUTE_PGM_RSRC2:TGID_X_EN: 1
; COMPUTE_PGM_RSRC2:TGID_Y_EN: 0
; COMPUTE_PGM_RSRC2:TGID_Z_EN: 1
; COMPUTE_PGM_RSRC2:TIDIG_COMP_CNT: 1
	.section	.text._ZL26rocblas_hemvn_kernel_lowerILb0ELi64ELi4ELi33ELi32ELi16El19rocblas_complex_numIdEPKS1_PS1_EviT6_lT7_lT5_lS6_lS7_lS5_lT8_i,"axG",@progbits,_ZL26rocblas_hemvn_kernel_lowerILb0ELi64ELi4ELi33ELi32ELi16El19rocblas_complex_numIdEPKS1_PS1_EviT6_lT7_lT5_lS6_lS7_lS5_lT8_i,comdat
	.globl	_ZL26rocblas_hemvn_kernel_lowerILb0ELi64ELi4ELi33ELi32ELi16El19rocblas_complex_numIdEPKS1_PS1_EviT6_lT7_lT5_lS6_lS7_lS5_lT8_i ; -- Begin function _ZL26rocblas_hemvn_kernel_lowerILb0ELi64ELi4ELi33ELi32ELi16El19rocblas_complex_numIdEPKS1_PS1_EviT6_lT7_lT5_lS6_lS7_lS5_lT8_i
	.p2align	8
	.type	_ZL26rocblas_hemvn_kernel_lowerILb0ELi64ELi4ELi33ELi32ELi16El19rocblas_complex_numIdEPKS1_PS1_EviT6_lT7_lT5_lS6_lS7_lS5_lT8_i,@function
_ZL26rocblas_hemvn_kernel_lowerILb0ELi64ELi4ELi33ELi32ELi16El19rocblas_complex_numIdEPKS1_PS1_EviT6_lT7_lT5_lS6_lS7_lS5_lT8_i: ; @_ZL26rocblas_hemvn_kernel_lowerILb0ELi64ELi4ELi33ELi32ELi16El19rocblas_complex_numIdEPKS1_PS1_EviT6_lT7_lT5_lS6_lS7_lS5_lT8_i
; %bb.0:
	s_load_dwordx2 s[2:3], s[4:5], 0x94
	s_add_u32 s0, s4, 0x88
	s_addc_u32 s1, s5, 0
	s_waitcnt lgkmcnt(0)
	s_lshr_b32 s8, s2, 16
	s_and_b32 s2, s2, 0xffff
	s_and_b32 s3, s3, 0xffff
	s_mul_i32 s2, s8, s2
	s_mul_i32 s2, s2, s3
	s_cmpk_lg_i32 s2, 0x100
	s_cbranch_scc1 .LBB128_105
; %bb.1:
	s_load_dwordx4 s[8:11], s[4:5], 0x8
	s_waitcnt lgkmcnt(0)
	v_cmp_neq_f64_e64 s[2:3], s[8:9], 0
	v_cmp_neq_f64_e64 s[8:9], s[10:11], 0
	s_or_b64 s[2:3], s[2:3], s[8:9]
	s_mov_b64 s[8:9], -1
	s_and_b64 vcc, exec, s[2:3]
	s_cbranch_vccnz .LBB128_3
; %bb.2:
	s_load_dwordx4 s[8:11], s[4:5], 0x60
	s_waitcnt lgkmcnt(0)
	v_cmp_neq_f64_e64 s[8:9], s[8:9], 1.0
	v_cmp_neq_f64_e64 s[10:11], s[10:11], 0
	s_or_b64 s[8:9], s[8:9], s[10:11]
.LBB128_3:
	s_andn2_b64 vcc, exec, s[8:9]
	s_cbranch_vccnz .LBB128_105
; %bb.4:
	s_andn2_b64 vcc, exec, s[2:3]
	s_cbranch_vccnz .LBB128_105
; %bb.5:
	s_load_dwordx16 s[36:51], s[4:5], 0x20
	s_load_dword s52, s[0:1], 0x0
	s_load_dword s33, s[4:5], 0x0
	s_waitcnt lgkmcnt(0)
	s_mul_i32 s1, s51, s7
	s_mul_hi_u32 s2, s50, s7
	s_mul_i32 s0, s50, s7
	s_add_i32 s1, s2, s1
	s_lshl_b64 s[0:1], s[0:1], 4
	s_add_u32 s2, s44, s0
	s_addc_u32 s3, s45, s1
	s_lshl_b64 s[0:1], s[46:47], 4
	s_add_u32 s2, s2, s0
	s_addc_u32 s3, s3, s1
	s_lshl_b32 s24, s6, 6
	s_ashr_i32 s44, s33, 31
	s_lshr_b32 s0, s44, 26
	v_add_u32_e32 v142, s24, v0
	s_add_i32 s0, s33, s0
	v_ashrrev_i32_e32 v143, 31, v142
	s_and_b32 s9, s0, 0xffffffc0
	v_mul_lo_u32 v4, s48, v143
	v_mul_lo_u32 v5, s49, v142
	v_mad_u64_u32 v[2:3], s[0:1], s48, v142, 0
	s_add_i32 s8, s52, -1
	s_sub_i32 s0, s33, s9
	v_add3_u32 v3, v3, v4, v5
	v_lshlrev_b64 v[2:3], 4, v[2:3]
	s_cmp_eq_u32 s6, s8
	v_mov_b32_e32 v4, s3
	v_add_co_u32_e32 v38, vcc, s2, v2
	s_cselect_b32 s22, s0, 0
	v_addc_co_u32_e32 v39, vcc, v4, v3, vcc
	v_cmp_ne_u32_e64 s[0:1], 0, v1
	v_cmp_eq_u32_e64 s[2:3], 0, v1
	s_and_saveexec_b64 s[8:9], s[2:3]
	s_cbranch_execz .LBB128_10
; %bb.6:
	s_cmp_lg_u32 s22, 0
	s_cselect_b64 s[10:11], -1, 0
	v_cmp_le_i32_e32 vcc, s22, v0
	v_mov_b32_e32 v2, 0x4700
	s_and_b64 s[10:11], s[10:11], vcc
	v_lshl_add_u32 v2, v0, 4, v2
	s_and_saveexec_b64 s[12:13], s[10:11]
	s_xor_b64 s[10:11], exec, s[12:13]
; %bb.7:
	v_mov_b32_e32 v3, 0
	v_mov_b32_e32 v4, v3
	;; [unrolled: 1-line block ×4, first 2 shown]
	ds_write_b128 v2, v[3:6]
                                        ; implicit-def: $vgpr2
; %bb.8:
	s_andn2_saveexec_b64 s[10:11], s[10:11]
	s_cbranch_execz .LBB128_10
; %bb.9:
	global_load_dwordx4 v[3:6], v[38:39], off
	s_waitcnt vmcnt(0)
	ds_write2_b64 v2, v[3:4], v[5:6] offset1:1
.LBB128_10:
	s_or_b64 exec, exec, s[8:9]
	v_lshl_add_u32 v44, v1, 6, v0
	s_mul_i32 s8, s43, s7
	s_mul_hi_u32 s9, s42, s7
	v_and_b32_e32 v6, 31, v0
	v_lshrrev_b32_e32 v11, 5, v44
	s_add_i32 s9, s9, s8
	s_mul_i32 s8, s42, s7
	v_mov_b32_e32 v7, 0
	s_lshl_b64 s[8:9], s[8:9], 4
	v_mad_u64_u32 v[2:3], s[10:11], s40, v11, v[6:7]
	s_add_u32 s12, s36, s8
	s_addc_u32 s13, s37, s9
	s_lshl_b64 s[8:9], s[38:39], 4
	s_add_u32 s10, s12, s8
	s_addc_u32 s11, s13, s9
	v_mad_u64_u32 v[3:4], s[8:9], s41, v11, v[3:4]
	s_ashr_i32 s25, s24, 31
	s_lshl_b64 s[8:9], s[24:25], 4
	s_add_u32 s8, s10, s8
	v_lshlrev_b64 v[40:41], 4, v[2:3]
	s_addc_u32 s9, s11, s9
	v_mov_b32_e32 v2, s9
	v_add_co_u32_e32 v3, vcc, s8, v40
	s_mul_hi_u32 s8, s40, s24
	s_mul_i32 s9, s40, s25
	s_add_i32 s8, s8, s9
	s_mul_i32 s9, s41, s24
	s_add_i32 s9, s8, s9
	s_mul_i32 s8, s40, s24
	v_addc_co_u32_e32 v2, vcc, v2, v41, vcc
	s_lshl_b64 s[26:27], s[8:9], 4
	v_mov_b32_e32 v4, s27
	v_add_co_u32_e32 v7, vcc, s26, v3
	s_cmp_lg_u32 s22, 0
	v_addc_co_u32_e32 v8, vcc, v2, v4, vcc
	s_cselect_b64 s[28:29], -1, 0
	s_cmp_eq_u32 s22, 0
	s_cselect_b64 s[18:19], -1, 0
	s_mov_b64 s[8:9], -1
	s_and_b64 vcc, exec, s[28:29]
	s_cbranch_vccnz .LBB128_12
; %bb.11:
	s_lshl_b64 s[8:9], s[40:41], 7
	v_mov_b32_e32 v22, s9
	v_add_co_u32_e32 v9, vcc, s8, v7
	v_addc_co_u32_e32 v10, vcc, v8, v22, vcc
	v_add_co_u32_e32 v20, vcc, s8, v9
	global_load_dwordx4 v[2:5], v[7:8], off
	v_addc_co_u32_e32 v21, vcc, v10, v22, vcc
	global_load_dwordx4 v[12:15], v[9:10], off
	global_load_dwordx4 v[16:19], v[20:21], off
	v_add_co_u32_e32 v9, vcc, s8, v20
	v_addc_co_u32_e32 v10, vcc, v21, v22, vcc
	global_load_dwordx4 v[20:23], v[9:10], off
	v_mul_u32_u24_e32 v9, 0x210, v11
	v_lshl_add_u32 v9, v6, 4, v9
	s_mov_b64 s[8:9], 0
	v_add_u32_e32 v10, 0x1080, v9
	v_add_u32_e32 v24, 0x2100, v9
	;; [unrolled: 1-line block ×3, first 2 shown]
	s_waitcnt vmcnt(3)
	ds_write2_b64 v9, v[2:3], v[4:5] offset1:1
	s_waitcnt vmcnt(2)
	ds_write2_b64 v10, v[12:13], v[14:15] offset1:1
	;; [unrolled: 2-line block ×4, first 2 shown]
.LBB128_12:
	s_andn2_b64 vcc, exec, s[8:9]
	v_lshlrev_b32_e32 v12, 4, v6
	s_cbranch_vccnz .LBB128_30
; %bb.13:
	v_lshlrev_b32_e32 v4, 4, v6
	v_sub_co_u32_e32 v2, vcc, v7, v4
	s_ashr_i32 s23, s22, 31
	v_subbrev_co_u32_e32 v3, vcc, 0, v8, vcc
	s_lshl_b64 s[10:11], s[22:23], 4
	v_mov_b32_e32 v5, s11
	v_add_co_u32_e32 v2, vcc, s10, v2
	v_addc_co_u32_e32 v3, vcc, v3, v5, vcc
	v_add_co_u32_e32 v2, vcc, -16, v2
	v_addc_co_u32_e32 v3, vcc, -1, v3, vcc
	v_cmp_gt_i32_e32 vcc, s22, v6
	s_movk_i32 s12, 0x210
	v_cndmask_b32_e32 v3, v3, v8, vcc
	v_cndmask_b32_e32 v2, v2, v7, vcc
	v_cmp_le_i32_e64 s[8:9], s22, v11
	v_mad_u32_u24 v5, v11, s12, v12
	s_and_saveexec_b64 s[12:13], s[8:9]
	s_xor_b64 s[8:9], exec, s[12:13]
; %bb.14:
	v_mov_b32_e32 v13, 0
	v_mov_b32_e32 v14, v13
	;; [unrolled: 1-line block ×4, first 2 shown]
	ds_write_b128 v5, v[13:16]
                                        ; implicit-def: $vgpr5
; %bb.15:
	s_andn2_saveexec_b64 s[8:9], s[8:9]
	s_cbranch_execz .LBB128_17
; %bb.16:
	global_load_dwordx4 v[13:16], v[2:3], off
	s_waitcnt vmcnt(0)
	ds_write2_b64 v5, v[13:14], v[15:16] offset1:1
.LBB128_17:
	s_or_b64 exec, exec, s[8:9]
	v_add_u32_e32 v9, 8, v11
	v_mul_u32_u24_e32 v5, 0x210, v11
	v_cmp_le_i32_e64 s[8:9], s22, v9
	s_and_saveexec_b64 s[12:13], s[8:9]
	s_xor_b64 s[8:9], exec, s[12:13]
	s_cbranch_execz .LBB128_19
; %bb.18:
	v_mov_b32_e32 v13, 0
	v_add_u32_e32 v9, v5, v12
	v_mov_b32_e32 v14, v13
	v_mov_b32_e32 v15, v13
	;; [unrolled: 1-line block ×3, first 2 shown]
	ds_write_b128 v9, v[13:16] offset:4224
.LBB128_19:
	s_andn2_saveexec_b64 s[12:13], s[8:9]
	s_cbranch_execz .LBB128_21
; %bb.20:
	s_lshl_b64 s[8:9], s[40:41], 7
	v_mov_b32_e32 v10, s9
	v_add_co_u32_e64 v9, s[8:9], s8, v2
	v_addc_co_u32_e64 v10, s[8:9], v3, v10, s[8:9]
	global_load_dwordx4 v[13:16], v[9:10], off
	s_movk_i32 s8, 0x1080
	v_add3_u32 v9, v5, v12, s8
	s_waitcnt vmcnt(0)
	ds_write2_b64 v9, v[13:14], v[15:16] offset1:1
.LBB128_21:
	s_or_b64 exec, exec, s[12:13]
	v_add_u32_e32 v9, 16, v11
	v_cmp_le_i32_e64 s[8:9], s22, v9
	s_and_saveexec_b64 s[12:13], s[8:9]
	s_xor_b64 s[8:9], exec, s[12:13]
	s_cbranch_execz .LBB128_23
; %bb.22:
	v_mov_b32_e32 v13, 0
	v_add_u32_e32 v9, v5, v12
	v_mov_b32_e32 v14, v13
	v_mov_b32_e32 v15, v13
	v_mov_b32_e32 v16, v13
	ds_write_b128 v9, v[13:16] offset:8448
.LBB128_23:
	s_andn2_saveexec_b64 s[12:13], s[8:9]
	s_cbranch_execz .LBB128_25
; %bb.24:
	s_lshl_b64 s[8:9], s[40:41], 8
	v_mov_b32_e32 v10, s9
	v_add_co_u32_e64 v9, s[8:9], s8, v2
	v_addc_co_u32_e64 v10, s[8:9], v3, v10, s[8:9]
	global_load_dwordx4 v[13:16], v[9:10], off
	s_movk_i32 s8, 0x2100
	v_add3_u32 v9, v5, v12, s8
	s_waitcnt vmcnt(0)
	ds_write2_b64 v9, v[13:14], v[15:16] offset1:1
.LBB128_25:
	s_or_b64 exec, exec, s[12:13]
	v_add_u32_e32 v9, 24, v11
	v_cmp_le_i32_e64 s[8:9], s22, v9
	s_and_saveexec_b64 s[12:13], s[8:9]
	s_xor_b64 s[8:9], exec, s[12:13]
	s_cbranch_execz .LBB128_27
; %bb.26:
	v_mov_b32_e32 v13, 0
	v_add_u32_e32 v5, v5, v12
	v_mov_b32_e32 v14, v13
	v_mov_b32_e32 v15, v13
	;; [unrolled: 1-line block ×3, first 2 shown]
	ds_write_b128 v5, v[13:16] offset:12672
                                        ; implicit-def: $vgpr5
.LBB128_27:
	s_andn2_saveexec_b64 s[8:9], s[8:9]
	s_cbranch_execz .LBB128_29
; %bb.28:
	v_mov_b32_e32 v9, 0x180
	v_mad_u64_u32 v[9:10], s[12:13], s40, v9, v[2:3]
	s_mul_i32 s12, s41, 0x180
	v_add_u32_e32 v10, s12, v10
	global_load_dwordx4 v[13:16], v[9:10], off
	s_movk_i32 s12, 0x3180
	v_add3_u32 v5, v5, v12, s12
	s_waitcnt vmcnt(0)
	ds_write2_b64 v5, v[13:14], v[15:16] offset1:1
.LBB128_29:
	s_or_b64 exec, exec, s[8:9]
	v_add_co_u32_e64 v2, s[8:9], v2, v4
	v_addc_co_u32_e64 v3, s[8:9], 0, v3, s[8:9]
	v_mov_b32_e32 v4, s11
	v_subrev_co_u32_e64 v2, s[8:9], s10, v2
	v_subb_co_u32_e64 v3, s[8:9], v3, v4, s[8:9]
	v_add_co_u32_e64 v2, s[8:9], 16, v2
	v_addc_co_u32_e64 v3, s[8:9], 0, v3, s[8:9]
	v_cndmask_b32_e32 v8, v3, v8, vcc
	v_cndmask_b32_e32 v7, v2, v7, vcc
.LBB128_30:
	v_lshlrev_b32_e32 v13, 2, v11
	v_lshl_or_b32 v4, v6, 9, v12
	v_cmp_lt_u32_e64 s[8:9], v13, v6
	s_waitcnt lgkmcnt(0)
	s_barrier
	s_and_saveexec_b64 s[10:11], s[8:9]
	s_cbranch_execz .LBB128_32
; %bb.31:
	s_movk_i32 s12, 0x840
	v_mad_u32_u24 v2, v11, s12, v12
	ds_read_b128 v[14:17], v2
	v_lshl_add_u32 v2, v13, 4, v4
	s_waitcnt lgkmcnt(0)
	ds_write_b128 v2, v[14:17]
.LBB128_32:
	s_or_b64 exec, exec, s[10:11]
	v_or_b32_e32 v2, 1, v13
	v_cmp_lt_u32_e64 s[10:11], v2, v6
	s_and_saveexec_b64 s[12:13], s[10:11]
	s_cbranch_execz .LBB128_34
; %bb.33:
	s_movk_i32 s14, 0x210
	v_mad_u32_u24 v3, v2, s14, v12
	ds_read_b128 v[14:17], v3
	v_lshl_add_u32 v3, v13, 4, v4
	s_waitcnt lgkmcnt(0)
	ds_write_b128 v3, v[14:17] offset:16
.LBB128_34:
	s_or_b64 exec, exec, s[12:13]
	v_or_b32_e32 v3, 2, v13
	v_cmp_lt_u32_e64 s[12:13], v3, v6
	s_and_saveexec_b64 s[14:15], s[12:13]
	s_cbranch_execz .LBB128_36
; %bb.35:
	s_movk_i32 s16, 0x210
	v_mad_u32_u24 v3, v3, s16, v12
	ds_read_b128 v[14:17], v3
	v_lshl_add_u32 v3, v13, 4, v4
	s_waitcnt lgkmcnt(0)
	ds_write_b128 v3, v[14:17] offset:32
.LBB128_36:
	s_or_b64 exec, exec, s[14:15]
	v_or_b32_e32 v5, 3, v13
	v_cmp_lt_u32_e64 s[14:15], v5, v6
	v_cmp_ge_u32_e32 vcc, v5, v6
                                        ; implicit-def: $vgpr3
	s_and_saveexec_b64 s[16:17], vcc
	s_xor_b64 s[16:17], exec, s[16:17]
; %bb.37:
	v_mul_u32_u24_e32 v3, 0x210, v5
                                        ; implicit-def: $vgpr4
                                        ; implicit-def: $vgpr5
; %bb.38:
	s_andn2_saveexec_b64 s[16:17], s[16:17]
	s_cbranch_execz .LBB128_40
; %bb.39:
	s_movk_i32 s20, 0x210
	v_mad_u32_u24 v3, v5, s20, v12
	ds_read_b128 v[14:17], v3
	v_lshl_add_u32 v4, v13, 4, v4
	v_mul_u32_u24_e32 v3, 0x210, v5
	s_waitcnt lgkmcnt(0)
	ds_write_b128 v4, v[14:17] offset:48
.LBB128_40:
	s_or_b64 exec, exec, s[16:17]
	s_movk_i32 s16, 0x840
	v_mad_u32_u24 v15, v11, s16, v12
	s_waitcnt lgkmcnt(0)
	s_barrier
	v_lshlrev_b32_e32 v18, 4, v13
	ds_read_b128 v[19:22], v15
	ds_read_b128 v[23:26], v18 offset:18176
	ds_read_b128 v[27:30], v18 offset:18192
	s_movk_i32 s23, 0x210
	v_mad_u32_u24 v17, v2, s23, v12
	ds_read_b128 v[31:34], v17
	s_waitcnt lgkmcnt(2)
	v_mul_f64 v[4:5], v[25:26], v[21:22]
	v_mul_f64 v[9:10], v[23:24], v[21:22]
	v_add_u32_e32 v16, v12, v3
	v_cmp_gt_u32_e64 s[20:21], 32, v44
	v_fma_f64 v[42:43], v[23:24], v[19:20], -v[4:5]
	ds_read_b128 v[21:24], v17 offset:528
	s_waitcnt lgkmcnt(1)
	v_mul_f64 v[49:50], v[29:30], v[33:34]
	v_mul_f64 v[51:52], v[27:28], v[33:34]
	v_fma_f64 v[9:10], v[25:26], v[19:20], v[9:10]
	ds_read_b128 v[2:5], v18 offset:18208
	ds_read_b128 v[33:36], v18 offset:18224
	ds_read_b128 v[45:48], v16
	s_waitcnt lgkmcnt(0)
	v_add_f64 v[19:20], v[42:43], 0
	s_barrier
	v_mul_f64 v[25:26], v[4:5], v[23:24]
	v_fma_f64 v[27:28], v[27:28], v[31:32], -v[49:50]
	v_fma_f64 v[29:30], v[29:30], v[31:32], v[51:52]
	v_mul_f64 v[23:24], v[2:3], v[23:24]
	v_add_f64 v[9:10], v[9:10], 0
	v_mul_f64 v[31:32], v[35:36], v[47:48]
	v_fma_f64 v[2:3], v[2:3], v[21:22], -v[25:26]
	v_add_f64 v[19:20], v[19:20], v[27:28]
	v_mul_f64 v[25:26], v[33:34], v[47:48]
	v_fma_f64 v[4:5], v[4:5], v[21:22], v[23:24]
	v_add_f64 v[9:10], v[9:10], v[29:30]
	v_fma_f64 v[21:22], v[33:34], v[45:46], -v[31:32]
	v_add_f64 v[19:20], v[19:20], v[2:3]
	v_fma_f64 v[23:24], v[35:36], v[45:46], v[25:26]
	v_mov_b32_e32 v2, 0
	v_add_f64 v[4:5], v[9:10], v[4:5]
	v_mul_u32_u24_e32 v9, 33, v6
	v_lshlrev_b32_e32 v45, 4, v9
	v_mov_b32_e32 v3, 0
	v_lshl_add_u32 v46, v11, 4, v45
	v_add_f64 v[19:20], v[19:20], v[21:22]
	v_add_f64 v[21:22], v[4:5], v[23:24]
	v_mov_b32_e32 v4, 0
	v_mov_b32_e32 v5, 0
	ds_write_b128 v46, v[19:22]
	s_waitcnt lgkmcnt(0)
	s_barrier
	s_and_saveexec_b64 s[16:17], s[20:21]
	s_cbranch_execz .LBB128_42
; %bb.41:
	ds_read_b128 v[2:5], v45
	ds_read_b128 v[19:22], v45 offset:16
	s_waitcnt lgkmcnt(0)
	v_add_f64 v[9:10], v[19:20], v[2:3]
	v_add_f64 v[23:24], v[21:22], v[4:5]
	ds_read_b128 v[2:5], v45 offset:32
	ds_read_b128 v[19:22], v45 offset:48
	s_waitcnt lgkmcnt(1)
	v_add_f64 v[2:3], v[9:10], v[2:3]
	v_add_f64 v[4:5], v[23:24], v[4:5]
	s_waitcnt lgkmcnt(0)
	v_add_f64 v[9:10], v[2:3], v[19:20]
	v_add_f64 v[23:24], v[4:5], v[21:22]
	ds_read_b128 v[2:5], v45 offset:64
	ds_read_b128 v[19:22], v45 offset:80
	s_waitcnt lgkmcnt(1)
	v_add_f64 v[2:3], v[9:10], v[2:3]
	v_add_f64 v[4:5], v[23:24], v[4:5]
	s_waitcnt lgkmcnt(0)
	v_add_f64 v[9:10], v[2:3], v[19:20]
	v_add_f64 v[23:24], v[4:5], v[21:22]
	ds_read_b128 v[2:5], v45 offset:96
	ds_read_b128 v[19:22], v45 offset:112
	s_waitcnt lgkmcnt(1)
	v_add_f64 v[2:3], v[9:10], v[2:3]
	v_add_f64 v[4:5], v[23:24], v[4:5]
	s_waitcnt lgkmcnt(0)
	v_add_f64 v[2:3], v[2:3], v[19:20]
	v_add_f64 v[4:5], v[4:5], v[21:22]
.LBB128_42:
	s_or_b64 exec, exec, s[16:17]
	s_lshl_b64 s[16:17], s[40:41], 9
	v_mov_b32_e32 v10, s17
	v_add_co_u32_e32 v9, vcc, s16, v7
	v_addc_co_u32_e32 v10, vcc, v8, v10, vcc
	v_add_co_u32_e32 v7, vcc, 0x200, v9
	v_addc_co_u32_e32 v8, vcc, 0, v10, vcc
	v_cndmask_b32_e64 v19, 0, 1, s[18:19]
	v_mad_u32_u24 v14, v11, s23, v12
	v_cmp_ne_u32_e64 s[16:17], 1, v19
	s_andn2_b64 vcc, exec, s[18:19]
	s_mov_b64 s[18:19], -1
	s_barrier
	s_cbranch_vccnz .LBB128_44
; %bb.43:
	s_lshl_b64 s[18:19], s[40:41], 7
	v_mov_b32_e32 v35, s19
	v_add_co_u32_e32 v31, vcc, s18, v9
	v_addc_co_u32_e32 v32, vcc, v10, v35, vcc
	v_add_co_u32_e32 v33, vcc, s18, v31
	global_load_dwordx4 v[19:22], v[7:8], off
	v_addc_co_u32_e32 v34, vcc, v32, v35, vcc
	global_load_dwordx4 v[23:26], v[31:32], off offset:512
	global_load_dwordx4 v[27:30], v[33:34], off offset:512
	v_add_co_u32_e32 v31, vcc, s18, v33
	v_addc_co_u32_e32 v32, vcc, v34, v35, vcc
	global_load_dwordx4 v[31:34], v[31:32], off offset:512
	s_mov_b64 s[18:19], 0
	v_add_u32_e32 v35, 0x1080, v14
	v_add_u32_e32 v36, 0x2100, v14
	;; [unrolled: 1-line block ×3, first 2 shown]
	s_waitcnt vmcnt(3)
	ds_write2_b64 v14, v[19:20], v[21:22] offset1:1
	s_waitcnt vmcnt(2)
	ds_write2_b64 v35, v[23:24], v[25:26] offset1:1
	;; [unrolled: 2-line block ×4, first 2 shown]
.LBB128_44:
	s_andn2_b64 vcc, exec, s[18:19]
	s_cbranch_vccnz .LBB128_62
; %bb.45:
	v_lshlrev_b32_e32 v19, 4, v6
	v_sub_co_u32_e32 v9, vcc, v9, v19
	s_ashr_i32 s23, s22, 31
	v_subbrev_co_u32_e32 v10, vcc, 0, v10, vcc
	s_lshl_b64 s[30:31], s[22:23], 4
	v_mov_b32_e32 v21, s31
	v_add_co_u32_e32 v9, vcc, s30, v9
	v_addc_co_u32_e32 v10, vcc, v10, v21, vcc
	v_or_b32_e32 v20, 32, v6
	v_add_co_u32_e32 v9, vcc, -16, v9
	v_addc_co_u32_e32 v10, vcc, -1, v10, vcc
	v_cmp_gt_i32_e64 s[18:19], s22, v20
	s_sub_i32 s23, s22, 32
	v_cndmask_b32_e64 v10, v10, v8, s[18:19]
	v_cndmask_b32_e64 v9, v9, v7, s[18:19]
	v_cmp_le_i32_e32 vcc, s23, v11
	s_and_saveexec_b64 s[34:35], vcc
	s_xor_b64 s[34:35], exec, s[34:35]
; %bb.46:
	v_mov_b32_e32 v20, 0
	v_mov_b32_e32 v21, v20
	;; [unrolled: 1-line block ×4, first 2 shown]
	ds_write_b128 v14, v[20:23]
; %bb.47:
	s_andn2_saveexec_b64 s[34:35], s[34:35]
	s_cbranch_execz .LBB128_49
; %bb.48:
	global_load_dwordx4 v[20:23], v[9:10], off
	s_waitcnt vmcnt(0)
	ds_write2_b64 v14, v[20:21], v[22:23] offset1:1
.LBB128_49:
	s_or_b64 exec, exec, s[34:35]
	v_add_u32_e32 v21, 8, v11
	v_mul_u32_u24_e32 v20, 0x210, v11
	v_cmp_le_i32_e32 vcc, s23, v21
	s_and_saveexec_b64 s[34:35], vcc
	s_xor_b64 s[34:35], exec, s[34:35]
	s_cbranch_execz .LBB128_51
; %bb.50:
	v_mov_b32_e32 v21, 0
	v_add_u32_e32 v25, v20, v12
	v_mov_b32_e32 v22, v21
	v_mov_b32_e32 v23, v21
	;; [unrolled: 1-line block ×3, first 2 shown]
	ds_write_b128 v25, v[21:24] offset:4224
.LBB128_51:
	s_andn2_saveexec_b64 s[34:35], s[34:35]
	s_cbranch_execz .LBB128_53
; %bb.52:
	s_lshl_b64 s[36:37], s[40:41], 7
	v_mov_b32_e32 v22, s37
	v_add_co_u32_e32 v21, vcc, s36, v9
	v_addc_co_u32_e32 v22, vcc, v10, v22, vcc
	global_load_dwordx4 v[21:24], v[21:22], off
	s_movk_i32 s36, 0x1080
	v_add3_u32 v25, v20, v12, s36
	s_waitcnt vmcnt(0)
	ds_write2_b64 v25, v[21:22], v[23:24] offset1:1
.LBB128_53:
	s_or_b64 exec, exec, s[34:35]
	v_add_u32_e32 v21, 16, v11
	v_cmp_le_i32_e32 vcc, s23, v21
	s_and_saveexec_b64 s[34:35], vcc
	s_xor_b64 s[34:35], exec, s[34:35]
	s_cbranch_execz .LBB128_55
; %bb.54:
	v_mov_b32_e32 v21, 0
	v_add_u32_e32 v25, v20, v12
	v_mov_b32_e32 v22, v21
	v_mov_b32_e32 v23, v21
	;; [unrolled: 1-line block ×3, first 2 shown]
	ds_write_b128 v25, v[21:24] offset:8448
.LBB128_55:
	s_andn2_saveexec_b64 s[34:35], s[34:35]
	s_cbranch_execz .LBB128_57
; %bb.56:
	s_lshl_b64 s[36:37], s[40:41], 8
	v_mov_b32_e32 v22, s37
	v_add_co_u32_e32 v21, vcc, s36, v9
	v_addc_co_u32_e32 v22, vcc, v10, v22, vcc
	global_load_dwordx4 v[21:24], v[21:22], off
	s_movk_i32 s36, 0x2100
	v_add3_u32 v25, v20, v12, s36
	s_waitcnt vmcnt(0)
	ds_write2_b64 v25, v[21:22], v[23:24] offset1:1
.LBB128_57:
	s_or_b64 exec, exec, s[34:35]
	v_add_u32_e32 v21, 24, v11
	v_cmp_le_i32_e32 vcc, s23, v21
	s_and_saveexec_b64 s[34:35], vcc
	s_xor_b64 s[34:35], exec, s[34:35]
	s_cbranch_execz .LBB128_59
; %bb.58:
	v_add_u32_e32 v24, v20, v12
	v_mov_b32_e32 v20, 0
	v_mov_b32_e32 v21, v20
	;; [unrolled: 1-line block ×4, first 2 shown]
	ds_write_b128 v24, v[20:23] offset:12672
                                        ; implicit-def: $vgpr20
.LBB128_59:
	s_andn2_saveexec_b64 s[34:35], s[34:35]
	s_cbranch_execz .LBB128_61
; %bb.60:
	v_mov_b32_e32 v21, 0x180
	v_mad_u64_u32 v[21:22], s[36:37], s40, v21, v[9:10]
	s_mul_i32 s23, s41, 0x180
	v_add_u32_e32 v22, s23, v22
	global_load_dwordx4 v[21:24], v[21:22], off
	s_movk_i32 s23, 0x3180
	v_add3_u32 v20, v20, v12, s23
	s_waitcnt vmcnt(0)
	ds_write2_b64 v20, v[21:22], v[23:24] offset1:1
.LBB128_61:
	s_or_b64 exec, exec, s[34:35]
	v_add_co_u32_e32 v9, vcc, v9, v19
	v_addc_co_u32_e32 v10, vcc, 0, v10, vcc
	v_mov_b32_e32 v19, s31
	v_subrev_co_u32_e32 v9, vcc, s30, v9
	v_subb_co_u32_e32 v10, vcc, v10, v19, vcc
	v_add_co_u32_e32 v9, vcc, 0x210, v9
	v_addc_co_u32_e32 v10, vcc, 0, v10, vcc
	v_cndmask_b32_e64 v8, v10, v8, s[18:19]
	v_cndmask_b32_e64 v7, v9, v7, s[18:19]
.LBB128_62:
	v_add_u32_e32 v9, 0x4700, v18
	v_add_u32_e32 v10, 0x210, v17
	s_lshl_b64 s[18:19], s[40:41], 5
	s_waitcnt lgkmcnt(0)
	s_barrier
	s_and_saveexec_b64 s[30:31], s[8:9]
	s_cbranch_execnz .LBB128_71
; %bb.63:
	s_or_b64 exec, exec, s[30:31]
	s_and_saveexec_b64 s[8:9], s[10:11]
	s_cbranch_execnz .LBB128_72
.LBB128_64:
	s_or_b64 exec, exec, s[8:9]
	s_and_saveexec_b64 s[8:9], s[12:13]
	s_cbranch_execnz .LBB128_73
.LBB128_65:
	s_or_b64 exec, exec, s[8:9]
	s_and_saveexec_b64 s[8:9], s[14:15]
	s_cbranch_execz .LBB128_67
.LBB128_66:
	ds_read_b128 v[18:21], v16
	v_lshl_add_u32 v22, v13, 4, v45
	s_waitcnt lgkmcnt(0)
	ds_write_b128 v22, v[18:21] offset:48
.LBB128_67:
	s_or_b64 exec, exec, s[8:9]
	s_waitcnt lgkmcnt(0)
	s_barrier
	ds_read_b128 v[18:21], v9 offset:512
	ds_read_b128 v[22:25], v15
	v_cmp_eq_u32_e64 s[8:9], 1, v11
	s_waitcnt lgkmcnt(0)
	v_mul_f64 v[36:37], v[20:21], v[24:25]
	v_mul_f64 v[42:43], v[18:19], v[24:25]
	ds_read_b128 v[24:27], v17
	ds_read_b128 v[28:31], v9 offset:528
	ds_read_b128 v[32:35], v9 offset:544
	ds_read_b128 v[47:50], v10
	s_waitcnt lgkmcnt(2)
	v_mul_f64 v[55:56], v[30:31], v[26:27]
	v_mul_f64 v[26:27], v[28:29], v[26:27]
	v_fma_f64 v[36:37], v[18:19], v[22:23], -v[36:37]
	v_fma_f64 v[21:22], v[20:21], v[22:23], v[42:43]
	ds_read_b128 v[17:20], v9 offset:560
	ds_read_b128 v[51:54], v16
	s_waitcnt lgkmcnt(2)
	v_mul_f64 v[15:16], v[34:35], v[49:50]
	v_mul_f64 v[42:43], v[32:33], v[49:50]
	v_fma_f64 v[28:29], v[28:29], v[24:25], -v[55:56]
	v_fma_f64 v[23:24], v[30:31], v[24:25], v[26:27]
	s_waitcnt lgkmcnt(0)
	v_mul_f64 v[30:31], v[19:20], v[53:54]
	v_add_f64 v[25:26], v[36:37], 0
	v_add_f64 v[21:22], v[21:22], 0
	v_mul_f64 v[36:37], v[17:18], v[53:54]
	v_fma_f64 v[15:16], v[32:33], v[47:48], -v[15:16]
	v_fma_f64 v[32:33], v[34:35], v[47:48], v[42:43]
	s_barrier
	v_fma_f64 v[17:18], v[17:18], v[51:52], -v[30:31]
	v_add_f64 v[25:26], v[25:26], v[28:29]
	v_add_f64 v[21:22], v[21:22], v[23:24]
	v_fma_f64 v[19:20], v[19:20], v[51:52], v[36:37]
	v_add_f64 v[15:16], v[25:26], v[15:16]
	v_add_f64 v[21:22], v[21:22], v[32:33]
	;; [unrolled: 1-line block ×4, first 2 shown]
	ds_write_b128 v46, v[15:18]
	s_waitcnt lgkmcnt(0)
	s_barrier
	s_and_saveexec_b64 s[10:11], s[8:9]
	s_cbranch_execz .LBB128_69
; %bb.68:
	ds_read_b128 v[2:5], v45
	ds_read_b128 v[15:18], v45 offset:16
	s_waitcnt lgkmcnt(0)
	v_add_f64 v[19:20], v[15:16], v[2:3]
	v_add_f64 v[21:22], v[17:18], v[4:5]
	ds_read_b128 v[2:5], v45 offset:32
	ds_read_b128 v[15:18], v45 offset:48
	s_waitcnt lgkmcnt(1)
	v_add_f64 v[2:3], v[19:20], v[2:3]
	v_add_f64 v[4:5], v[21:22], v[4:5]
	s_waitcnt lgkmcnt(0)
	v_add_f64 v[19:20], v[2:3], v[15:16]
	v_add_f64 v[21:22], v[4:5], v[17:18]
	ds_read_b128 v[2:5], v45 offset:64
	ds_read_b128 v[15:18], v45 offset:80
	s_waitcnt lgkmcnt(1)
	v_add_f64 v[2:3], v[19:20], v[2:3]
	v_add_f64 v[4:5], v[21:22], v[4:5]
	s_waitcnt lgkmcnt(0)
	v_add_f64 v[19:20], v[2:3], v[15:16]
	v_add_f64 v[21:22], v[4:5], v[17:18]
	ds_read_b128 v[2:5], v45 offset:96
	ds_read_b128 v[15:18], v45 offset:112
	s_waitcnt lgkmcnt(1)
	v_add_f64 v[2:3], v[19:20], v[2:3]
	v_add_f64 v[4:5], v[21:22], v[4:5]
	s_waitcnt lgkmcnt(0)
	v_add_f64 v[2:3], v[2:3], v[15:16]
	v_add_f64 v[4:5], v[4:5], v[17:18]
.LBB128_69:
	s_or_b64 exec, exec, s[10:11]
	s_lshl_b64 s[10:11], s[18:19], 4
	v_mov_b32_e32 v10, s11
	v_subrev_co_u32_e64 v42, s[10:11], s10, v7
	s_and_b64 vcc, exec, s[16:17]
	v_subb_co_u32_e64 v43, s[10:11], v8, v10, s[10:11]
	s_barrier
	s_cbranch_vccnz .LBB128_74
; %bb.70:
	s_lshl_b64 s[10:11], s[40:41], 7
	v_mov_b32_e32 v10, s11
	v_add_co_u32_e32 v7, vcc, s10, v42
	v_addc_co_u32_e32 v8, vcc, v43, v10, vcc
	v_add_co_u32_e32 v15, vcc, s10, v7
	global_load_dwordx4 v[18:21], v[42:43], off
	v_addc_co_u32_e32 v16, vcc, v8, v10, vcc
	global_load_dwordx4 v[22:25], v[7:8], off
	global_load_dwordx4 v[26:29], v[15:16], off
	v_add_co_u32_e32 v7, vcc, s10, v15
	v_addc_co_u32_e32 v8, vcc, v16, v10, vcc
	global_load_dwordx4 v[30:33], v[7:8], off
	v_add_u32_e32 v8, 8, v11
	s_movk_i32 s10, 0x210
	v_mov_b32_e32 v7, 0x1080
	v_mov_b32_e32 v16, 0x2100
	v_add_u32_e32 v15, 16, v11
	v_add_u32_e32 v10, 24, v11
	v_mul_u32_u24_e32 v17, 0x210, v8
	v_mad_u32_u24 v34, v8, s10, v12
	v_mad_u32_u24 v7, v8, s10, v7
	;; [unrolled: 1-line block ×3, first 2 shown]
	v_add_u32_e32 v35, v12, v7
	v_add_u32_e32 v36, v12, v16
	s_waitcnt vmcnt(3)
	ds_write2_b64 v14, v[18:19], v[20:21] offset1:1
	s_waitcnt vmcnt(2)
	ds_write2_b64 v34, v[22:23], v[24:25] offset1:1
	;; [unrolled: 2-line block ×4, first 2 shown]
	s_cbranch_execz .LBB128_75
	s_branch .LBB128_92
.LBB128_71:
	ds_read_b128 v[18:21], v15
	v_lshl_add_u32 v22, v13, 4, v45
	s_waitcnt lgkmcnt(0)
	ds_write_b128 v22, v[18:21]
	s_or_b64 exec, exec, s[30:31]
	s_and_saveexec_b64 s[8:9], s[10:11]
	s_cbranch_execz .LBB128_64
.LBB128_72:
	ds_read_b128 v[18:21], v17
	v_lshl_add_u32 v22, v13, 4, v45
	s_waitcnt lgkmcnt(0)
	ds_write_b128 v22, v[18:21] offset:16
	s_or_b64 exec, exec, s[8:9]
	s_and_saveexec_b64 s[8:9], s[12:13]
	s_cbranch_execz .LBB128_65
.LBB128_73:
	ds_read_b128 v[18:21], v10
	v_lshl_add_u32 v22, v13, 4, v45
	s_waitcnt lgkmcnt(0)
	ds_write_b128 v22, v[18:21] offset:32
	s_or_b64 exec, exec, s[8:9]
	s_and_saveexec_b64 s[8:9], s[14:15]
	s_cbranch_execnz .LBB128_66
	s_branch .LBB128_67
.LBB128_74:
                                        ; implicit-def: $vgpr8
                                        ; implicit-def: $vgpr17
                                        ; implicit-def: $vgpr15
                                        ; implicit-def: $vgpr7
                                        ; implicit-def: $vgpr10
                                        ; implicit-def: $vgpr16
.LBB128_75:
	v_lshlrev_b32_e32 v17, 4, v6
	v_or_b32_e32 v7, 32, v6
	v_sub_co_u32_e32 v6, vcc, v42, v17
	s_ashr_i32 s23, s22, 31
	v_subbrev_co_u32_e32 v8, vcc, 0, v43, vcc
	s_lshl_b64 s[12:13], s[22:23], 4
	v_mov_b32_e32 v10, s13
	v_add_co_u32_e32 v6, vcc, s12, v6
	v_addc_co_u32_e32 v8, vcc, v8, v10, vcc
	v_add_co_u32_e32 v6, vcc, 0xfffffdf0, v6
	v_addc_co_u32_e32 v8, vcc, -1, v8, vcc
	v_cmp_gt_i32_e64 s[10:11], s22, v7
	v_cndmask_b32_e64 v7, v8, v43, s[10:11]
	v_cndmask_b32_e64 v6, v6, v42, s[10:11]
	v_cmp_le_i32_e32 vcc, s22, v11
	s_and_saveexec_b64 s[14:15], vcc
	s_xor_b64 s[14:15], exec, s[14:15]
; %bb.76:
	v_mov_b32_e32 v18, 0
	v_mov_b32_e32 v19, v18
	;; [unrolled: 1-line block ×4, first 2 shown]
	ds_write_b128 v14, v[18:21]
; %bb.77:
	s_andn2_saveexec_b64 s[14:15], s[14:15]
	s_cbranch_execz .LBB128_79
; %bb.78:
	global_load_dwordx4 v[18:21], v[6:7], off
	s_waitcnt vmcnt(0)
	ds_write2_b64 v14, v[18:19], v[20:21] offset1:1
.LBB128_79:
	s_or_b64 exec, exec, s[14:15]
	v_add_u32_e32 v8, 8, v11
	v_cmp_le_i32_e32 vcc, s22, v8
	s_and_saveexec_b64 s[14:15], vcc
	s_xor_b64 s[14:15], exec, s[14:15]
	s_cbranch_execz .LBB128_81
; %bb.80:
	s_movk_i32 s16, 0x210
	v_mov_b32_e32 v18, 0
	v_mad_u32_u24 v10, v8, s16, v12
	v_mov_b32_e32 v19, v18
	v_mov_b32_e32 v20, v18
	;; [unrolled: 1-line block ×3, first 2 shown]
	ds_write_b128 v10, v[18:21]
.LBB128_81:
	s_andn2_saveexec_b64 s[14:15], s[14:15]
	s_cbranch_execz .LBB128_83
; %bb.82:
	s_lshl_b64 s[16:17], s[40:41], 7
	v_mov_b32_e32 v10, s17
	v_add_co_u32_e32 v15, vcc, s16, v6
	v_addc_co_u32_e32 v16, vcc, v7, v10, vcc
	global_load_dwordx4 v[18:21], v[15:16], off
	s_movk_i32 s16, 0x210
	v_mad_u32_u24 v10, v8, s16, v12
	s_waitcnt vmcnt(0)
	ds_write2_b64 v10, v[18:19], v[20:21] offset1:1
.LBB128_83:
	s_or_b64 exec, exec, s[14:15]
	v_add_u32_e32 v15, 16, v11
	v_cmp_le_i32_e32 vcc, s22, v15
	s_and_saveexec_b64 s[14:15], vcc
	s_xor_b64 s[14:15], exec, s[14:15]
	s_cbranch_execz .LBB128_85
; %bb.84:
	s_movk_i32 s16, 0x210
	v_mov_b32_e32 v18, 0
	v_mad_u32_u24 v10, v15, s16, v12
	v_mov_b32_e32 v19, v18
	v_mov_b32_e32 v20, v18
	;; [unrolled: 1-line block ×3, first 2 shown]
	ds_write_b128 v10, v[18:21]
.LBB128_85:
	s_andn2_saveexec_b64 s[14:15], s[14:15]
	s_cbranch_execz .LBB128_87
; %bb.86:
	s_lshl_b64 s[16:17], s[40:41], 8
	v_mov_b32_e32 v10, s17
	v_add_co_u32_e32 v18, vcc, s16, v6
	v_addc_co_u32_e32 v19, vcc, v7, v10, vcc
	global_load_dwordx4 v[18:21], v[18:19], off
	s_movk_i32 s16, 0x210
	v_mad_u32_u24 v10, v15, s16, v12
	s_waitcnt vmcnt(0)
	ds_write2_b64 v10, v[18:19], v[20:21] offset1:1
.LBB128_87:
	s_or_b64 exec, exec, s[14:15]
	v_add_u32_e32 v10, 24, v11
	v_cmp_le_i32_e32 vcc, s22, v10
                                        ; implicit-def: $vgpr16
	s_and_saveexec_b64 s[14:15], vcc
	s_xor_b64 s[14:15], exec, s[14:15]
	s_cbranch_execz .LBB128_89
; %bb.88:
	s_movk_i32 s16, 0x210
	v_mov_b32_e32 v18, 0
	v_mul_u32_u24_e32 v16, 0x210, v10
	v_mad_u32_u24 v22, v10, s16, v12
	v_mov_b32_e32 v19, v18
	v_mov_b32_e32 v20, v18
	;; [unrolled: 1-line block ×3, first 2 shown]
	ds_write_b128 v22, v[18:21]
.LBB128_89:
	s_andn2_saveexec_b64 s[14:15], s[14:15]
	s_cbranch_execz .LBB128_91
; %bb.90:
	v_mov_b32_e32 v16, 0x180
	v_mad_u64_u32 v[18:19], s[16:17], s40, v16, v[6:7]
	s_mul_i32 s16, s41, 0x180
	v_mul_u32_u24_e32 v16, 0x210, v10
	v_add_u32_e32 v19, s16, v19
	global_load_dwordx4 v[18:21], v[18:19], off
	s_movk_i32 s16, 0x210
	v_mad_u32_u24 v22, v10, s16, v12
	s_waitcnt vmcnt(0)
	ds_write2_b64 v22, v[18:19], v[20:21] offset1:1
.LBB128_91:
	s_or_b64 exec, exec, s[14:15]
	v_add_co_u32_e32 v6, vcc, v6, v17
	v_addc_co_u32_e32 v7, vcc, 0, v7, vcc
	v_mov_b32_e32 v17, s13
	v_subrev_co_u32_e32 v6, vcc, s12, v6
	v_subb_co_u32_e32 v7, vcc, v7, v17, vcc
	v_add_co_u32_e32 v6, vcc, 0x210, v6
	s_movk_i32 s12, 0x210
	v_addc_co_u32_e32 v7, vcc, 0, v7, vcc
	v_cndmask_b32_e64 v42, v6, v42, s[10:11]
	v_mov_b32_e32 v6, 0x1080
	v_cndmask_b32_e64 v43, v7, v43, s[10:11]
	v_mul_u32_u24_e32 v17, 0x210, v8
	v_mad_u32_u24 v7, v8, s12, v6
.LBB128_92:
	v_lshlrev_b32_e32 v6, 4, v11
	s_waitcnt lgkmcnt(0)
	s_barrier
	ds_read_b128 v[18:21], v6 offset:18176
	ds_read_b128 v[22:25], v14
	v_add_u32_e32 v6, v12, v17
	v_lshlrev_b32_e32 v8, 4, v8
	ds_read_b128 v[26:29], v8 offset:18176
	ds_read_b128 v[30:33], v6
	v_add_u32_e32 v6, v12, v7
	v_lshlrev_b32_e32 v7, 4, v15
	s_waitcnt lgkmcnt(2)
	v_mul_f64 v[51:52], v[20:21], v[24:25]
	ds_read_b128 v[34:37], v7 offset:18176
	ds_read_b128 v[47:50], v6
	v_mul_f64 v[6:7], v[18:19], v[24:25]
	s_waitcnt lgkmcnt(2)
	v_mul_f64 v[53:54], v[28:29], v[32:33]
	v_mul_f64 v[32:33], v[26:27], v[32:33]
	v_lshlrev_b32_e32 v10, 4, v10
	s_waitcnt lgkmcnt(0)
	v_mul_f64 v[24:25], v[36:37], v[49:50]
	v_add_u32_e32 v8, v12, v16
	v_fma_f64 v[14:15], v[18:19], v[22:23], -v[51:52]
	v_lshl_add_u32 v51, v13, 4, v45
	v_fma_f64 v[6:7], v[20:21], v[22:23], v[6:7]
	v_fma_f64 v[26:27], v[26:27], v[30:31], -v[53:54]
	v_fma_f64 v[24:25], v[34:35], v[47:48], -v[24:25]
	v_add_f64 v[22:23], v[14:15], 0
	ds_read_b128 v[14:17], v10 offset:18176
	ds_read2_b64 v[18:21], v8 offset1:1
	v_fma_f64 v[10:11], v[28:29], v[30:31], v[32:33]
	v_mul_f64 v[28:29], v[34:35], v[49:50]
	v_add_f64 v[6:7], v[6:7], 0
	v_add_f64 v[22:23], v[22:23], v[26:27]
	s_waitcnt lgkmcnt(0)
	v_mul_f64 v[26:27], v[16:17], v[20:21]
	v_mul_f64 v[20:21], v[14:15], v[20:21]
	v_fma_f64 v[28:29], v[36:37], v[47:48], v[28:29]
	v_add_f64 v[6:7], v[6:7], v[10:11]
	v_fma_f64 v[14:15], v[14:15], v[18:19], -v[26:27]
	v_fma_f64 v[16:17], v[16:17], v[18:19], v[20:21]
	v_add_f64 v[18:19], v[22:23], v[24:25]
	v_add_f64 v[20:21], v[6:7], v[28:29]
	ds_read_b128 v[30:33], v9 offset:512
	ds_read_b128 v[22:25], v9 offset:528
	;; [unrolled: 1-line block ×4, first 2 shown]
	v_add_f64 v[47:48], v[18:19], v[14:15]
	v_add_f64 v[49:50], v[20:21], v[16:17]
	ds_read_b128 v[34:37], v51
	ds_read_b128 v[26:29], v51 offset:16
	ds_read_b128 v[18:21], v51 offset:32
	;; [unrolled: 1-line block ×3, first 2 shown]
	s_waitcnt lgkmcnt(0)
	s_barrier
	ds_write_b128 v46, v[47:50]
	s_waitcnt lgkmcnt(0)
	s_barrier
	s_and_saveexec_b64 s[10:11], s[8:9]
	s_cbranch_execz .LBB128_94
; %bb.93:
	ds_read_b128 v[47:50], v45
	ds_read_b128 v[51:54], v45 offset:16
	s_waitcnt lgkmcnt(1)
	v_add_f64 v[2:3], v[2:3], v[47:48]
	v_add_f64 v[4:5], v[4:5], v[49:50]
	s_waitcnt lgkmcnt(0)
	v_add_f64 v[51:52], v[2:3], v[51:52]
	v_add_f64 v[53:54], v[4:5], v[53:54]
	ds_read_b128 v[2:5], v45 offset:32
	ds_read_b128 v[47:50], v45 offset:48
	s_waitcnt lgkmcnt(1)
	v_add_f64 v[2:3], v[51:52], v[2:3]
	v_add_f64 v[4:5], v[53:54], v[4:5]
	s_waitcnt lgkmcnt(0)
	v_add_f64 v[51:52], v[2:3], v[47:48]
	v_add_f64 v[53:54], v[4:5], v[49:50]
	ds_read_b128 v[2:5], v45 offset:64
	;; [unrolled: 8-line block ×3, first 2 shown]
	ds_read_b128 v[47:50], v45 offset:112
	s_waitcnt lgkmcnt(1)
	v_add_f64 v[2:3], v[51:52], v[2:3]
	v_add_f64 v[4:5], v[53:54], v[4:5]
	s_waitcnt lgkmcnt(0)
	v_add_f64 v[2:3], v[2:3], v[47:48]
	v_add_f64 v[4:5], v[4:5], v[49:50]
.LBB128_94:
	s_or_b64 exec, exec, s[10:11]
	v_mul_f64 v[47:48], v[36:37], v[32:33]
	v_mul_f64 v[32:33], v[34:35], v[32:33]
	;; [unrolled: 1-line block ×4, first 2 shown]
	s_barrier
	v_fma_f64 v[34:35], v[34:35], v[30:31], -v[47:48]
	v_fma_f64 v[30:31], v[36:37], v[30:31], v[32:33]
	v_mul_f64 v[32:33], v[20:21], v[12:13]
	v_mul_f64 v[12:13], v[18:19], v[12:13]
	v_fma_f64 v[26:27], v[26:27], v[22:23], -v[49:50]
	v_fma_f64 v[22:23], v[28:29], v[22:23], v[24:25]
	v_add_f64 v[24:25], v[34:35], 0
	v_add_f64 v[28:29], v[30:31], 0
	v_mul_f64 v[30:31], v[16:17], v[8:9]
	v_mul_f64 v[8:9], v[14:15], v[8:9]
	v_fma_f64 v[18:19], v[18:19], v[10:11], -v[32:33]
	v_fma_f64 v[10:11], v[20:21], v[10:11], v[12:13]
	v_add_f64 v[12:13], v[24:25], v[26:27]
	v_add_f64 v[20:21], v[28:29], v[22:23]
	v_fma_f64 v[14:15], v[14:15], v[6:7], -v[30:31]
	v_fma_f64 v[8:9], v[16:17], v[6:7], v[8:9]
	v_add_f64 v[6:7], v[12:13], v[18:19]
	v_add_f64 v[10:11], v[20:21], v[10:11]
	;; [unrolled: 1-line block ×4, first 2 shown]
	ds_write_b128 v46, v[6:9]
	s_waitcnt lgkmcnt(0)
	s_barrier
	s_and_saveexec_b64 s[8:9], s[20:21]
	s_cbranch_execz .LBB128_96
; %bb.95:
	ds_read_b128 v[6:9], v45
	ds_read_b128 v[10:13], v45 offset:16
	s_waitcnt lgkmcnt(1)
	v_add_f64 v[2:3], v[2:3], v[6:7]
	v_add_f64 v[4:5], v[4:5], v[8:9]
	s_waitcnt lgkmcnt(0)
	v_add_f64 v[10:11], v[2:3], v[10:11]
	v_add_f64 v[12:13], v[4:5], v[12:13]
	ds_read_b128 v[2:5], v45 offset:32
	ds_read_b128 v[6:9], v45 offset:48
	s_waitcnt lgkmcnt(1)
	v_add_f64 v[2:3], v[10:11], v[2:3]
	v_add_f64 v[4:5], v[12:13], v[4:5]
	s_waitcnt lgkmcnt(0)
	v_add_f64 v[10:11], v[2:3], v[6:7]
	v_add_f64 v[12:13], v[4:5], v[8:9]
	ds_read_b128 v[2:5], v45 offset:64
	;; [unrolled: 8-line block ×3, first 2 shown]
	ds_read_b128 v[6:9], v45 offset:112
	s_waitcnt lgkmcnt(1)
	v_add_f64 v[2:3], v[10:11], v[2:3]
	v_add_f64 v[4:5], v[12:13], v[4:5]
	s_waitcnt lgkmcnt(0)
	v_add_f64 v[2:3], v[2:3], v[6:7]
	v_add_f64 v[4:5], v[4:5], v[8:9]
.LBB128_96:
	s_or_b64 exec, exec, s[8:9]
	s_load_dwordx2 s[4:5], s[4:5], 0x78
	s_mul_hi_u32 s8, s33, s7
	s_mul_i32 s44, s44, s7
	s_add_i32 s8, s8, s44
	s_mul_i32 s7, s33, s7
	s_mul_i32 s8, s8, s52
	s_mul_hi_u32 s9, s7, s52
	s_add_i32 s9, s9, s8
	s_mul_i32 s8, s7, s52
	s_lshl_b64 s[8:9], s[8:9], 4
	s_waitcnt lgkmcnt(0)
	s_add_u32 s7, s4, s8
	s_mul_i32 s4, s33, s6
	s_addc_u32 s8, s5, s9
	s_ashr_i32 s5, s4, 31
	s_lshl_b64 s[4:5], s[4:5], 4
	s_add_u32 s7, s7, s4
	v_cmp_le_i32_e32 vcc, s22, v0
	s_addc_u32 s14, s8, s5
	s_and_b64 vcc, s[28:29], vcc
	s_cmp_lt_i32 s6, 1
	v_lshlrev_b32_e32 v148, 4, v0
	s_barrier
	s_cbranch_scc1 .LBB128_103
; %bb.97:
	s_mul_i32 s4, s48, s25
	s_mul_hi_u32 s5, s48, s24
	s_add_i32 s4, s5, s4
	s_mul_i32 s5, s49, s24
	s_add_i32 s5, s4, s5
	s_mul_i32 s4, s48, s24
	s_lshl_b64 s[4:5], s[4:5], 4
	v_mov_b32_e32 v6, s5
	v_subrev_co_u32_e64 v149, s[4:5], s4, v38
	v_lshlrev_b32_e32 v10, 2, v1
	v_subb_co_u32_e64 v150, s[4:5], v39, v6, s[4:5]
	v_mad_u64_u32 v[6:7], s[4:5], s40, v10, 0
	v_mov_b32_e32 v8, s27
	v_subrev_co_u32_e64 v11, s[4:5], s26, v42
	v_subb_co_u32_e64 v13, s[4:5], v43, v8, s[4:5]
	v_mad_u64_u32 v[7:8], s[4:5], s41, v10, v[7:8]
	v_sub_co_u32_e64 v8, s[4:5], v11, v40
	v_lshlrev_b64 v[6:7], 4, v[6:7]
	v_subb_co_u32_e64 v10, s[4:5], v13, v41, s[4:5]
	v_add_co_u32_e64 v6, s[4:5], v8, v6
	v_addc_co_u32_e64 v7, s[4:5], v10, v7, s[4:5]
	s_ashr_i32 s23, s22, 31
	s_lshl_b64 s[4:5], s[22:23], 4
	v_mov_b32_e32 v8, s5
	v_add_co_u32_e64 v10, s[4:5], s4, v6
	v_addc_co_u32_e64 v8, s[4:5], v7, v8, s[4:5]
	s_movk_i32 s4, 0xfdf0
	v_add_co_u32_e64 v10, s[4:5], s4, v10
	v_addc_co_u32_e64 v8, s[4:5], -1, v8, s[4:5]
	v_add_co_u32_e64 v6, s[4:5], v6, v148
	v_addc_co_u32_e64 v7, s[4:5], 0, v7, s[4:5]
	s_movk_i32 s4, 0xfe00
	v_add_co_u32_e64 v6, s[4:5], s4, v6
	v_addc_co_u32_e64 v7, s[4:5], -1, v7, s[4:5]
	v_cndmask_b32_e32 v11, v7, v8, vcc
	v_and_b32_e32 v7, 48, v0
	v_lshrrev_b32_e32 v9, 4, v44
	v_and_b32_e32 v12, 15, v0
	v_cndmask_b32_e32 v10, v6, v10, vcc
	v_mov_b32_e32 v6, 0x4300
	s_movk_i32 s8, 0x430
	v_lshlrev_b32_e32 v7, 4, v7
	v_lshl_add_u32 v152, v1, 6, v6
	v_lshlrev_b32_e32 v6, 6, v9
	v_mad_u32_u24 v156, v12, s8, v7
	v_or_b32_e32 v7, 0xf0, v148
	v_mad_u32_u24 v155, v12, s8, v6
	v_mad_u32_u24 v157, v12, s8, v7
	s_mul_i32 s8, s41, 0xd0
	s_mul_hi_u32 s9, s40, 0xd0
	s_movk_i32 s4, 0x10c0
	v_mul_i32_i24_e32 v6, 0xffffffd0, v9
	s_lshl_b64 s[10:11], s[40:41], 4
	s_add_i32 s15, s9, s8
	v_mov_b32_e32 v145, 0
	v_add_u32_e32 v151, 0x4300, v148
	v_add_u32_e32 v153, 0x4700, v148
	v_mad_u32_u24 v154, v1, s4, v148
	v_cmp_gt_u32_e64 s[4:5], 64, v44
	s_mul_i32 s16, s40, 0xd0
	s_mov_b32 s17, 0
	v_mov_b32_e32 v158, s11
	v_mov_b32_e32 v159, s15
	v_add_u32_e32 v160, v155, v6
	s_branch .LBB128_99
.LBB128_98:                             ;   in Loop: Header=BB128_99 Depth=1
	s_or_b64 exec, exec, s[12:13]
	v_mul_f64 v[86:87], v[8:9], v[36:37]
	v_mul_f64 v[36:37], v[6:7], v[36:37]
	;; [unrolled: 1-line block ×4, first 2 shown]
	s_add_i32 s17, s17, 64
	s_add_i32 s6, s6, -1
	s_cmp_eq_u32 s6, 0
	v_fma_f64 v[6:7], v[6:7], v[34:35], -v[86:87]
	v_fma_f64 v[8:9], v[8:9], v[34:35], v[36:37]
	v_mul_f64 v[34:35], v[16:17], v[28:29]
	v_mul_f64 v[28:29], v[14:15], v[28:29]
	v_fma_f64 v[18:19], v[18:19], v[30:31], -v[88:89]
	v_fma_f64 v[20:21], v[20:21], v[30:31], v[32:33]
	s_waitcnt vmcnt(0)
	s_barrier
	v_add_f64 v[2:3], v[2:3], v[6:7]
	v_add_f64 v[4:5], v[4:5], v[8:9]
	v_mul_f64 v[6:7], v[12:13], v[24:25]
	v_mul_f64 v[8:9], v[10:11], v[24:25]
	v_fma_f64 v[14:15], v[14:15], v[26:27], -v[34:35]
	v_fma_f64 v[16:17], v[16:17], v[26:27], v[28:29]
	v_add_f64 v[2:3], v[2:3], v[18:19]
	v_add_f64 v[4:5], v[4:5], v[20:21]
	v_mul_f64 v[18:19], v[48:49], v[84:85]
	v_mul_f64 v[20:21], v[46:47], v[84:85]
	v_fma_f64 v[6:7], v[10:11], v[22:23], -v[6:7]
	v_fma_f64 v[8:9], v[12:13], v[22:23], v[8:9]
	v_mul_f64 v[10:11], v[52:53], v[80:81]
	v_mul_f64 v[12:13], v[50:51], v[80:81]
	v_add_f64 v[2:3], v[2:3], v[14:15]
	v_add_f64 v[4:5], v[4:5], v[16:17]
	v_fma_f64 v[14:15], v[46:47], v[82:83], -v[18:19]
	v_fma_f64 v[16:17], v[48:49], v[82:83], v[20:21]
	v_fma_f64 v[10:11], v[50:51], v[78:79], -v[10:11]
	v_fma_f64 v[12:13], v[52:53], v[78:79], v[12:13]
	v_add_f64 v[2:3], v[2:3], v[6:7]
	v_add_f64 v[4:5], v[4:5], v[8:9]
	v_mul_f64 v[6:7], v[44:45], v[76:77]
	v_mul_f64 v[8:9], v[42:43], v[76:77]
	v_add_f64 v[2:3], v[2:3], v[14:15]
	v_add_f64 v[4:5], v[4:5], v[16:17]
	v_mul_f64 v[14:15], v[40:41], v[72:73]
	v_mul_f64 v[16:17], v[38:39], v[72:73]
	v_fma_f64 v[6:7], v[42:43], v[74:75], -v[6:7]
	v_fma_f64 v[8:9], v[44:45], v[74:75], v[8:9]
	v_add_f64 v[2:3], v[2:3], v[10:11]
	v_add_f64 v[4:5], v[4:5], v[12:13]
	v_mul_f64 v[10:11], v[64:65], v[124:125]
	v_mul_f64 v[12:13], v[62:63], v[124:125]
	v_fma_f64 v[14:15], v[38:39], v[70:71], -v[14:15]
	v_fma_f64 v[16:17], v[40:41], v[70:71], v[16:17]
	;; [unrolled: 6-line block ×9, first 2 shown]
	v_add_f64 v[2:3], v[2:3], v[14:15]
	v_add_f64 v[4:5], v[4:5], v[16:17]
	v_fma_f64 v[6:7], v[106:107], v[126:127], -v[6:7]
	v_fma_f64 v[8:9], v[108:109], v[126:127], v[8:9]
	v_add_f64 v[2:3], v[2:3], v[10:11]
	v_add_f64 v[4:5], v[4:5], v[12:13]
	v_add_co_u32_e64 v10, s[8:9], s16, v146
	v_add_f64 v[2:3], v[2:3], v[6:7]
	v_add_f64 v[4:5], v[4:5], v[8:9]
	v_mov_b32_e32 v6, s15
	v_addc_co_u32_e64 v11, s[8:9], v147, v6, s[8:9]
	s_cbranch_scc1 .LBB128_103
.LBB128_99:                             ; =>This Inner Loop Header: Depth=1
	s_and_saveexec_b64 s[12:13], s[2:3]
	s_cbranch_execz .LBB128_101
; %bb.100:                              ;   in Loop: Header=BB128_99 Depth=1
	s_mul_i32 s8, s49, s17
	s_mul_hi_u32 s9, s48, s17
	s_add_i32 s9, s9, s8
	s_mul_i32 s8, s48, s17
	s_lshl_b64 s[8:9], s[8:9], 4
	v_mov_b32_e32 v7, s9
	v_add_co_u32_e64 v6, s[8:9], s8, v149
	v_addc_co_u32_e64 v7, s[8:9], v150, v7, s[8:9]
	global_load_dwordx4 v[6:9], v[6:7], off
	s_waitcnt vmcnt(0)
	ds_write2_b64 v151, v[6:7], v[8:9] offset1:1
.LBB128_101:                            ;   in Loop: Header=BB128_99 Depth=1
	s_or_b64 exec, exec, s[12:13]
	s_waitcnt lgkmcnt(0)
	s_barrier
	global_load_dwordx4 v[6:9], v[10:11], off
	v_add_co_u32_e64 v10, s[8:9], s10, v10
	v_addc_co_u32_e64 v11, s[8:9], v11, v158, s[8:9]
	v_add_co_u32_e64 v12, s[8:9], s10, v10
	v_addc_co_u32_e64 v13, s[8:9], v11, v158, s[8:9]
	v_add_co_u32_e64 v42, s[8:9], s10, v12
	global_load_dwordx4 v[18:21], v[10:11], off
	global_load_dwordx4 v[14:17], v[12:13], off
	v_addc_co_u32_e64 v43, s[8:9], v13, v158, s[8:9]
	global_load_dwordx4 v[10:13], v[42:43], off
	ds_read_b128 v[38:41], v153
	ds_read_b128 v[34:37], v152
	ds_read_b128 v[30:33], v152 offset:16
	ds_read_b128 v[26:29], v152 offset:32
	;; [unrolled: 1-line block ×3, first 2 shown]
	v_add_co_u32_e64 v56, s[8:9], s16, v42
	v_addc_co_u32_e64 v57, s[8:9], v43, v159, s[8:9]
	v_add_co_u32_e64 v58, s[8:9], s10, v56
	v_addc_co_u32_e64 v59, s[8:9], v57, v158, s[8:9]
	s_waitcnt vmcnt(3) lgkmcnt(4)
	v_mul_f64 v[42:43], v[8:9], v[40:41]
	v_mul_f64 v[44:45], v[6:7], v[40:41]
	s_waitcnt vmcnt(2)
	v_mul_f64 v[46:47], v[20:21], v[40:41]
	v_mul_f64 v[48:49], v[18:19], v[40:41]
	s_waitcnt vmcnt(1)
	;; [unrolled: 3-line block ×3, first 2 shown]
	v_mul_f64 v[54:55], v[12:13], v[40:41]
	v_mul_f64 v[60:61], v[10:11], v[40:41]
	v_fma_f64 v[40:41], v[6:7], v[38:39], -v[42:43]
	v_fma_f64 v[42:43], v[8:9], v[38:39], v[44:45]
	v_fma_f64 v[44:45], v[18:19], v[38:39], -v[46:47]
	v_fma_f64 v[46:47], v[20:21], v[38:39], v[48:49]
	;; [unrolled: 2-line block ×4, first 2 shown]
	v_add_co_u32_e64 v38, s[8:9], s10, v58
	v_addc_co_u32_e64 v39, s[8:9], v59, v158, s[8:9]
	ds_write_b128 v154, v[40:43]
	ds_write_b128 v154, v[44:47] offset:1072
	ds_write_b128 v154, v[48:51] offset:2144
	;; [unrolled: 1-line block ×3, first 2 shown]
	v_add_co_u32_e64 v54, s[8:9], s10, v38
	s_waitcnt lgkmcnt(0)
	s_barrier
	ds_read_b128 v[126:129], v155
	ds_read_b128 v[130:133], v155 offset:16
	ds_read_b128 v[90:93], v155 offset:32
	;; [unrolled: 1-line block ×3, first 2 shown]
	s_waitcnt lgkmcnt(0)
	s_barrier
	global_load_dwordx4 v[46:49], v[56:57], off
	global_load_dwordx4 v[50:53], v[58:59], off
	;; [unrolled: 1-line block ×3, first 2 shown]
	v_addc_co_u32_e64 v55, s[8:9], v39, v158, s[8:9]
	global_load_dwordx4 v[38:41], v[54:55], off
	v_add_co_u32_e64 v68, s[8:9], s16, v54
	v_addc_co_u32_e64 v69, s[8:9], v55, v159, s[8:9]
	ds_read_b128 v[54:57], v153
	v_add_co_u32_e64 v98, s[8:9], s10, v68
	v_addc_co_u32_e64 v99, s[8:9], v69, v158, s[8:9]
	v_add_co_u32_e64 v100, s[8:9], s10, v98
	v_addc_co_u32_e64 v101, s[8:9], v99, v158, s[8:9]
	s_waitcnt vmcnt(3) lgkmcnt(0)
	v_mul_f64 v[58:59], v[48:49], v[56:57]
	v_mul_f64 v[60:61], v[46:47], v[56:57]
	s_waitcnt vmcnt(2)
	v_mul_f64 v[62:63], v[52:53], v[56:57]
	v_mul_f64 v[64:65], v[50:51], v[56:57]
	s_waitcnt vmcnt(1)
	;; [unrolled: 3-line block ×3, first 2 shown]
	v_mul_f64 v[72:73], v[40:41], v[56:57]
	v_mul_f64 v[74:75], v[38:39], v[56:57]
	v_fma_f64 v[56:57], v[46:47], v[54:55], -v[58:59]
	v_fma_f64 v[58:59], v[48:49], v[54:55], v[60:61]
	v_fma_f64 v[60:61], v[50:51], v[54:55], -v[62:63]
	v_fma_f64 v[62:63], v[52:53], v[54:55], v[64:65]
	;; [unrolled: 2-line block ×4, first 2 shown]
	ds_read_b128 v[82:85], v152 offset:256
	ds_read_b128 v[78:81], v152 offset:272
	;; [unrolled: 1-line block ×4, first 2 shown]
	ds_write_b128 v154, v[56:59]
	ds_write_b128 v154, v[60:63] offset:1072
	ds_write_b128 v154, v[64:67] offset:2144
	;; [unrolled: 1-line block ×3, first 2 shown]
	v_add_co_u32_e64 v94, s[8:9], s10, v100
	s_waitcnt lgkmcnt(0)
	s_barrier
	ds_read_b128 v[161:164], v155
	ds_read_b128 v[165:168], v155 offset:16
	ds_read_b128 v[169:172], v155 offset:32
	;; [unrolled: 1-line block ×3, first 2 shown]
	s_waitcnt lgkmcnt(0)
	s_barrier
	global_load_dwordx4 v[62:65], v[68:69], off
	global_load_dwordx4 v[58:61], v[98:99], off
	;; [unrolled: 1-line block ×3, first 2 shown]
	v_addc_co_u32_e64 v95, s[8:9], v101, v158, s[8:9]
	global_load_dwordx4 v[66:69], v[94:95], off
	v_add_co_u32_e64 v108, s[8:9], s16, v94
	v_addc_co_u32_e64 v109, s[8:9], v95, v159, s[8:9]
	ds_read_b128 v[94:97], v153
	v_add_co_u32_e64 v138, s[8:9], s10, v108
	v_addc_co_u32_e64 v139, s[8:9], v109, v158, s[8:9]
	v_add_co_u32_e64 v140, s[8:9], s10, v138
	v_addc_co_u32_e64 v141, s[8:9], v139, v158, s[8:9]
	;; [unrolled: 2-line block ×3, first 2 shown]
	v_add_f64 v[213:214], v[161:162], 0
	v_add_f64 v[165:166], v[213:214], v[165:166]
	;; [unrolled: 1-line block ×3, first 2 shown]
	s_waitcnt vmcnt(3) lgkmcnt(0)
	v_mul_f64 v[98:99], v[64:65], v[96:97]
	v_mul_f64 v[100:101], v[62:63], v[96:97]
	s_waitcnt vmcnt(2)
	v_mul_f64 v[102:103], v[60:61], v[96:97]
	v_mul_f64 v[104:105], v[58:59], v[96:97]
	s_waitcnt vmcnt(1)
	v_mul_f64 v[106:107], v[56:57], v[96:97]
	v_mul_f64 v[110:111], v[54:55], v[96:97]
	s_waitcnt vmcnt(0)
	v_mul_f64 v[112:113], v[68:69], v[96:97]
	v_mul_f64 v[114:115], v[66:67], v[96:97]
	v_fma_f64 v[96:97], v[62:63], v[94:95], -v[98:99]
	v_fma_f64 v[98:99], v[64:65], v[94:95], v[100:101]
	v_fma_f64 v[100:101], v[58:59], v[94:95], -v[102:103]
	v_fma_f64 v[102:103], v[60:61], v[94:95], v[104:105]
	;; [unrolled: 2-line block ×4, first 2 shown]
	ds_read_b128 v[122:125], v152 offset:512
	ds_read_b128 v[118:121], v152 offset:528
	;; [unrolled: 1-line block ×4, first 2 shown]
	ds_write_b128 v154, v[96:99]
	ds_write_b128 v154, v[100:103] offset:1072
	ds_write_b128 v154, v[104:107] offset:2144
	;; [unrolled: 1-line block ×3, first 2 shown]
	s_waitcnt lgkmcnt(0)
	s_barrier
	ds_read_b128 v[177:180], v155
	ds_read_b128 v[181:184], v155 offset:16
	ds_read_b128 v[185:188], v155 offset:32
	ds_read_b128 v[189:192], v155 offset:48
	s_waitcnt lgkmcnt(0)
	s_barrier
	global_load_dwordx4 v[98:101], v[108:109], off
	global_load_dwordx4 v[94:97], v[138:139], off
	global_load_dwordx4 v[102:105], v[140:141], off
	v_add_f64 v[134:135], v[126:127], 0
	global_load_dwordx4 v[106:109], v[146:147], off
	v_add_f64 v[136:137], v[128:129], 0
	ds_read_b128 v[126:129], v153
	v_add_f64 v[177:178], v[177:178], 0
	v_add_f64 v[179:180], v[179:180], 0
	;; [unrolled: 1-line block ×9, first 2 shown]
	s_waitcnt vmcnt(3) lgkmcnt(0)
	v_mul_f64 v[130:131], v[100:101], v[128:129]
	v_mul_f64 v[132:133], v[98:99], v[128:129]
	s_waitcnt vmcnt(2)
	v_mul_f64 v[134:135], v[96:97], v[128:129]
	v_mul_f64 v[136:137], v[94:95], v[128:129]
	s_waitcnt vmcnt(1)
	;; [unrolled: 3-line block ×3, first 2 shown]
	v_mul_f64 v[161:162], v[108:109], v[128:129]
	v_mul_f64 v[128:129], v[106:107], v[128:129]
	v_fma_f64 v[193:194], v[98:99], v[126:127], -v[130:131]
	v_fma_f64 v[195:196], v[100:101], v[126:127], v[132:133]
	v_fma_f64 v[197:198], v[94:95], v[126:127], -v[134:135]
	v_fma_f64 v[199:200], v[96:97], v[126:127], v[136:137]
	;; [unrolled: 2-line block ×4, first 2 shown]
	ds_read_b128 v[138:141], v152 offset:768
	ds_read_b128 v[134:137], v152 offset:784
	;; [unrolled: 1-line block ×4, first 2 shown]
	ds_write_b128 v154, v[193:196]
	ds_write_b128 v154, v[197:200] offset:1072
	ds_write_b128 v154, v[201:204] offset:2144
	ds_write_b128 v154, v[205:208] offset:3216
	s_waitcnt lgkmcnt(0)
	s_barrier
	ds_read_b128 v[193:196], v155
	v_add_f64 v[197:198], v[163:164], 0
	ds_read_b128 v[161:164], v155 offset:16
	v_add_f64 v[199:200], v[209:210], v[90:91]
	ds_read_b128 v[90:93], v155 offset:32
	s_waitcnt lgkmcnt(2)
	v_add_f64 v[193:194], v[193:194], 0
	v_add_f64 v[195:196], v[195:196], 0
	;; [unrolled: 1-line block ×4, first 2 shown]
	s_waitcnt lgkmcnt(1)
	v_add_f64 v[183:184], v[193:194], v[161:162]
	v_add_f64 v[193:194], v[195:196], v[163:164]
	ds_read_b128 v[161:164], v155 offset:48
	s_waitcnt lgkmcnt(0)
	v_add_f64 v[167:168], v[167:168], v[171:172]
	v_add_f64 v[171:172], v[179:180], v[187:188]
	s_barrier
	v_add_f64 v[177:178], v[183:184], v[90:91]
	v_add_f64 v[179:180], v[193:194], v[92:93]
	;; [unrolled: 1-line block ×8, first 2 shown]
	ds_write_b128 v160, v[86:89]
	ds_write_b128 v160, v[90:93] offset:256
	ds_write_b128 v160, v[165:168] offset:512
	;; [unrolled: 1-line block ×3, first 2 shown]
	s_waitcnt lgkmcnt(0)
	s_barrier
	s_and_saveexec_b64 s[12:13], s[4:5]
	s_cbranch_execz .LBB128_98
; %bb.102:                              ;   in Loop: Header=BB128_99 Depth=1
	ds_read_b128 v[86:89], v156
	ds_read_b128 v[90:93], v156 offset:16
	v_add_u32_e32 v144, s17, v0
	s_waitcnt lgkmcnt(0)
	v_add_f64 v[161:162], v[90:91], v[86:87]
	v_add_f64 v[163:164], v[92:93], v[88:89]
	ds_read_b128 v[86:89], v156 offset:32
	ds_read_b128 v[90:93], v156 offset:48
	s_waitcnt lgkmcnt(1)
	v_add_f64 v[86:87], v[161:162], v[86:87]
	v_add_f64 v[88:89], v[163:164], v[88:89]
	s_waitcnt lgkmcnt(0)
	v_add_f64 v[161:162], v[86:87], v[90:91]
	v_add_f64 v[163:164], v[88:89], v[92:93]
	ds_read_b128 v[86:89], v156 offset:64
	ds_read_b128 v[90:93], v156 offset:80
	s_waitcnt lgkmcnt(1)
	v_add_f64 v[86:87], v[161:162], v[86:87]
	v_add_f64 v[88:89], v[163:164], v[88:89]
	;; [unrolled: 8-line block ×6, first 2 shown]
	s_waitcnt lgkmcnt(0)
	v_add_f64 v[161:162], v[86:87], v[90:91]
	v_add_f64 v[163:164], v[88:89], v[92:93]
	ds_read_b128 v[86:89], v156 offset:224
	ds_read_b128 v[90:93], v157
	s_waitcnt lgkmcnt(1)
	v_add_f64 v[86:87], v[161:162], v[86:87]
	v_add_f64 v[88:89], v[163:164], v[88:89]
	s_waitcnt lgkmcnt(0)
	v_add_f64 v[86:87], v[86:87], v[90:91]
	v_add_f64 v[88:89], v[88:89], v[92:93]
	v_lshlrev_b64 v[90:91], 4, v[144:145]
	v_mov_b32_e32 v92, s14
	v_add_co_u32_e64 v90, s[8:9], s7, v90
	v_addc_co_u32_e64 v91, s[8:9], v92, v91, s[8:9]
	global_store_dwordx4 v[90:91], v[86:89], off
	s_branch .LBB128_98
.LBB128_103:
	s_movk_i32 s2, 0x430
	v_mad_u32_u24 v0, v1, s2, v148
	s_nor_b64 s[0:1], s[0:1], vcc
	ds_write_b128 v0, v[2:5]
	s_waitcnt lgkmcnt(0)
	s_barrier
	s_and_saveexec_b64 s[2:3], s[0:1]
	s_cbranch_execz .LBB128_105
; %bb.104:
	ds_read_b128 v[0:3], v148 offset:1072
	ds_read_b128 v[4:7], v148
	s_waitcnt lgkmcnt(0)
	v_add_f64 v[8:9], v[0:1], v[4:5]
	v_add_f64 v[10:11], v[2:3], v[6:7]
	ds_read_b128 v[0:3], v148 offset:2144
	ds_read_b128 v[4:7], v148 offset:3216
	s_waitcnt lgkmcnt(1)
	v_add_f64 v[0:1], v[8:9], v[0:1]
	v_add_f64 v[2:3], v[10:11], v[2:3]
	s_waitcnt lgkmcnt(0)
	v_add_f64 v[0:1], v[0:1], v[4:5]
	v_add_f64 v[2:3], v[2:3], v[6:7]
	v_lshlrev_b64 v[4:5], 4, v[142:143]
	v_mov_b32_e32 v6, s14
	v_add_co_u32_e32 v4, vcc, s7, v4
	v_addc_co_u32_e32 v5, vcc, v6, v5, vcc
	global_store_dwordx4 v[4:5], v[0:3], off
.LBB128_105:
	s_endpgm
	.section	.rodata,"a",@progbits
	.p2align	6, 0x0
	.amdhsa_kernel _ZL26rocblas_hemvn_kernel_lowerILb0ELi64ELi4ELi33ELi32ELi16El19rocblas_complex_numIdEPKS1_PS1_EviT6_lT7_lT5_lS6_lS7_lS5_lT8_i
		.amdhsa_group_segment_fixed_size 19200
		.amdhsa_private_segment_fixed_size 0
		.amdhsa_kernarg_size 392
		.amdhsa_user_sgpr_count 6
		.amdhsa_user_sgpr_private_segment_buffer 1
		.amdhsa_user_sgpr_dispatch_ptr 0
		.amdhsa_user_sgpr_queue_ptr 0
		.amdhsa_user_sgpr_kernarg_segment_ptr 1
		.amdhsa_user_sgpr_dispatch_id 0
		.amdhsa_user_sgpr_flat_scratch_init 0
		.amdhsa_user_sgpr_private_segment_size 0
		.amdhsa_uses_dynamic_stack 0
		.amdhsa_system_sgpr_private_segment_wavefront_offset 0
		.amdhsa_system_sgpr_workgroup_id_x 1
		.amdhsa_system_sgpr_workgroup_id_y 0
		.amdhsa_system_sgpr_workgroup_id_z 1
		.amdhsa_system_sgpr_workgroup_info 0
		.amdhsa_system_vgpr_workitem_id 1
		.amdhsa_next_free_vgpr 215
		.amdhsa_next_free_sgpr 98
		.amdhsa_reserve_vcc 1
		.amdhsa_reserve_flat_scratch 0
		.amdhsa_float_round_mode_32 0
		.amdhsa_float_round_mode_16_64 0
		.amdhsa_float_denorm_mode_32 3
		.amdhsa_float_denorm_mode_16_64 3
		.amdhsa_dx10_clamp 1
		.amdhsa_ieee_mode 1
		.amdhsa_fp16_overflow 0
		.amdhsa_exception_fp_ieee_invalid_op 0
		.amdhsa_exception_fp_denorm_src 0
		.amdhsa_exception_fp_ieee_div_zero 0
		.amdhsa_exception_fp_ieee_overflow 0
		.amdhsa_exception_fp_ieee_underflow 0
		.amdhsa_exception_fp_ieee_inexact 0
		.amdhsa_exception_int_div_zero 0
	.end_amdhsa_kernel
	.section	.text._ZL26rocblas_hemvn_kernel_lowerILb0ELi64ELi4ELi33ELi32ELi16El19rocblas_complex_numIdEPKS1_PS1_EviT6_lT7_lT5_lS6_lS7_lS5_lT8_i,"axG",@progbits,_ZL26rocblas_hemvn_kernel_lowerILb0ELi64ELi4ELi33ELi32ELi16El19rocblas_complex_numIdEPKS1_PS1_EviT6_lT7_lT5_lS6_lS7_lS5_lT8_i,comdat
.Lfunc_end128:
	.size	_ZL26rocblas_hemvn_kernel_lowerILb0ELi64ELi4ELi33ELi32ELi16El19rocblas_complex_numIdEPKS1_PS1_EviT6_lT7_lT5_lS6_lS7_lS5_lT8_i, .Lfunc_end128-_ZL26rocblas_hemvn_kernel_lowerILb0ELi64ELi4ELi33ELi32ELi16El19rocblas_complex_numIdEPKS1_PS1_EviT6_lT7_lT5_lS6_lS7_lS5_lT8_i
                                        ; -- End function
	.set _ZL26rocblas_hemvn_kernel_lowerILb0ELi64ELi4ELi33ELi32ELi16El19rocblas_complex_numIdEPKS1_PS1_EviT6_lT7_lT5_lS6_lS7_lS5_lT8_i.num_vgpr, 215
	.set _ZL26rocblas_hemvn_kernel_lowerILb0ELi64ELi4ELi33ELi32ELi16El19rocblas_complex_numIdEPKS1_PS1_EviT6_lT7_lT5_lS6_lS7_lS5_lT8_i.num_agpr, 0
	.set _ZL26rocblas_hemvn_kernel_lowerILb0ELi64ELi4ELi33ELi32ELi16El19rocblas_complex_numIdEPKS1_PS1_EviT6_lT7_lT5_lS6_lS7_lS5_lT8_i.numbered_sgpr, 53
	.set _ZL26rocblas_hemvn_kernel_lowerILb0ELi64ELi4ELi33ELi32ELi16El19rocblas_complex_numIdEPKS1_PS1_EviT6_lT7_lT5_lS6_lS7_lS5_lT8_i.num_named_barrier, 0
	.set _ZL26rocblas_hemvn_kernel_lowerILb0ELi64ELi4ELi33ELi32ELi16El19rocblas_complex_numIdEPKS1_PS1_EviT6_lT7_lT5_lS6_lS7_lS5_lT8_i.private_seg_size, 0
	.set _ZL26rocblas_hemvn_kernel_lowerILb0ELi64ELi4ELi33ELi32ELi16El19rocblas_complex_numIdEPKS1_PS1_EviT6_lT7_lT5_lS6_lS7_lS5_lT8_i.uses_vcc, 1
	.set _ZL26rocblas_hemvn_kernel_lowerILb0ELi64ELi4ELi33ELi32ELi16El19rocblas_complex_numIdEPKS1_PS1_EviT6_lT7_lT5_lS6_lS7_lS5_lT8_i.uses_flat_scratch, 0
	.set _ZL26rocblas_hemvn_kernel_lowerILb0ELi64ELi4ELi33ELi32ELi16El19rocblas_complex_numIdEPKS1_PS1_EviT6_lT7_lT5_lS6_lS7_lS5_lT8_i.has_dyn_sized_stack, 0
	.set _ZL26rocblas_hemvn_kernel_lowerILb0ELi64ELi4ELi33ELi32ELi16El19rocblas_complex_numIdEPKS1_PS1_EviT6_lT7_lT5_lS6_lS7_lS5_lT8_i.has_recursion, 0
	.set _ZL26rocblas_hemvn_kernel_lowerILb0ELi64ELi4ELi33ELi32ELi16El19rocblas_complex_numIdEPKS1_PS1_EviT6_lT7_lT5_lS6_lS7_lS5_lT8_i.has_indirect_call, 0
	.section	.AMDGPU.csdata,"",@progbits
; Kernel info:
; codeLenInByte = 9408
; TotalNumSgprs: 57
; NumVgprs: 215
; ScratchSize: 0
; MemoryBound: 0
; FloatMode: 240
; IeeeMode: 1
; LDSByteSize: 19200 bytes/workgroup (compile time only)
; SGPRBlocks: 12
; VGPRBlocks: 53
; NumSGPRsForWavesPerEU: 102
; NumVGPRsForWavesPerEU: 215
; Occupancy: 1
; WaveLimiterHint : 0
; COMPUTE_PGM_RSRC2:SCRATCH_EN: 0
; COMPUTE_PGM_RSRC2:USER_SGPR: 6
; COMPUTE_PGM_RSRC2:TRAP_HANDLER: 0
; COMPUTE_PGM_RSRC2:TGID_X_EN: 1
; COMPUTE_PGM_RSRC2:TGID_Y_EN: 0
; COMPUTE_PGM_RSRC2:TGID_Z_EN: 1
; COMPUTE_PGM_RSRC2:TIDIG_COMP_CNT: 1
	.section	.text._ZL26rocblas_hemvn_kernel_lowerILb0ELi64ELi4ELi33ELi32ELi16Ei19rocblas_complex_numIdEPKS1_PS1_EviT6_lT7_lT5_lS6_lS7_lS5_lT8_i,"axG",@progbits,_ZL26rocblas_hemvn_kernel_lowerILb0ELi64ELi4ELi33ELi32ELi16Ei19rocblas_complex_numIdEPKS1_PS1_EviT6_lT7_lT5_lS6_lS7_lS5_lT8_i,comdat
	.globl	_ZL26rocblas_hemvn_kernel_lowerILb0ELi64ELi4ELi33ELi32ELi16Ei19rocblas_complex_numIdEPKS1_PS1_EviT6_lT7_lT5_lS6_lS7_lS5_lT8_i ; -- Begin function _ZL26rocblas_hemvn_kernel_lowerILb0ELi64ELi4ELi33ELi32ELi16Ei19rocblas_complex_numIdEPKS1_PS1_EviT6_lT7_lT5_lS6_lS7_lS5_lT8_i
	.p2align	8
	.type	_ZL26rocblas_hemvn_kernel_lowerILb0ELi64ELi4ELi33ELi32ELi16Ei19rocblas_complex_numIdEPKS1_PS1_EviT6_lT7_lT5_lS6_lS7_lS5_lT8_i,@function
_ZL26rocblas_hemvn_kernel_lowerILb0ELi64ELi4ELi33ELi32ELi16Ei19rocblas_complex_numIdEPKS1_PS1_EviT6_lT7_lT5_lS6_lS7_lS5_lT8_i: ; @_ZL26rocblas_hemvn_kernel_lowerILb0ELi64ELi4ELi33ELi32ELi16Ei19rocblas_complex_numIdEPKS1_PS1_EviT6_lT7_lT5_lS6_lS7_lS5_lT8_i
; %bb.0:
	s_load_dwordx2 s[0:1], s[4:5], 0x94
	s_add_u32 s12, s4, 0x88
	s_addc_u32 s13, s5, 0
	s_waitcnt lgkmcnt(0)
	s_lshr_b32 s2, s0, 16
	s_and_b32 s0, s0, 0xffff
	s_and_b32 s1, s1, 0xffff
	s_mul_i32 s0, s2, s0
	s_mul_i32 s0, s0, s1
	s_cmpk_lg_i32 s0, 0x100
	s_cbranch_scc1 .LBB129_105
; %bb.1:
	s_load_dwordx4 s[0:3], s[4:5], 0x8
	v_mov_b32_e32 v2, v1
	s_waitcnt lgkmcnt(0)
	v_cmp_neq_f64_e64 s[8:9], s[0:1], 0
	v_cmp_neq_f64_e64 s[14:15], s[2:3], 0
	s_load_dwordx4 s[0:3], s[4:5], 0x58
	s_load_dwordx2 s[10:11], s[4:5], 0x68
	s_or_b64 s[8:9], s[8:9], s[14:15]
	s_mov_b64 s[14:15], -1
	s_and_b64 vcc, exec, s[8:9]
	s_cbranch_vccnz .LBB129_3
; %bb.2:
	s_waitcnt lgkmcnt(0)
	v_cmp_neq_f64_e64 s[2:3], s[2:3], 1.0
	v_cmp_neq_f64_e64 s[10:11], s[10:11], 0
	s_or_b64 s[14:15], s[2:3], s[10:11]
.LBB129_3:
	s_andn2_b64 vcc, exec, s[14:15]
	s_cbranch_vccnz .LBB129_105
; %bb.4:
	s_andn2_b64 vcc, exec, s[8:9]
	s_cbranch_vccnz .LBB129_105
; %bb.5:
	s_load_dword s41, s[12:13], 0x0
	s_load_dword s40, s[4:5], 0x0
	s_waitcnt lgkmcnt(0)
	s_load_dwordx4 s[8:11], s[4:5], 0x38
	s_load_dwordx2 s[2:3], s[4:5], 0x48
	s_load_dword s33, s[4:5], 0x50
	s_mul_i32 s1, s1, s7
	s_mul_hi_u32 s12, s0, s7
	s_add_i32 s1, s12, s1
	s_mul_i32 s0, s0, s7
	s_lshl_b64 s[0:1], s[0:1], 4
	s_waitcnt lgkmcnt(0)
	s_add_u32 s10, s10, s0
	s_addc_u32 s11, s11, s1
	s_lshl_b64 s[0:1], s[2:3], 4
	s_add_u32 s0, s10, s0
	s_addc_u32 s1, s11, s1
	s_lshl_b32 s24, s6, 6
	v_add_u32_e32 v143, s24, v0
	v_mul_lo_u32 v3, s33, v143
	s_ashr_i32 s42, s40, 31
	s_lshr_b32 s3, s42, 26
	s_add_i32 s3, s40, s3
	v_ashrrev_i32_e32 v4, 31, v3
	s_andn2_b32 s3, s3, 63
	v_lshlrev_b64 v[3:4], 4, v[3:4]
	s_add_i32 s2, s41, -1
	s_sub_i32 s3, s40, s3
	s_cmp_eq_u32 s6, s2
	v_mov_b32_e32 v1, s1
	v_add_co_u32_e32 v39, vcc, s0, v3
	s_cselect_b32 s22, s3, 0
	v_addc_co_u32_e32 v40, vcc, v1, v4, vcc
	v_cmp_ne_u32_e64 s[0:1], 0, v2
	v_cmp_eq_u32_e64 s[2:3], 0, v2
	s_and_saveexec_b64 s[10:11], s[2:3]
	s_cbranch_execz .LBB129_10
; %bb.6:
	s_cmp_lg_u32 s22, 0
	s_cselect_b64 s[12:13], -1, 0
	v_cmp_le_i32_e32 vcc, s22, v0
	v_mov_b32_e32 v1, 0x4700
	s_and_b64 s[12:13], s[12:13], vcc
	v_lshl_add_u32 v1, v0, 4, v1
	s_and_saveexec_b64 s[14:15], s[12:13]
	s_xor_b64 s[12:13], exec, s[14:15]
; %bb.7:
	v_mov_b32_e32 v3, 0
	v_mov_b32_e32 v4, v3
	v_mov_b32_e32 v5, v3
	v_mov_b32_e32 v6, v3
	ds_write_b128 v1, v[3:6]
                                        ; implicit-def: $vgpr1
; %bb.8:
	s_andn2_saveexec_b64 s[12:13], s[12:13]
	s_cbranch_execz .LBB129_10
; %bb.9:
	global_load_dwordx4 v[3:6], v[39:40], off
	s_waitcnt vmcnt(0)
	ds_write2_b64 v1, v[3:4], v[5:6] offset1:1
.LBB129_10:
	s_or_b64 exec, exec, s[10:11]
	s_load_dwordx4 s[12:15], s[4:5], 0x20
	s_load_dword s26, s[4:5], 0x30
	s_mul_i32 s9, s9, s7
	s_mul_hi_u32 s10, s8, s7
	s_add_i32 s9, s10, s9
	s_mul_i32 s8, s8, s7
	s_lshl_b64 s[8:9], s[8:9], 4
	s_waitcnt lgkmcnt(0)
	s_add_u32 s10, s12, s8
	v_lshl_add_u32 v45, v2, 6, v0
	s_addc_u32 s11, s13, s9
	s_lshl_b64 s[8:9], s[14:15], 4
	v_and_b32_e32 v1, 31, v0
	v_lshrrev_b32_e32 v11, 5, v45
	s_add_u32 s10, s10, s8
	s_addc_u32 s11, s11, s9
	v_mad_u64_u32 v[3:4], s[8:9], s26, v11, v[1:2]
	s_ashr_i32 s25, s24, 31
	s_lshl_b64 s[8:9], s[24:25], 4
	v_ashrrev_i32_e32 v4, 31, v3
	v_lshlrev_b64 v[41:42], 4, v[3:4]
	s_add_u32 s8, s10, s8
	s_addc_u32 s9, s11, s9
	v_add_co_u32_e32 v4, vcc, s8, v41
	s_mul_i32 s8, s26, s24
	v_mov_b32_e32 v3, s9
	s_ashr_i32 s9, s8, 31
	v_addc_co_u32_e32 v3, vcc, v3, v42, vcc
	s_lshl_b64 s[28:29], s[8:9], 4
	v_mov_b32_e32 v5, s29
	v_add_co_u32_e32 v7, vcc, s28, v4
	s_cmp_lg_u32 s22, 0
	v_addc_co_u32_e32 v8, vcc, v3, v5, vcc
	s_cselect_b64 s[30:31], -1, 0
	s_cmp_eq_u32 s22, 0
	s_cselect_b64 s[18:19], -1, 0
	s_mov_b64 s[8:9], -1
	s_and_b64 vcc, exec, s[30:31]
	s_cbranch_vccnz .LBB129_12
; %bb.11:
	s_lshl_b32 s8, s26, 3
	s_ashr_i32 s9, s8, 31
	s_lshl_b64 s[8:9], s[8:9], 4
	v_mov_b32_e32 v10, s9
	v_add_co_u32_e32 v9, vcc, s8, v7
	s_ashr_i32 s27, s26, 31
	v_addc_co_u32_e32 v10, vcc, v8, v10, vcc
	s_lshl_b64 s[8:9], s[26:27], 7
	v_mov_b32_e32 v22, s9
	v_add_co_u32_e32 v20, vcc, s8, v9
	global_load_dwordx4 v[3:6], v[7:8], off
	v_addc_co_u32_e32 v21, vcc, v10, v22, vcc
	global_load_dwordx4 v[12:15], v[9:10], off
	global_load_dwordx4 v[16:19], v[20:21], off
	v_add_co_u32_e32 v9, vcc, s8, v20
	v_addc_co_u32_e32 v10, vcc, v21, v22, vcc
	global_load_dwordx4 v[20:23], v[9:10], off
	v_mul_u32_u24_e32 v9, 0x210, v11
	v_lshl_add_u32 v9, v1, 4, v9
	s_mov_b64 s[8:9], 0
	v_add_u32_e32 v10, 0x1080, v9
	v_add_u32_e32 v24, 0x2100, v9
	;; [unrolled: 1-line block ×3, first 2 shown]
	s_waitcnt vmcnt(3)
	ds_write2_b64 v9, v[3:4], v[5:6] offset1:1
	s_waitcnt vmcnt(2)
	ds_write2_b64 v10, v[12:13], v[14:15] offset1:1
	;; [unrolled: 2-line block ×4, first 2 shown]
.LBB129_12:
	s_andn2_b64 vcc, exec, s[8:9]
	v_lshlrev_b32_e32 v12, 4, v1
	s_cbranch_vccnz .LBB129_30
; %bb.13:
	v_sub_co_u32_e32 v3, vcc, v7, v12
	s_ashr_i32 s23, s22, 31
	v_subbrev_co_u32_e32 v4, vcc, 0, v8, vcc
	s_lshl_b64 s[10:11], s[22:23], 4
	v_mov_b32_e32 v5, s11
	v_add_co_u32_e32 v3, vcc, s10, v3
	v_addc_co_u32_e32 v4, vcc, v4, v5, vcc
	v_add_co_u32_e32 v3, vcc, -16, v3
	v_addc_co_u32_e32 v4, vcc, -1, v4, vcc
	v_cmp_gt_i32_e32 vcc, s22, v1
	s_movk_i32 s12, 0x210
	v_cndmask_b32_e32 v4, v4, v8, vcc
	v_cndmask_b32_e32 v3, v3, v7, vcc
	v_cmp_le_i32_e64 s[8:9], s22, v11
	v_mad_u32_u24 v5, v11, s12, v12
	s_and_saveexec_b64 s[12:13], s[8:9]
	s_xor_b64 s[8:9], exec, s[12:13]
; %bb.14:
	v_mov_b32_e32 v13, 0
	v_mov_b32_e32 v14, v13
	;; [unrolled: 1-line block ×4, first 2 shown]
	ds_write_b128 v5, v[13:16]
                                        ; implicit-def: $vgpr5
; %bb.15:
	s_andn2_saveexec_b64 s[8:9], s[8:9]
	s_cbranch_execz .LBB129_17
; %bb.16:
	global_load_dwordx4 v[13:16], v[3:4], off
	s_waitcnt vmcnt(0)
	ds_write2_b64 v5, v[13:14], v[15:16] offset1:1
.LBB129_17:
	s_or_b64 exec, exec, s[8:9]
	v_add_u32_e32 v6, 8, v11
	v_mul_u32_u24_e32 v5, 0x210, v11
	v_cmp_le_i32_e64 s[8:9], s22, v6
	s_and_saveexec_b64 s[12:13], s[8:9]
	s_xor_b64 s[8:9], exec, s[12:13]
	s_cbranch_execz .LBB129_19
; %bb.18:
	v_mov_b32_e32 v13, 0
	v_add_u32_e32 v6, v5, v12
	v_mov_b32_e32 v14, v13
	v_mov_b32_e32 v15, v13
	;; [unrolled: 1-line block ×3, first 2 shown]
	ds_write_b128 v6, v[13:16] offset:4224
.LBB129_19:
	s_andn2_saveexec_b64 s[12:13], s[8:9]
	s_cbranch_execz .LBB129_21
; %bb.20:
	s_lshl_b32 s8, s26, 3
	s_ashr_i32 s9, s8, 31
	s_lshl_b64 s[8:9], s[8:9], 4
	v_mov_b32_e32 v6, s9
	v_add_co_u32_e64 v9, s[8:9], s8, v3
	v_addc_co_u32_e64 v10, s[8:9], v4, v6, s[8:9]
	global_load_dwordx4 v[13:16], v[9:10], off
	s_movk_i32 s8, 0x1080
	v_add3_u32 v6, v5, v12, s8
	s_waitcnt vmcnt(0)
	ds_write2_b64 v6, v[13:14], v[15:16] offset1:1
.LBB129_21:
	s_or_b64 exec, exec, s[12:13]
	v_add_u32_e32 v6, 16, v11
	v_cmp_le_i32_e64 s[8:9], s22, v6
	s_and_saveexec_b64 s[12:13], s[8:9]
	s_xor_b64 s[8:9], exec, s[12:13]
	s_cbranch_execz .LBB129_23
; %bb.22:
	v_mov_b32_e32 v13, 0
	v_add_u32_e32 v6, v5, v12
	v_mov_b32_e32 v14, v13
	v_mov_b32_e32 v15, v13
	;; [unrolled: 1-line block ×3, first 2 shown]
	ds_write_b128 v6, v[13:16] offset:8448
.LBB129_23:
	s_andn2_saveexec_b64 s[12:13], s[8:9]
	s_cbranch_execz .LBB129_25
; %bb.24:
	s_lshl_b32 s8, s26, 4
	s_ashr_i32 s9, s8, 31
	s_lshl_b64 s[8:9], s[8:9], 4
	v_mov_b32_e32 v6, s9
	v_add_co_u32_e64 v9, s[8:9], s8, v3
	v_addc_co_u32_e64 v10, s[8:9], v4, v6, s[8:9]
	global_load_dwordx4 v[13:16], v[9:10], off
	s_movk_i32 s8, 0x2100
	v_add3_u32 v6, v5, v12, s8
	s_waitcnt vmcnt(0)
	ds_write2_b64 v6, v[13:14], v[15:16] offset1:1
.LBB129_25:
	s_or_b64 exec, exec, s[12:13]
	v_add_u32_e32 v6, 24, v11
	v_cmp_le_i32_e64 s[8:9], s22, v6
	s_and_saveexec_b64 s[12:13], s[8:9]
	s_xor_b64 s[8:9], exec, s[12:13]
	s_cbranch_execz .LBB129_27
; %bb.26:
	v_mov_b32_e32 v13, 0
	v_add_u32_e32 v5, v5, v12
	v_mov_b32_e32 v14, v13
	v_mov_b32_e32 v15, v13
	;; [unrolled: 1-line block ×3, first 2 shown]
	ds_write_b128 v5, v[13:16] offset:12672
                                        ; implicit-def: $vgpr5
.LBB129_27:
	s_andn2_saveexec_b64 s[12:13], s[8:9]
	s_cbranch_execz .LBB129_29
; %bb.28:
	s_mul_i32 s8, s26, 24
	s_ashr_i32 s9, s8, 31
	s_lshl_b64 s[8:9], s[8:9], 4
	v_mov_b32_e32 v6, s9
	v_add_co_u32_e64 v9, s[8:9], s8, v3
	v_addc_co_u32_e64 v10, s[8:9], v4, v6, s[8:9]
	global_load_dwordx4 v[13:16], v[9:10], off
	s_movk_i32 s8, 0x3180
	v_add3_u32 v5, v5, v12, s8
	s_waitcnt vmcnt(0)
	ds_write2_b64 v5, v[13:14], v[15:16] offset1:1
.LBB129_29:
	s_or_b64 exec, exec, s[12:13]
	v_add_co_u32_e64 v3, s[8:9], v3, v12
	v_addc_co_u32_e64 v4, s[8:9], 0, v4, s[8:9]
	v_mov_b32_e32 v5, s11
	v_subrev_co_u32_e64 v3, s[8:9], s10, v3
	v_subb_co_u32_e64 v4, s[8:9], v4, v5, s[8:9]
	v_add_co_u32_e64 v3, s[8:9], 16, v3
	v_addc_co_u32_e64 v4, s[8:9], 0, v4, s[8:9]
	v_cndmask_b32_e32 v8, v4, v8, vcc
	v_cndmask_b32_e32 v7, v3, v7, vcc
.LBB129_30:
	v_lshlrev_b32_e32 v13, 2, v11
	v_lshl_or_b32 v5, v1, 9, v12
	v_cmp_lt_u32_e64 s[8:9], v13, v1
	s_waitcnt lgkmcnt(0)
	s_barrier
	s_and_saveexec_b64 s[10:11], s[8:9]
	s_cbranch_execz .LBB129_32
; %bb.31:
	s_movk_i32 s12, 0x840
	v_mad_u32_u24 v3, v11, s12, v12
	ds_read_b128 v[14:17], v3
	v_lshl_add_u32 v3, v13, 4, v5
	s_waitcnt lgkmcnt(0)
	ds_write_b128 v3, v[14:17]
.LBB129_32:
	s_or_b64 exec, exec, s[10:11]
	v_or_b32_e32 v3, 1, v13
	v_cmp_lt_u32_e64 s[10:11], v3, v1
	s_and_saveexec_b64 s[12:13], s[10:11]
	s_cbranch_execz .LBB129_34
; %bb.33:
	s_movk_i32 s14, 0x210
	v_mad_u32_u24 v4, v3, s14, v12
	ds_read_b128 v[14:17], v4
	v_lshl_add_u32 v4, v13, 4, v5
	s_waitcnt lgkmcnt(0)
	ds_write_b128 v4, v[14:17] offset:16
.LBB129_34:
	s_or_b64 exec, exec, s[12:13]
	v_or_b32_e32 v4, 2, v13
	v_cmp_lt_u32_e64 s[12:13], v4, v1
	s_and_saveexec_b64 s[14:15], s[12:13]
	s_cbranch_execz .LBB129_36
; %bb.35:
	s_movk_i32 s16, 0x210
	v_mad_u32_u24 v4, v4, s16, v12
	ds_read_b128 v[14:17], v4
	v_lshl_add_u32 v4, v13, 4, v5
	s_waitcnt lgkmcnt(0)
	ds_write_b128 v4, v[14:17] offset:32
.LBB129_36:
	s_or_b64 exec, exec, s[14:15]
	v_or_b32_e32 v6, 3, v13
	v_cmp_lt_u32_e64 s[14:15], v6, v1
	v_cmp_ge_u32_e32 vcc, v6, v1
                                        ; implicit-def: $vgpr4
	s_and_saveexec_b64 s[16:17], vcc
	s_xor_b64 s[16:17], exec, s[16:17]
; %bb.37:
	v_mul_u32_u24_e32 v4, 0x210, v6
                                        ; implicit-def: $vgpr5
                                        ; implicit-def: $vgpr6
; %bb.38:
	s_andn2_saveexec_b64 s[16:17], s[16:17]
	s_cbranch_execz .LBB129_40
; %bb.39:
	s_movk_i32 s20, 0x210
	v_mad_u32_u24 v4, v6, s20, v12
	ds_read_b128 v[14:17], v4
	v_lshl_add_u32 v5, v13, 4, v5
	v_mul_u32_u24_e32 v4, 0x210, v6
	s_waitcnt lgkmcnt(0)
	ds_write_b128 v5, v[14:17] offset:48
.LBB129_40:
	s_or_b64 exec, exec, s[16:17]
	s_movk_i32 s16, 0x840
	v_mad_u32_u24 v14, v11, s16, v12
	s_waitcnt lgkmcnt(0)
	s_barrier
	v_lshlrev_b32_e32 v15, 4, v13
	ds_read_b128 v[18:21], v14
	ds_read_b128 v[22:25], v15 offset:18176
	ds_read_b128 v[26:29], v15 offset:18192
	s_movk_i32 s16, 0x210
	v_mad_u32_u24 v17, v3, s16, v12
	ds_read_b128 v[30:33], v17
	s_waitcnt lgkmcnt(2)
	v_mul_f64 v[5:6], v[24:25], v[20:21]
	v_mul_f64 v[9:10], v[22:23], v[20:21]
	v_add_u32_e32 v16, v12, v4
	v_cmp_gt_u32_e64 s[20:21], 32, v45
	v_fma_f64 v[36:37], v[22:23], v[18:19], -v[5:6]
	ds_read_b128 v[3:6], v15 offset:18208
	s_waitcnt lgkmcnt(1)
	v_mul_f64 v[43:44], v[28:29], v[32:33]
	v_mul_f64 v[50:51], v[26:27], v[32:33]
	v_fma_f64 v[9:10], v[24:25], v[18:19], v[9:10]
	ds_read_b128 v[20:23], v17 offset:528
	ds_read_b128 v[32:35], v15 offset:18224
	ds_read_b128 v[46:49], v16
	s_waitcnt lgkmcnt(0)
	v_add_f64 v[18:19], v[36:37], 0
	s_barrier
	v_mul_f64 v[24:25], v[5:6], v[22:23]
	v_fma_f64 v[26:27], v[26:27], v[30:31], -v[43:44]
	v_fma_f64 v[28:29], v[28:29], v[30:31], v[50:51]
	v_mul_f64 v[22:23], v[3:4], v[22:23]
	v_add_f64 v[9:10], v[9:10], 0
	v_mul_f64 v[30:31], v[34:35], v[48:49]
	v_fma_f64 v[3:4], v[3:4], v[20:21], -v[24:25]
	v_add_f64 v[18:19], v[18:19], v[26:27]
	v_mul_f64 v[24:25], v[32:33], v[48:49]
	v_fma_f64 v[5:6], v[5:6], v[20:21], v[22:23]
	v_add_f64 v[9:10], v[9:10], v[28:29]
	v_fma_f64 v[20:21], v[32:33], v[46:47], -v[30:31]
	v_add_f64 v[18:19], v[18:19], v[3:4]
	v_fma_f64 v[22:23], v[34:35], v[46:47], v[24:25]
	v_mov_b32_e32 v3, 0
	v_add_f64 v[5:6], v[9:10], v[5:6]
	v_mul_u32_u24_e32 v9, 33, v1
	v_lshlrev_b32_e32 v46, 4, v9
	v_mov_b32_e32 v4, 0
	v_lshl_add_u32 v47, v11, 4, v46
	v_add_f64 v[18:19], v[18:19], v[20:21]
	v_add_f64 v[20:21], v[5:6], v[22:23]
	v_mov_b32_e32 v5, 0
	v_mov_b32_e32 v6, 0
	ds_write_b128 v47, v[18:21]
	s_waitcnt lgkmcnt(0)
	s_barrier
	s_and_saveexec_b64 s[16:17], s[20:21]
	s_cbranch_execz .LBB129_42
; %bb.41:
	ds_read_b128 v[3:6], v46
	ds_read_b128 v[18:21], v46 offset:16
	s_waitcnt lgkmcnt(0)
	v_add_f64 v[9:10], v[18:19], v[3:4]
	v_add_f64 v[22:23], v[20:21], v[5:6]
	ds_read_b128 v[3:6], v46 offset:32
	ds_read_b128 v[18:21], v46 offset:48
	s_waitcnt lgkmcnt(1)
	v_add_f64 v[3:4], v[9:10], v[3:4]
	v_add_f64 v[5:6], v[22:23], v[5:6]
	s_waitcnt lgkmcnt(0)
	v_add_f64 v[9:10], v[3:4], v[18:19]
	v_add_f64 v[22:23], v[5:6], v[20:21]
	ds_read_b128 v[3:6], v46 offset:64
	ds_read_b128 v[18:21], v46 offset:80
	s_waitcnt lgkmcnt(1)
	v_add_f64 v[3:4], v[9:10], v[3:4]
	v_add_f64 v[5:6], v[22:23], v[5:6]
	;; [unrolled: 8-line block ×3, first 2 shown]
	s_waitcnt lgkmcnt(0)
	v_add_f64 v[3:4], v[3:4], v[18:19]
	v_add_f64 v[5:6], v[5:6], v[20:21]
.LBB129_42:
	s_or_b64 exec, exec, s[16:17]
	s_lshl_b32 s16, s26, 5
	s_ashr_i32 s17, s16, 31
	s_lshl_b64 s[34:35], s[16:17], 4
	v_mov_b32_e32 v10, s35
	v_add_co_u32_e32 v9, vcc, s34, v7
	v_addc_co_u32_e32 v10, vcc, v8, v10, vcc
	v_add_co_u32_e32 v7, vcc, 0x200, v9
	v_addc_co_u32_e32 v8, vcc, 0, v10, vcc
	v_cndmask_b32_e64 v18, 0, 1, s[18:19]
	v_cmp_ne_u32_e64 s[16:17], 1, v18
	s_andn2_b64 vcc, exec, s[18:19]
	s_mov_b64 s[18:19], -1
	s_barrier
	s_cbranch_vccnz .LBB129_44
; %bb.43:
	s_lshl_b32 s18, s26, 3
	s_ashr_i32 s19, s18, 31
	s_lshl_b64 s[18:19], s[18:19], 4
	v_mov_b32_e32 v22, s19
	v_add_co_u32_e32 v30, vcc, s18, v9
	s_ashr_i32 s27, s26, 31
	v_addc_co_u32_e32 v31, vcc, v10, v22, vcc
	s_lshl_b64 s[18:19], s[26:27], 7
	v_mov_b32_e32 v34, s19
	v_add_co_u32_e32 v32, vcc, s18, v30
	global_load_dwordx4 v[18:21], v[7:8], off
	v_addc_co_u32_e32 v33, vcc, v31, v34, vcc
	global_load_dwordx4 v[22:25], v[30:31], off offset:512
	global_load_dwordx4 v[26:29], v[32:33], off offset:512
	v_add_co_u32_e32 v30, vcc, s18, v32
	v_addc_co_u32_e32 v31, vcc, v33, v34, vcc
	global_load_dwordx4 v[30:33], v[30:31], off offset:512
	s_movk_i32 s18, 0x210
	v_mad_u32_u24 v34, v11, s18, v12
	s_mov_b64 s[18:19], 0
	v_add_u32_e32 v35, 0x1080, v34
	v_add_u32_e32 v36, 0x2100, v34
	;; [unrolled: 1-line block ×3, first 2 shown]
	s_waitcnt vmcnt(3)
	ds_write2_b64 v34, v[18:19], v[20:21] offset1:1
	s_waitcnt vmcnt(2)
	ds_write2_b64 v35, v[22:23], v[24:25] offset1:1
	;; [unrolled: 2-line block ×4, first 2 shown]
.LBB129_44:
	s_andn2_b64 vcc, exec, s[18:19]
	s_cbranch_vccnz .LBB129_62
; %bb.45:
	v_sub_co_u32_e32 v9, vcc, v9, v12
	s_ashr_i32 s23, s22, 31
	v_subbrev_co_u32_e32 v10, vcc, 0, v10, vcc
	s_lshl_b64 s[36:37], s[22:23], 4
	v_mov_b32_e32 v19, s37
	v_add_co_u32_e32 v9, vcc, s36, v9
	v_addc_co_u32_e32 v10, vcc, v10, v19, vcc
	v_or_b32_e32 v18, 32, v1
	v_add_co_u32_e32 v9, vcc, -16, v9
	v_addc_co_u32_e32 v10, vcc, -1, v10, vcc
	v_cmp_gt_i32_e64 s[18:19], s22, v18
	s_sub_i32 s23, s22, 32
	s_movk_i32 s25, 0x210
	v_cndmask_b32_e64 v10, v10, v8, s[18:19]
	v_cndmask_b32_e64 v9, v9, v7, s[18:19]
	v_cmp_le_i32_e32 vcc, s23, v11
	v_mad_u32_u24 v18, v11, s25, v12
	s_and_saveexec_b64 s[38:39], vcc
	s_xor_b64 s[38:39], exec, s[38:39]
; %bb.46:
	v_mov_b32_e32 v19, 0
	v_mov_b32_e32 v20, v19
	;; [unrolled: 1-line block ×4, first 2 shown]
	ds_write_b128 v18, v[19:22]
                                        ; implicit-def: $vgpr18
; %bb.47:
	s_andn2_saveexec_b64 s[38:39], s[38:39]
	s_cbranch_execz .LBB129_49
; %bb.48:
	global_load_dwordx4 v[19:22], v[9:10], off
	s_waitcnt vmcnt(0)
	ds_write2_b64 v18, v[19:20], v[21:22] offset1:1
.LBB129_49:
	s_or_b64 exec, exec, s[38:39]
	v_add_u32_e32 v19, 8, v11
	v_mul_u32_u24_e32 v18, 0x210, v11
	v_cmp_le_i32_e32 vcc, s23, v19
	s_and_saveexec_b64 s[38:39], vcc
	s_xor_b64 s[38:39], exec, s[38:39]
	s_cbranch_execz .LBB129_51
; %bb.50:
	v_mov_b32_e32 v19, 0
	v_add_u32_e32 v23, v18, v12
	v_mov_b32_e32 v20, v19
	v_mov_b32_e32 v21, v19
	;; [unrolled: 1-line block ×3, first 2 shown]
	ds_write_b128 v23, v[19:22] offset:4224
.LBB129_51:
	s_andn2_saveexec_b64 s[38:39], s[38:39]
	s_cbranch_execz .LBB129_53
; %bb.52:
	s_lshl_b32 s44, s26, 3
	s_ashr_i32 s45, s44, 31
	s_lshl_b64 s[44:45], s[44:45], 4
	v_mov_b32_e32 v20, s45
	v_add_co_u32_e32 v19, vcc, s44, v9
	v_addc_co_u32_e32 v20, vcc, v10, v20, vcc
	global_load_dwordx4 v[19:22], v[19:20], off
	s_movk_i32 s25, 0x1080
	v_add3_u32 v23, v18, v12, s25
	s_waitcnt vmcnt(0)
	ds_write2_b64 v23, v[19:20], v[21:22] offset1:1
.LBB129_53:
	s_or_b64 exec, exec, s[38:39]
	v_add_u32_e32 v19, 16, v11
	v_cmp_le_i32_e32 vcc, s23, v19
	s_and_saveexec_b64 s[38:39], vcc
	s_xor_b64 s[38:39], exec, s[38:39]
	s_cbranch_execz .LBB129_55
; %bb.54:
	v_mov_b32_e32 v19, 0
	v_add_u32_e32 v23, v18, v12
	v_mov_b32_e32 v20, v19
	v_mov_b32_e32 v21, v19
	;; [unrolled: 1-line block ×3, first 2 shown]
	ds_write_b128 v23, v[19:22] offset:8448
.LBB129_55:
	s_andn2_saveexec_b64 s[38:39], s[38:39]
	s_cbranch_execz .LBB129_57
; %bb.56:
	s_lshl_b32 s44, s26, 4
	s_ashr_i32 s45, s44, 31
	s_lshl_b64 s[44:45], s[44:45], 4
	v_mov_b32_e32 v20, s45
	v_add_co_u32_e32 v19, vcc, s44, v9
	v_addc_co_u32_e32 v20, vcc, v10, v20, vcc
	global_load_dwordx4 v[19:22], v[19:20], off
	s_movk_i32 s25, 0x2100
	v_add3_u32 v23, v18, v12, s25
	s_waitcnt vmcnt(0)
	ds_write2_b64 v23, v[19:20], v[21:22] offset1:1
.LBB129_57:
	s_or_b64 exec, exec, s[38:39]
	v_add_u32_e32 v19, 24, v11
	v_cmp_le_i32_e32 vcc, s23, v19
	s_and_saveexec_b64 s[38:39], vcc
	s_xor_b64 s[38:39], exec, s[38:39]
	s_cbranch_execz .LBB129_59
; %bb.58:
	v_add_u32_e32 v22, v18, v12
	v_mov_b32_e32 v18, 0
	v_mov_b32_e32 v19, v18
	;; [unrolled: 1-line block ×4, first 2 shown]
	ds_write_b128 v22, v[18:21] offset:12672
                                        ; implicit-def: $vgpr18
.LBB129_59:
	s_andn2_saveexec_b64 s[38:39], s[38:39]
	s_cbranch_execz .LBB129_61
; %bb.60:
	s_mul_i32 s44, s26, 24
	s_ashr_i32 s45, s44, 31
	s_lshl_b64 s[44:45], s[44:45], 4
	v_mov_b32_e32 v20, s45
	v_add_co_u32_e32 v19, vcc, s44, v9
	v_addc_co_u32_e32 v20, vcc, v10, v20, vcc
	global_load_dwordx4 v[19:22], v[19:20], off
	s_movk_i32 s23, 0x3180
	v_add3_u32 v18, v18, v12, s23
	s_waitcnt vmcnt(0)
	ds_write2_b64 v18, v[19:20], v[21:22] offset1:1
.LBB129_61:
	s_or_b64 exec, exec, s[38:39]
	v_add_co_u32_e32 v9, vcc, v9, v12
	v_addc_co_u32_e32 v10, vcc, 0, v10, vcc
	v_mov_b32_e32 v18, s37
	v_subrev_co_u32_e32 v9, vcc, s36, v9
	v_subb_co_u32_e32 v10, vcc, v10, v18, vcc
	v_add_co_u32_e32 v9, vcc, 0x210, v9
	v_addc_co_u32_e32 v10, vcc, 0, v10, vcc
	v_cndmask_b32_e64 v8, v10, v8, s[18:19]
	v_cndmask_b32_e64 v7, v9, v7, s[18:19]
.LBB129_62:
	v_add_u32_e32 v15, 0x4700, v15
	v_add_u32_e32 v9, 0x210, v17
	s_waitcnt lgkmcnt(0)
	s_barrier
	s_and_saveexec_b64 s[18:19], s[8:9]
	s_cbranch_execnz .LBB129_71
; %bb.63:
	s_or_b64 exec, exec, s[18:19]
	s_and_saveexec_b64 s[8:9], s[10:11]
	s_cbranch_execnz .LBB129_72
.LBB129_64:
	s_or_b64 exec, exec, s[8:9]
	s_and_saveexec_b64 s[8:9], s[12:13]
	s_cbranch_execnz .LBB129_73
.LBB129_65:
	s_or_b64 exec, exec, s[8:9]
	s_and_saveexec_b64 s[8:9], s[14:15]
	s_cbranch_execz .LBB129_67
.LBB129_66:
	ds_read_b128 v[18:21], v16
	v_lshl_add_u32 v10, v13, 4, v46
	s_waitcnt lgkmcnt(0)
	ds_write_b128 v10, v[18:21] offset:48
.LBB129_67:
	s_or_b64 exec, exec, s[8:9]
	s_waitcnt lgkmcnt(0)
	s_barrier
	ds_read_b128 v[18:21], v15 offset:512
	ds_read_b128 v[22:25], v14
	v_cmp_eq_u32_e64 s[8:9], 1, v11
	s_waitcnt lgkmcnt(0)
	v_mul_f64 v[36:37], v[20:21], v[24:25]
	v_mul_f64 v[43:44], v[18:19], v[24:25]
	ds_read_b128 v[24:27], v17
	ds_read_b128 v[28:31], v15 offset:528
	ds_read_b128 v[32:35], v15 offset:544
	ds_read_b128 v[48:51], v9
	s_waitcnt lgkmcnt(2)
	v_mul_f64 v[9:10], v[30:31], v[26:27]
	v_mul_f64 v[26:27], v[28:29], v[26:27]
	v_fma_f64 v[36:37], v[18:19], v[22:23], -v[36:37]
	v_fma_f64 v[21:22], v[20:21], v[22:23], v[43:44]
	s_waitcnt lgkmcnt(0)
	v_mul_f64 v[43:44], v[34:35], v[50:51]
	v_mul_f64 v[50:51], v[32:33], v[50:51]
	ds_read_b128 v[17:20], v15 offset:560
	ds_read_b128 v[52:55], v16
	v_fma_f64 v[9:10], v[28:29], v[24:25], -v[9:10]
	v_fma_f64 v[23:24], v[30:31], v[24:25], v[26:27]
	s_waitcnt lgkmcnt(0)
	v_add_f64 v[25:26], v[36:37], 0
	v_add_f64 v[21:22], v[21:22], 0
	v_mul_f64 v[27:28], v[19:20], v[54:55]
	v_mul_f64 v[29:30], v[17:18], v[54:55]
	v_fma_f64 v[31:32], v[32:33], v[48:49], -v[43:44]
	v_fma_f64 v[33:34], v[34:35], v[48:49], v[50:51]
	s_barrier
	v_add_f64 v[9:10], v[25:26], v[9:10]
	v_add_f64 v[21:22], v[21:22], v[23:24]
	v_fma_f64 v[16:17], v[17:18], v[52:53], -v[27:28]
	v_fma_f64 v[18:19], v[19:20], v[52:53], v[29:30]
	v_add_f64 v[9:10], v[9:10], v[31:32]
	v_add_f64 v[20:21], v[21:22], v[33:34]
	;; [unrolled: 1-line block ×4, first 2 shown]
	ds_write_b128 v47, v[16:19]
	s_waitcnt lgkmcnt(0)
	s_barrier
	s_and_saveexec_b64 s[10:11], s[8:9]
	s_cbranch_execz .LBB129_69
; %bb.68:
	ds_read_b128 v[3:6], v46
	ds_read_b128 v[16:19], v46 offset:16
	s_waitcnt lgkmcnt(0)
	v_add_f64 v[9:10], v[16:17], v[3:4]
	v_add_f64 v[20:21], v[18:19], v[5:6]
	ds_read_b128 v[3:6], v46 offset:32
	ds_read_b128 v[16:19], v46 offset:48
	s_waitcnt lgkmcnt(1)
	v_add_f64 v[3:4], v[9:10], v[3:4]
	v_add_f64 v[5:6], v[20:21], v[5:6]
	s_waitcnt lgkmcnt(0)
	v_add_f64 v[9:10], v[3:4], v[16:17]
	v_add_f64 v[20:21], v[5:6], v[18:19]
	ds_read_b128 v[3:6], v46 offset:64
	ds_read_b128 v[16:19], v46 offset:80
	s_waitcnt lgkmcnt(1)
	v_add_f64 v[3:4], v[9:10], v[3:4]
	v_add_f64 v[5:6], v[20:21], v[5:6]
	;; [unrolled: 8-line block ×3, first 2 shown]
	s_waitcnt lgkmcnt(0)
	v_add_f64 v[3:4], v[3:4], v[16:17]
	v_add_f64 v[5:6], v[5:6], v[18:19]
.LBB129_69:
	s_or_b64 exec, exec, s[10:11]
	v_mov_b32_e32 v9, s35
	v_subrev_co_u32_e64 v43, s[10:11], s34, v7
	s_and_b64 vcc, exec, s[16:17]
	v_subb_co_u32_e64 v44, s[10:11], v8, v9, s[10:11]
	s_barrier
	s_cbranch_vccnz .LBB129_74
; %bb.70:
	s_lshl_b32 s10, s26, 3
	s_ashr_i32 s11, s10, 31
	s_lshl_b64 s[10:11], s[10:11], 4
	v_mov_b32_e32 v8, s11
	v_add_co_u32_e32 v7, vcc, s10, v43
	s_ashr_i32 s27, s26, 31
	v_addc_co_u32_e32 v8, vcc, v44, v8, vcc
	s_lshl_b64 s[10:11], s[26:27], 7
	v_mov_b32_e32 v14, s11
	v_add_co_u32_e32 v9, vcc, s10, v7
	global_load_dwordx4 v[18:21], v[43:44], off
	v_addc_co_u32_e32 v10, vcc, v8, v14, vcc
	global_load_dwordx4 v[22:25], v[7:8], off
	global_load_dwordx4 v[26:29], v[9:10], off
	v_add_co_u32_e32 v7, vcc, s10, v9
	v_addc_co_u32_e32 v8, vcc, v10, v14, vcc
	global_load_dwordx4 v[30:33], v[7:8], off
	s_movk_i32 s10, 0x210
	v_mov_b32_e32 v7, 0x1080
	v_mov_b32_e32 v17, 0x2100
	;; [unrolled: 1-line block ×3, first 2 shown]
	v_mul_u32_u24_e32 v14, 0x210, v11
	v_add_u32_e32 v10, 8, v11
	v_add_u32_e32 v9, 16, v11
	;; [unrolled: 1-line block ×3, first 2 shown]
	v_mad_u32_u24 v35, v11, s10, v12
	v_mad_u32_u24 v8, v11, s10, v7
	;; [unrolled: 1-line block ×4, first 2 shown]
	v_add_u32_e32 v34, v12, v8
	v_add_u32_e32 v36, v12, v7
	;; [unrolled: 1-line block ×3, first 2 shown]
	s_waitcnt vmcnt(3)
	ds_write2_b64 v35, v[18:19], v[20:21] offset1:1
	s_waitcnt vmcnt(2)
	ds_write2_b64 v34, v[22:23], v[24:25] offset1:1
	;; [unrolled: 2-line block ×4, first 2 shown]
	s_cbranch_execz .LBB129_75
	s_branch .LBB129_92
.LBB129_71:
	ds_read_b128 v[18:21], v14
	v_lshl_add_u32 v10, v13, 4, v46
	s_waitcnt lgkmcnt(0)
	ds_write_b128 v10, v[18:21]
	s_or_b64 exec, exec, s[18:19]
	s_and_saveexec_b64 s[8:9], s[10:11]
	s_cbranch_execz .LBB129_64
.LBB129_72:
	ds_read_b128 v[18:21], v17
	v_lshl_add_u32 v10, v13, 4, v46
	s_waitcnt lgkmcnt(0)
	ds_write_b128 v10, v[18:21] offset:16
	s_or_b64 exec, exec, s[8:9]
	s_and_saveexec_b64 s[8:9], s[12:13]
	s_cbranch_execz .LBB129_65
.LBB129_73:
	ds_read_b128 v[18:21], v9
	v_lshl_add_u32 v10, v13, 4, v46
	s_waitcnt lgkmcnt(0)
	ds_write_b128 v10, v[18:21] offset:32
	s_or_b64 exec, exec, s[8:9]
	s_and_saveexec_b64 s[8:9], s[14:15]
	s_cbranch_execnz .LBB129_66
	s_branch .LBB129_67
.LBB129_74:
                                        ; implicit-def: $vgpr14
                                        ; implicit-def: $vgpr10
                                        ; implicit-def: $vgpr8
                                        ; implicit-def: $vgpr9
                                        ; implicit-def: $vgpr7
                                        ; implicit-def: $vgpr16
                                        ; implicit-def: $vgpr17
.LBB129_75:
	v_sub_co_u32_e32 v7, vcc, v43, v12
	s_ashr_i32 s23, s22, 31
	v_subbrev_co_u32_e32 v8, vcc, 0, v44, vcc
	s_lshl_b64 s[12:13], s[22:23], 4
	v_mov_b32_e32 v9, s13
	v_add_co_u32_e32 v7, vcc, s12, v7
	v_addc_co_u32_e32 v8, vcc, v8, v9, vcc
	v_or_b32_e32 v1, 32, v1
	v_add_co_u32_e32 v7, vcc, 0xfffffdf0, v7
	v_addc_co_u32_e32 v8, vcc, -1, v8, vcc
	v_cmp_gt_i32_e64 s[10:11], s22, v1
	s_movk_i32 s14, 0x210
	v_cndmask_b32_e64 v8, v8, v44, s[10:11]
	v_cndmask_b32_e64 v7, v7, v43, s[10:11]
	v_cmp_le_i32_e32 vcc, s22, v11
	v_mad_u32_u24 v1, v11, s14, v12
	s_and_saveexec_b64 s[14:15], vcc
	s_xor_b64 s[14:15], exec, s[14:15]
; %bb.76:
	v_mov_b32_e32 v16, 0
	v_mov_b32_e32 v17, v16
	;; [unrolled: 1-line block ×4, first 2 shown]
	ds_write_b128 v1, v[16:19]
                                        ; implicit-def: $vgpr1
; %bb.77:
	s_andn2_saveexec_b64 s[14:15], s[14:15]
	s_cbranch_execz .LBB129_79
; %bb.78:
	global_load_dwordx4 v[16:19], v[7:8], off
	s_waitcnt vmcnt(0)
	ds_write2_b64 v1, v[16:17], v[18:19] offset1:1
.LBB129_79:
	s_or_b64 exec, exec, s[14:15]
	v_add_u32_e32 v10, 8, v11
	v_mul_u32_u24_e32 v14, 0x210, v11
	v_cmp_le_i32_e32 vcc, s22, v10
	s_and_saveexec_b64 s[14:15], vcc
	s_xor_b64 s[14:15], exec, s[14:15]
	s_cbranch_execz .LBB129_81
; %bb.80:
	v_mov_b32_e32 v16, 0
	v_add_u32_e32 v1, v14, v12
	v_mov_b32_e32 v17, v16
	v_mov_b32_e32 v18, v16
	;; [unrolled: 1-line block ×3, first 2 shown]
	ds_write_b128 v1, v[16:19] offset:4224
.LBB129_81:
	s_andn2_saveexec_b64 s[14:15], s[14:15]
	s_cbranch_execz .LBB129_83
; %bb.82:
	s_lshl_b32 s16, s26, 3
	s_ashr_i32 s17, s16, 31
	s_lshl_b64 s[16:17], s[16:17], 4
	v_mov_b32_e32 v1, s17
	v_add_co_u32_e32 v16, vcc, s16, v7
	v_addc_co_u32_e32 v17, vcc, v8, v1, vcc
	global_load_dwordx4 v[16:19], v[16:17], off
	s_movk_i32 s16, 0x1080
	v_add3_u32 v1, v14, v12, s16
	s_waitcnt vmcnt(0)
	ds_write2_b64 v1, v[16:17], v[18:19] offset1:1
.LBB129_83:
	s_or_b64 exec, exec, s[14:15]
	v_add_u32_e32 v9, 16, v11
	v_cmp_le_i32_e32 vcc, s22, v9
	s_and_saveexec_b64 s[14:15], vcc
	s_xor_b64 s[14:15], exec, s[14:15]
	s_cbranch_execz .LBB129_85
; %bb.84:
	v_mov_b32_e32 v16, 0
	v_add_u32_e32 v1, v14, v12
	v_mov_b32_e32 v17, v16
	v_mov_b32_e32 v18, v16
	;; [unrolled: 1-line block ×3, first 2 shown]
	ds_write_b128 v1, v[16:19] offset:8448
.LBB129_85:
	s_andn2_saveexec_b64 s[14:15], s[14:15]
	s_cbranch_execz .LBB129_87
; %bb.86:
	s_lshl_b32 s16, s26, 4
	s_ashr_i32 s17, s16, 31
	s_lshl_b64 s[16:17], s[16:17], 4
	v_mov_b32_e32 v1, s17
	v_add_co_u32_e32 v16, vcc, s16, v7
	v_addc_co_u32_e32 v17, vcc, v8, v1, vcc
	global_load_dwordx4 v[16:19], v[16:17], off
	s_movk_i32 s16, 0x2100
	v_add3_u32 v1, v14, v12, s16
	s_waitcnt vmcnt(0)
	ds_write2_b64 v1, v[16:17], v[18:19] offset1:1
.LBB129_87:
	s_or_b64 exec, exec, s[14:15]
	v_add_u32_e32 v16, 24, v11
	v_cmp_le_i32_e32 vcc, s22, v16
                                        ; implicit-def: $vgpr17
	s_and_saveexec_b64 s[14:15], vcc
	s_xor_b64 s[14:15], exec, s[14:15]
	s_cbranch_execz .LBB129_89
; %bb.88:
	v_add_u32_e32 v17, 0x3180, v14
	v_mov_b32_e32 v18, 0
	v_add_u32_e32 v1, v12, v17
	v_mov_b32_e32 v19, v18
	v_mov_b32_e32 v20, v18
	;; [unrolled: 1-line block ×3, first 2 shown]
	ds_write_b128 v1, v[18:21]
.LBB129_89:
	s_andn2_saveexec_b64 s[14:15], s[14:15]
	s_cbranch_execz .LBB129_91
; %bb.90:
	s_mul_i32 s16, s26, 24
	s_ashr_i32 s17, s16, 31
	s_lshl_b64 s[16:17], s[16:17], 4
	v_mov_b32_e32 v1, s17
	v_add_co_u32_e32 v17, vcc, s16, v7
	v_addc_co_u32_e32 v18, vcc, v8, v1, vcc
	global_load_dwordx4 v[18:21], v[17:18], off
	v_add_u32_e32 v17, 0x3180, v14
	v_add_u32_e32 v1, v12, v17
	s_waitcnt vmcnt(0)
	ds_write2_b64 v1, v[18:19], v[20:21] offset1:1
.LBB129_91:
	s_or_b64 exec, exec, s[14:15]
	v_add_co_u32_e32 v1, vcc, v7, v12
	v_addc_co_u32_e32 v7, vcc, 0, v8, vcc
	v_mov_b32_e32 v8, s13
	v_subrev_co_u32_e32 v1, vcc, s12, v1
	v_subb_co_u32_e32 v7, vcc, v7, v8, vcc
	v_add_co_u32_e32 v1, vcc, 0x210, v1
	v_addc_co_u32_e32 v7, vcc, 0, v7, vcc
	v_cndmask_b32_e64 v44, v7, v44, s[10:11]
	v_cndmask_b32_e64 v43, v1, v43, s[10:11]
	v_add_u32_e32 v8, 0x1080, v14
	v_add_u32_e32 v7, 0x2100, v14
.LBB129_92:
	v_lshlrev_b32_e32 v11, 4, v11
	s_waitcnt lgkmcnt(0)
	s_barrier
	v_add_u32_e32 v1, v12, v14
	ds_read_b128 v[18:21], v11 offset:18176
	ds_read_b128 v[22:25], v1
	v_add_u32_e32 v1, v12, v8
	v_lshlrev_b32_e32 v8, 4, v10
	ds_read_b128 v[26:29], v8 offset:18176
	ds_read_b128 v[30:33], v1
	v_add_u32_e32 v1, v12, v7
	s_waitcnt lgkmcnt(2)
	v_mul_f64 v[34:35], v[20:21], v[24:25]
	v_mul_f64 v[24:25], v[18:19], v[24:25]
	v_lshlrev_b32_e32 v7, 4, v9
	s_waitcnt lgkmcnt(0)
	v_mul_f64 v[48:49], v[28:29], v[32:33]
	v_mul_f64 v[32:33], v[26:27], v[32:33]
	v_lshlrev_b32_e32 v11, 4, v16
	v_fma_f64 v[18:19], v[18:19], v[22:23], -v[34:35]
	v_fma_f64 v[24:25], v[20:21], v[22:23], v[24:25]
	ds_read_b128 v[7:10], v7 offset:18176
	ds_read_b128 v[34:37], v1
	v_fma_f64 v[26:27], v[26:27], v[30:31], -v[48:49]
	v_add_u32_e32 v1, v12, v17
	v_fma_f64 v[28:29], v[28:29], v[30:31], v[32:33]
	s_waitcnt lgkmcnt(0)
	v_mul_f64 v[50:51], v[9:10], v[36:37]
	v_add_f64 v[48:49], v[18:19], 0
	ds_read_b128 v[16:19], v11 offset:18176
	ds_read2_b64 v[20:23], v1 offset1:1
	v_mul_f64 v[11:12], v[7:8], v[36:37]
	v_add_f64 v[24:25], v[24:25], 0
	v_lshl_add_u32 v1, v13, 4, v46
	s_waitcnt lgkmcnt(0)
	v_mul_f64 v[30:31], v[18:19], v[22:23]
	v_fma_f64 v[7:8], v[7:8], v[34:35], -v[50:51]
	v_add_f64 v[26:27], v[48:49], v[26:27]
	v_fma_f64 v[9:10], v[9:10], v[34:35], v[11:12]
	v_mul_f64 v[11:12], v[16:17], v[22:23]
	v_add_f64 v[22:23], v[24:25], v[28:29]
	v_fma_f64 v[16:17], v[16:17], v[20:21], -v[30:31]
	v_add_f64 v[27:28], v[26:27], v[7:8]
	v_fma_f64 v[18:19], v[18:19], v[20:21], v[11:12]
	v_add_f64 v[20:21], v[22:23], v[9:10]
	ds_read_b128 v[31:34], v1
	ds_read_b128 v[23:26], v1 offset:16
	ds_read_b128 v[11:14], v1 offset:32
	;; [unrolled: 1-line block ×3, first 2 shown]
	v_add_f64 v[48:49], v[27:28], v[16:17]
	v_add_f64 v[50:51], v[20:21], v[18:19]
	ds_read_b128 v[35:38], v15 offset:512
	ds_read_b128 v[27:30], v15 offset:528
	;; [unrolled: 1-line block ×4, first 2 shown]
	s_waitcnt lgkmcnt(0)
	s_barrier
	ds_write_b128 v47, v[48:51]
	s_waitcnt lgkmcnt(0)
	s_barrier
	s_and_saveexec_b64 s[10:11], s[8:9]
	s_cbranch_execz .LBB129_94
; %bb.93:
	ds_read_b128 v[48:51], v46
	ds_read_b128 v[52:55], v46 offset:16
	s_waitcnt lgkmcnt(1)
	v_add_f64 v[3:4], v[3:4], v[48:49]
	v_add_f64 v[5:6], v[5:6], v[50:51]
	s_waitcnt lgkmcnt(0)
	v_add_f64 v[52:53], v[3:4], v[52:53]
	v_add_f64 v[54:55], v[5:6], v[54:55]
	ds_read_b128 v[3:6], v46 offset:32
	ds_read_b128 v[48:51], v46 offset:48
	s_waitcnt lgkmcnt(1)
	v_add_f64 v[3:4], v[52:53], v[3:4]
	v_add_f64 v[5:6], v[54:55], v[5:6]
	s_waitcnt lgkmcnt(0)
	v_add_f64 v[52:53], v[3:4], v[48:49]
	v_add_f64 v[54:55], v[5:6], v[50:51]
	ds_read_b128 v[3:6], v46 offset:64
	;; [unrolled: 8-line block ×3, first 2 shown]
	ds_read_b128 v[48:51], v46 offset:112
	s_waitcnt lgkmcnt(1)
	v_add_f64 v[3:4], v[52:53], v[3:4]
	v_add_f64 v[5:6], v[54:55], v[5:6]
	s_waitcnt lgkmcnt(0)
	v_add_f64 v[3:4], v[3:4], v[48:49]
	v_add_f64 v[5:6], v[5:6], v[50:51]
.LBB129_94:
	s_or_b64 exec, exec, s[10:11]
	v_mul_f64 v[48:49], v[33:34], v[37:38]
	v_mul_f64 v[37:38], v[31:32], v[37:38]
	;; [unrolled: 1-line block ×4, first 2 shown]
	s_barrier
	v_fma_f64 v[31:32], v[31:32], v[35:36], -v[48:49]
	v_fma_f64 v[33:34], v[33:34], v[35:36], v[37:38]
	v_mul_f64 v[35:36], v[13:14], v[21:22]
	v_mul_f64 v[21:22], v[11:12], v[21:22]
	v_fma_f64 v[23:24], v[23:24], v[27:28], -v[50:51]
	v_fma_f64 v[25:26], v[25:26], v[27:28], v[29:30]
	v_add_f64 v[27:28], v[31:32], 0
	v_add_f64 v[29:30], v[33:34], 0
	v_mul_f64 v[31:32], v[9:10], v[17:18]
	v_mul_f64 v[17:18], v[7:8], v[17:18]
	v_fma_f64 v[11:12], v[11:12], v[19:20], -v[35:36]
	v_fma_f64 v[13:14], v[13:14], v[19:20], v[21:22]
	v_add_f64 v[19:20], v[27:28], v[23:24]
	v_add_f64 v[21:22], v[29:30], v[25:26]
	v_fma_f64 v[7:8], v[7:8], v[15:16], -v[31:32]
	v_fma_f64 v[9:10], v[9:10], v[15:16], v[17:18]
	v_add_f64 v[11:12], v[19:20], v[11:12]
	v_add_f64 v[13:14], v[21:22], v[13:14]
	;; [unrolled: 1-line block ×4, first 2 shown]
	ds_write_b128 v47, v[7:10]
	s_waitcnt lgkmcnt(0)
	s_barrier
	s_and_saveexec_b64 s[8:9], s[20:21]
	s_cbranch_execz .LBB129_96
; %bb.95:
	ds_read_b128 v[7:10], v46
	ds_read_b128 v[11:14], v46 offset:16
	s_waitcnt lgkmcnt(1)
	v_add_f64 v[3:4], v[3:4], v[7:8]
	v_add_f64 v[5:6], v[5:6], v[9:10]
	s_waitcnt lgkmcnt(0)
	v_add_f64 v[11:12], v[3:4], v[11:12]
	v_add_f64 v[13:14], v[5:6], v[13:14]
	ds_read_b128 v[3:6], v46 offset:32
	ds_read_b128 v[7:10], v46 offset:48
	s_waitcnt lgkmcnt(1)
	v_add_f64 v[3:4], v[11:12], v[3:4]
	v_add_f64 v[5:6], v[13:14], v[5:6]
	s_waitcnt lgkmcnt(0)
	v_add_f64 v[11:12], v[3:4], v[7:8]
	v_add_f64 v[13:14], v[5:6], v[9:10]
	ds_read_b128 v[3:6], v46 offset:64
	;; [unrolled: 8-line block ×3, first 2 shown]
	ds_read_b128 v[7:10], v46 offset:112
	s_waitcnt lgkmcnt(1)
	v_add_f64 v[3:4], v[11:12], v[3:4]
	v_add_f64 v[5:6], v[13:14], v[5:6]
	s_waitcnt lgkmcnt(0)
	v_add_f64 v[3:4], v[3:4], v[7:8]
	v_add_f64 v[5:6], v[5:6], v[9:10]
.LBB129_96:
	s_or_b64 exec, exec, s[8:9]
	s_load_dwordx2 s[4:5], s[4:5], 0x78
	s_mul_hi_u32 s8, s40, s7
	s_mul_i32 s42, s42, s7
	s_add_i32 s8, s8, s42
	s_mul_i32 s7, s40, s7
	s_mul_i32 s8, s8, s41
	s_mul_hi_u32 s9, s7, s41
	s_add_i32 s9, s9, s8
	s_mul_i32 s8, s7, s41
	s_lshl_b64 s[8:9], s[8:9], 4
	s_waitcnt lgkmcnt(0)
	s_add_u32 s7, s4, s8
	s_mul_i32 s4, s40, s6
	s_addc_u32 s8, s5, s9
	s_ashr_i32 s5, s4, 31
	s_lshl_b64 s[4:5], s[4:5], 4
	s_add_u32 s7, s7, s4
	v_cmp_le_i32_e32 vcc, s22, v0
	s_addc_u32 s16, s8, s5
	s_and_b64 vcc, s[30:31], vcc
	s_cmp_lt_i32 s6, 1
	v_lshlrev_b32_e32 v146, 4, v0
	s_barrier
	s_cbranch_scc1 .LBB129_103
; %bb.97:
	s_mul_i32 s4, s33, s24
	s_ashr_i32 s5, s4, 31
	s_lshl_b64 s[4:5], s[4:5], 4
	v_mov_b32_e32 v1, s5
	v_subrev_co_u32_e64 v147, s[4:5], s4, v39
	v_mul_lo_u32 v8, v2, s26
	v_subb_co_u32_e64 v148, s[4:5], v40, v1, s[4:5]
	v_mov_b32_e32 v1, s29
	v_subrev_co_u32_e64 v7, s[4:5], s28, v43
	v_subb_co_u32_e64 v1, s[4:5], v44, v1, s[4:5]
	v_sub_co_u32_e64 v11, s[4:5], v7, v41
	v_lshl_add_u32 v7, v8, 2, v0
	v_ashrrev_i32_e32 v8, 31, v7
	v_lshlrev_b64 v[7:8], 4, v[7:8]
	v_subb_co_u32_e64 v1, s[4:5], v1, v42, s[4:5]
	v_add_co_u32_e64 v7, s[4:5], v11, v7
	v_addc_co_u32_e64 v8, s[4:5], v1, v8, s[4:5]
	s_movk_i32 s4, 0xfe00
	v_add_co_u32_e64 v11, s[4:5], s4, v7
	v_addc_co_u32_e64 v12, s[4:5], -1, v8, s[4:5]
	v_sub_co_u32_e64 v7, s[4:5], v7, v146
	v_subbrev_co_u32_e64 v8, s[4:5], 0, v8, s[4:5]
	s_ashr_i32 s23, s22, 31
	s_lshl_b64 s[4:5], s[22:23], 4
	v_mov_b32_e32 v13, s5
	v_add_co_u32_e64 v7, s[4:5], s4, v7
	v_addc_co_u32_e64 v8, s[4:5], v8, v13, s[4:5]
	s_movk_i32 s4, 0xfdf0
	v_add_co_u32_e64 v7, s[4:5], s4, v7
	v_addc_co_u32_e64 v8, s[4:5], -1, v8, s[4:5]
	v_lshrrev_b32_e32 v9, 4, v45
	v_cndmask_b32_e32 v12, v12, v8, vcc
	v_cndmask_b32_e32 v11, v11, v7, vcc
	v_mov_b32_e32 v7, 0x4300
	v_and_b32_e32 v8, 48, v0
	v_and_b32_e32 v10, 15, v0
	v_lshl_add_u32 v150, v2, 6, v7
	v_lshlrev_b32_e32 v7, 6, v9
	s_movk_i32 s8, 0x430
	v_lshlrev_b32_e32 v8, 4, v8
	s_ashr_i32 s27, s26, 31
	s_movk_i32 s4, 0x10c0
	v_mad_u32_u24 v153, v10, s8, v7
	v_mul_i32_i24_e32 v7, 0xffffffd0, v9
	v_mad_u32_u24 v154, v10, s8, v8
	v_or_b32_e32 v8, 0xf0, v146
	s_lshl_b64 s[10:11], s[26:27], 4
	s_mul_hi_i32 s18, s26, 0xd0
	v_mov_b32_e32 v1, 0
	s_lshl_b32 s17, s33, 6
	v_add_u32_e32 v149, 0x4300, v146
	v_add_u32_e32 v151, 0x4700, v146
	v_mad_u32_u24 v152, v2, s4, v146
	v_cmp_gt_u32_e64 s[4:5], 64, v45
	v_mad_u32_u24 v155, v10, s8, v8
	s_mul_i32 s19, s26, 0xd0
	s_mov_b32 s12, 0
	v_mov_b32_e32 v156, s11
	v_mov_b32_e32 v157, s18
	v_add_u32_e32 v158, v153, v7
	s_branch .LBB129_99
.LBB129_98:                             ;   in Loop: Header=BB129_99 Depth=1
	s_or_b64 exec, exec, s[14:15]
	v_mul_f64 v[87:88], v[9:10], v[37:38]
	v_mul_f64 v[37:38], v[7:8], v[37:38]
	;; [unrolled: 1-line block ×4, first 2 shown]
	s_add_i32 s6, s6, -1
	s_add_i32 s12, s12, s17
	v_add_u32_e32 v0, 64, v0
	s_cmp_eq_u32 s6, 0
	v_fma_f64 v[7:8], v[7:8], v[35:36], -v[87:88]
	v_fma_f64 v[9:10], v[9:10], v[35:36], v[37:38]
	v_mul_f64 v[35:36], v[17:18], v[29:30]
	v_mul_f64 v[29:30], v[15:16], v[29:30]
	v_fma_f64 v[19:20], v[19:20], v[31:32], -v[89:90]
	v_fma_f64 v[21:22], v[21:22], v[31:32], v[33:34]
	s_waitcnt vmcnt(0)
	s_barrier
	v_add_f64 v[3:4], v[3:4], v[7:8]
	v_add_f64 v[5:6], v[5:6], v[9:10]
	v_mul_f64 v[7:8], v[13:14], v[25:26]
	v_mul_f64 v[9:10], v[11:12], v[25:26]
	v_fma_f64 v[15:16], v[15:16], v[27:28], -v[35:36]
	v_fma_f64 v[17:18], v[17:18], v[27:28], v[29:30]
	v_add_f64 v[3:4], v[3:4], v[19:20]
	v_add_f64 v[5:6], v[5:6], v[21:22]
	v_mul_f64 v[19:20], v[49:50], v[85:86]
	v_mul_f64 v[21:22], v[47:48], v[85:86]
	v_fma_f64 v[7:8], v[11:12], v[23:24], -v[7:8]
	v_fma_f64 v[9:10], v[13:14], v[23:24], v[9:10]
	v_mul_f64 v[11:12], v[53:54], v[81:82]
	v_mul_f64 v[13:14], v[51:52], v[81:82]
	v_add_f64 v[3:4], v[3:4], v[15:16]
	v_add_f64 v[5:6], v[5:6], v[17:18]
	v_fma_f64 v[15:16], v[47:48], v[83:84], -v[19:20]
	v_fma_f64 v[17:18], v[49:50], v[83:84], v[21:22]
	v_fma_f64 v[11:12], v[51:52], v[79:80], -v[11:12]
	v_fma_f64 v[13:14], v[53:54], v[79:80], v[13:14]
	v_add_f64 v[3:4], v[3:4], v[7:8]
	v_add_f64 v[5:6], v[5:6], v[9:10]
	v_mul_f64 v[7:8], v[45:46], v[77:78]
	v_mul_f64 v[9:10], v[43:44], v[77:78]
	v_add_f64 v[3:4], v[3:4], v[15:16]
	v_add_f64 v[5:6], v[5:6], v[17:18]
	v_mul_f64 v[15:16], v[41:42], v[73:74]
	v_mul_f64 v[17:18], v[39:40], v[73:74]
	v_fma_f64 v[7:8], v[43:44], v[75:76], -v[7:8]
	v_fma_f64 v[9:10], v[45:46], v[75:76], v[9:10]
	v_add_f64 v[3:4], v[3:4], v[11:12]
	v_add_f64 v[5:6], v[5:6], v[13:14]
	v_mul_f64 v[11:12], v[65:66], v[125:126]
	v_mul_f64 v[13:14], v[63:64], v[125:126]
	v_fma_f64 v[15:16], v[39:40], v[71:72], -v[15:16]
	v_fma_f64 v[17:18], v[41:42], v[71:72], v[17:18]
	;; [unrolled: 6-line block ×9, first 2 shown]
	v_add_f64 v[3:4], v[3:4], v[15:16]
	v_add_f64 v[5:6], v[5:6], v[17:18]
	v_fma_f64 v[7:8], v[107:108], v[127:128], -v[7:8]
	v_fma_f64 v[9:10], v[109:110], v[127:128], v[9:10]
	v_add_f64 v[3:4], v[3:4], v[11:12]
	v_add_f64 v[5:6], v[5:6], v[13:14]
	v_add_co_u32_e64 v11, s[8:9], s19, v144
	v_add_f64 v[3:4], v[3:4], v[7:8]
	v_add_f64 v[5:6], v[5:6], v[9:10]
	v_mov_b32_e32 v7, s18
	v_addc_co_u32_e64 v12, s[8:9], v145, v7, s[8:9]
	s_cbranch_scc1 .LBB129_103
.LBB129_99:                             ; =>This Inner Loop Header: Depth=1
	s_and_saveexec_b64 s[14:15], s[2:3]
	s_cbranch_execz .LBB129_101
; %bb.100:                              ;   in Loop: Header=BB129_99 Depth=1
	s_ashr_i32 s13, s12, 31
	s_lshl_b64 s[8:9], s[12:13], 4
	v_mov_b32_e32 v8, s9
	v_add_co_u32_e64 v7, s[8:9], s8, v147
	v_addc_co_u32_e64 v8, s[8:9], v148, v8, s[8:9]
	global_load_dwordx4 v[7:10], v[7:8], off
	s_waitcnt vmcnt(0)
	ds_write2_b64 v149, v[7:8], v[9:10] offset1:1
.LBB129_101:                            ;   in Loop: Header=BB129_99 Depth=1
	s_or_b64 exec, exec, s[14:15]
	s_waitcnt lgkmcnt(0)
	s_barrier
	global_load_dwordx4 v[7:10], v[11:12], off
	v_add_co_u32_e64 v11, s[8:9], s10, v11
	v_addc_co_u32_e64 v12, s[8:9], v12, v156, s[8:9]
	v_add_co_u32_e64 v13, s[8:9], s10, v11
	v_addc_co_u32_e64 v14, s[8:9], v12, v156, s[8:9]
	v_add_co_u32_e64 v43, s[8:9], s10, v13
	global_load_dwordx4 v[19:22], v[11:12], off
	global_load_dwordx4 v[15:18], v[13:14], off
	v_addc_co_u32_e64 v44, s[8:9], v14, v156, s[8:9]
	global_load_dwordx4 v[11:14], v[43:44], off
	ds_read_b128 v[39:42], v151
	ds_read_b128 v[35:38], v150
	ds_read_b128 v[31:34], v150 offset:16
	ds_read_b128 v[27:30], v150 offset:32
	;; [unrolled: 1-line block ×3, first 2 shown]
	v_add_co_u32_e64 v57, s[8:9], s19, v43
	v_addc_co_u32_e64 v58, s[8:9], v44, v157, s[8:9]
	v_add_co_u32_e64 v59, s[8:9], s10, v57
	v_addc_co_u32_e64 v60, s[8:9], v58, v156, s[8:9]
	s_waitcnt vmcnt(3) lgkmcnt(4)
	v_mul_f64 v[43:44], v[9:10], v[41:42]
	v_mul_f64 v[45:46], v[7:8], v[41:42]
	s_waitcnt vmcnt(2)
	v_mul_f64 v[47:48], v[21:22], v[41:42]
	v_mul_f64 v[49:50], v[19:20], v[41:42]
	s_waitcnt vmcnt(1)
	;; [unrolled: 3-line block ×3, first 2 shown]
	v_mul_f64 v[55:56], v[13:14], v[41:42]
	v_mul_f64 v[61:62], v[11:12], v[41:42]
	v_fma_f64 v[41:42], v[7:8], v[39:40], -v[43:44]
	v_fma_f64 v[43:44], v[9:10], v[39:40], v[45:46]
	v_fma_f64 v[45:46], v[19:20], v[39:40], -v[47:48]
	v_fma_f64 v[47:48], v[21:22], v[39:40], v[49:50]
	;; [unrolled: 2-line block ×4, first 2 shown]
	v_add_co_u32_e64 v39, s[8:9], s10, v59
	v_addc_co_u32_e64 v40, s[8:9], v60, v156, s[8:9]
	ds_write_b128 v152, v[41:44]
	ds_write_b128 v152, v[45:48] offset:1072
	ds_write_b128 v152, v[49:52] offset:2144
	;; [unrolled: 1-line block ×3, first 2 shown]
	v_add_co_u32_e64 v55, s[8:9], s10, v39
	s_waitcnt lgkmcnt(0)
	s_barrier
	ds_read_b128 v[127:130], v153
	ds_read_b128 v[131:134], v153 offset:16
	ds_read_b128 v[91:94], v153 offset:32
	;; [unrolled: 1-line block ×3, first 2 shown]
	s_waitcnt lgkmcnt(0)
	s_barrier
	global_load_dwordx4 v[47:50], v[57:58], off
	global_load_dwordx4 v[51:54], v[59:60], off
	;; [unrolled: 1-line block ×3, first 2 shown]
	v_addc_co_u32_e64 v56, s[8:9], v40, v156, s[8:9]
	global_load_dwordx4 v[39:42], v[55:56], off
	v_add_co_u32_e64 v69, s[8:9], s19, v55
	v_addc_co_u32_e64 v70, s[8:9], v56, v157, s[8:9]
	ds_read_b128 v[55:58], v151
	v_add_co_u32_e64 v99, s[8:9], s10, v69
	v_addc_co_u32_e64 v100, s[8:9], v70, v156, s[8:9]
	v_add_co_u32_e64 v101, s[8:9], s10, v99
	v_addc_co_u32_e64 v102, s[8:9], v100, v156, s[8:9]
	s_waitcnt vmcnt(3) lgkmcnt(0)
	v_mul_f64 v[59:60], v[49:50], v[57:58]
	v_mul_f64 v[61:62], v[47:48], v[57:58]
	s_waitcnt vmcnt(2)
	v_mul_f64 v[63:64], v[53:54], v[57:58]
	v_mul_f64 v[65:66], v[51:52], v[57:58]
	s_waitcnt vmcnt(1)
	;; [unrolled: 3-line block ×3, first 2 shown]
	v_mul_f64 v[73:74], v[41:42], v[57:58]
	v_mul_f64 v[75:76], v[39:40], v[57:58]
	v_fma_f64 v[57:58], v[47:48], v[55:56], -v[59:60]
	v_fma_f64 v[59:60], v[49:50], v[55:56], v[61:62]
	v_fma_f64 v[61:62], v[51:52], v[55:56], -v[63:64]
	v_fma_f64 v[63:64], v[53:54], v[55:56], v[65:66]
	;; [unrolled: 2-line block ×4, first 2 shown]
	ds_read_b128 v[83:86], v150 offset:256
	ds_read_b128 v[79:82], v150 offset:272
	;; [unrolled: 1-line block ×4, first 2 shown]
	ds_write_b128 v152, v[57:60]
	ds_write_b128 v152, v[61:64] offset:1072
	ds_write_b128 v152, v[65:68] offset:2144
	;; [unrolled: 1-line block ×3, first 2 shown]
	v_add_co_u32_e64 v95, s[8:9], s10, v101
	s_waitcnt lgkmcnt(0)
	s_barrier
	ds_read_b128 v[159:162], v153
	ds_read_b128 v[163:166], v153 offset:16
	ds_read_b128 v[167:170], v153 offset:32
	;; [unrolled: 1-line block ×3, first 2 shown]
	s_waitcnt lgkmcnt(0)
	s_barrier
	global_load_dwordx4 v[63:66], v[69:70], off
	global_load_dwordx4 v[59:62], v[99:100], off
	;; [unrolled: 1-line block ×3, first 2 shown]
	v_addc_co_u32_e64 v96, s[8:9], v102, v156, s[8:9]
	global_load_dwordx4 v[67:70], v[95:96], off
	v_add_co_u32_e64 v109, s[8:9], s19, v95
	v_addc_co_u32_e64 v110, s[8:9], v96, v157, s[8:9]
	ds_read_b128 v[95:98], v151
	v_add_co_u32_e64 v139, s[8:9], s10, v109
	v_addc_co_u32_e64 v140, s[8:9], v110, v156, s[8:9]
	v_add_co_u32_e64 v141, s[8:9], s10, v139
	v_addc_co_u32_e64 v142, s[8:9], v140, v156, s[8:9]
	;; [unrolled: 2-line block ×3, first 2 shown]
	v_add_f64 v[211:212], v[159:160], 0
	v_add_f64 v[163:164], v[211:212], v[163:164]
	;; [unrolled: 1-line block ×3, first 2 shown]
	s_waitcnt vmcnt(3) lgkmcnt(0)
	v_mul_f64 v[99:100], v[65:66], v[97:98]
	v_mul_f64 v[101:102], v[63:64], v[97:98]
	s_waitcnt vmcnt(2)
	v_mul_f64 v[103:104], v[61:62], v[97:98]
	v_mul_f64 v[105:106], v[59:60], v[97:98]
	s_waitcnt vmcnt(1)
	;; [unrolled: 3-line block ×3, first 2 shown]
	v_mul_f64 v[113:114], v[69:70], v[97:98]
	v_mul_f64 v[115:116], v[67:68], v[97:98]
	v_fma_f64 v[97:98], v[63:64], v[95:96], -v[99:100]
	v_fma_f64 v[99:100], v[65:66], v[95:96], v[101:102]
	v_fma_f64 v[101:102], v[59:60], v[95:96], -v[103:104]
	v_fma_f64 v[103:104], v[61:62], v[95:96], v[105:106]
	;; [unrolled: 2-line block ×4, first 2 shown]
	ds_read_b128 v[123:126], v150 offset:512
	ds_read_b128 v[119:122], v150 offset:528
	;; [unrolled: 1-line block ×4, first 2 shown]
	ds_write_b128 v152, v[97:100]
	ds_write_b128 v152, v[101:104] offset:1072
	ds_write_b128 v152, v[105:108] offset:2144
	;; [unrolled: 1-line block ×3, first 2 shown]
	s_waitcnt lgkmcnt(0)
	s_barrier
	ds_read_b128 v[175:178], v153
	ds_read_b128 v[179:182], v153 offset:16
	ds_read_b128 v[183:186], v153 offset:32
	;; [unrolled: 1-line block ×3, first 2 shown]
	s_waitcnt lgkmcnt(0)
	s_barrier
	global_load_dwordx4 v[99:102], v[109:110], off
	global_load_dwordx4 v[95:98], v[139:140], off
	global_load_dwordx4 v[103:106], v[141:142], off
	v_add_f64 v[135:136], v[127:128], 0
	global_load_dwordx4 v[107:110], v[144:145], off
	v_add_f64 v[137:138], v[129:130], 0
	ds_read_b128 v[127:130], v151
	v_add_f64 v[175:176], v[175:176], 0
	v_add_f64 v[177:178], v[177:178], 0
	;; [unrolled: 1-line block ×9, first 2 shown]
	s_waitcnt vmcnt(3) lgkmcnt(0)
	v_mul_f64 v[131:132], v[101:102], v[129:130]
	v_mul_f64 v[133:134], v[99:100], v[129:130]
	s_waitcnt vmcnt(2)
	v_mul_f64 v[135:136], v[97:98], v[129:130]
	v_mul_f64 v[137:138], v[95:96], v[129:130]
	s_waitcnt vmcnt(1)
	;; [unrolled: 3-line block ×3, first 2 shown]
	v_mul_f64 v[159:160], v[109:110], v[129:130]
	v_mul_f64 v[129:130], v[107:108], v[129:130]
	v_fma_f64 v[191:192], v[99:100], v[127:128], -v[131:132]
	v_fma_f64 v[193:194], v[101:102], v[127:128], v[133:134]
	v_fma_f64 v[195:196], v[95:96], v[127:128], -v[135:136]
	v_fma_f64 v[197:198], v[97:98], v[127:128], v[137:138]
	;; [unrolled: 2-line block ×4, first 2 shown]
	ds_read_b128 v[139:142], v150 offset:768
	ds_read_b128 v[135:138], v150 offset:784
	;; [unrolled: 1-line block ×4, first 2 shown]
	ds_write_b128 v152, v[191:194]
	ds_write_b128 v152, v[195:198] offset:1072
	ds_write_b128 v152, v[199:202] offset:2144
	;; [unrolled: 1-line block ×3, first 2 shown]
	s_waitcnt lgkmcnt(0)
	s_barrier
	ds_read_b128 v[191:194], v153
	v_add_f64 v[195:196], v[161:162], 0
	ds_read_b128 v[159:162], v153 offset:16
	v_add_f64 v[197:198], v[207:208], v[91:92]
	ds_read_b128 v[91:94], v153 offset:32
	s_waitcnt lgkmcnt(2)
	v_add_f64 v[191:192], v[191:192], 0
	v_add_f64 v[193:194], v[193:194], 0
	;; [unrolled: 1-line block ×4, first 2 shown]
	s_waitcnt lgkmcnt(1)
	v_add_f64 v[181:182], v[191:192], v[159:160]
	v_add_f64 v[191:192], v[193:194], v[161:162]
	ds_read_b128 v[159:162], v153 offset:48
	s_waitcnt lgkmcnt(0)
	v_add_f64 v[165:166], v[165:166], v[169:170]
	v_add_f64 v[169:170], v[177:178], v[185:186]
	s_barrier
	v_add_f64 v[175:176], v[181:182], v[91:92]
	v_add_f64 v[177:178], v[191:192], v[93:94]
	;; [unrolled: 1-line block ×8, first 2 shown]
	ds_write_b128 v158, v[87:90]
	ds_write_b128 v158, v[91:94] offset:256
	ds_write_b128 v158, v[163:166] offset:512
	ds_write_b128 v158, v[159:162] offset:768
	s_waitcnt lgkmcnt(0)
	s_barrier
	s_and_saveexec_b64 s[14:15], s[4:5]
	s_cbranch_execz .LBB129_98
; %bb.102:                              ;   in Loop: Header=BB129_99 Depth=1
	ds_read_b128 v[87:90], v154
	ds_read_b128 v[91:94], v154 offset:16
	s_waitcnt lgkmcnt(0)
	v_add_f64 v[159:160], v[91:92], v[87:88]
	v_add_f64 v[161:162], v[93:94], v[89:90]
	ds_read_b128 v[87:90], v154 offset:32
	ds_read_b128 v[91:94], v154 offset:48
	s_waitcnt lgkmcnt(1)
	v_add_f64 v[87:88], v[159:160], v[87:88]
	v_add_f64 v[89:90], v[161:162], v[89:90]
	s_waitcnt lgkmcnt(0)
	v_add_f64 v[159:160], v[87:88], v[91:92]
	v_add_f64 v[161:162], v[89:90], v[93:94]
	ds_read_b128 v[87:90], v154 offset:64
	ds_read_b128 v[91:94], v154 offset:80
	s_waitcnt lgkmcnt(1)
	v_add_f64 v[87:88], v[159:160], v[87:88]
	v_add_f64 v[89:90], v[161:162], v[89:90]
	;; [unrolled: 8-line block ×6, first 2 shown]
	s_waitcnt lgkmcnt(0)
	v_add_f64 v[159:160], v[87:88], v[91:92]
	v_add_f64 v[161:162], v[89:90], v[93:94]
	ds_read_b128 v[87:90], v154 offset:224
	ds_read_b128 v[91:94], v155
	s_waitcnt lgkmcnt(1)
	v_add_f64 v[87:88], v[159:160], v[87:88]
	v_add_f64 v[89:90], v[161:162], v[89:90]
	s_waitcnt lgkmcnt(0)
	v_add_f64 v[87:88], v[87:88], v[91:92]
	v_add_f64 v[89:90], v[89:90], v[93:94]
	v_lshlrev_b64 v[91:92], 4, v[0:1]
	v_mov_b32_e32 v93, s16
	v_add_co_u32_e64 v91, s[8:9], s7, v91
	v_addc_co_u32_e64 v92, s[8:9], v93, v92, s[8:9]
	global_store_dwordx4 v[91:92], v[87:90], off
	s_branch .LBB129_98
.LBB129_103:
	s_movk_i32 s2, 0x430
	v_mad_u32_u24 v0, v2, s2, v146
	s_nor_b64 s[0:1], s[0:1], vcc
	ds_write_b128 v0, v[3:6]
	s_waitcnt lgkmcnt(0)
	s_barrier
	s_and_saveexec_b64 s[2:3], s[0:1]
	s_cbranch_execz .LBB129_105
; %bb.104:
	ds_read_b128 v[0:3], v146 offset:1072
	ds_read_b128 v[4:7], v146
	v_ashrrev_i32_e32 v144, 31, v143
	s_waitcnt lgkmcnt(0)
	v_add_f64 v[8:9], v[0:1], v[4:5]
	v_add_f64 v[10:11], v[2:3], v[6:7]
	ds_read_b128 v[0:3], v146 offset:2144
	ds_read_b128 v[4:7], v146 offset:3216
	s_waitcnt lgkmcnt(1)
	v_add_f64 v[0:1], v[8:9], v[0:1]
	v_add_f64 v[2:3], v[10:11], v[2:3]
	s_waitcnt lgkmcnt(0)
	v_add_f64 v[0:1], v[0:1], v[4:5]
	v_add_f64 v[2:3], v[2:3], v[6:7]
	v_lshlrev_b64 v[4:5], 4, v[143:144]
	v_mov_b32_e32 v6, s16
	v_add_co_u32_e32 v4, vcc, s7, v4
	v_addc_co_u32_e32 v5, vcc, v6, v5, vcc
	global_store_dwordx4 v[4:5], v[0:3], off
.LBB129_105:
	s_endpgm
	.section	.rodata,"a",@progbits
	.p2align	6, 0x0
	.amdhsa_kernel _ZL26rocblas_hemvn_kernel_lowerILb0ELi64ELi4ELi33ELi32ELi16Ei19rocblas_complex_numIdEPKS1_PS1_EviT6_lT7_lT5_lS6_lS7_lS5_lT8_i
		.amdhsa_group_segment_fixed_size 19200
		.amdhsa_private_segment_fixed_size 0
		.amdhsa_kernarg_size 392
		.amdhsa_user_sgpr_count 6
		.amdhsa_user_sgpr_private_segment_buffer 1
		.amdhsa_user_sgpr_dispatch_ptr 0
		.amdhsa_user_sgpr_queue_ptr 0
		.amdhsa_user_sgpr_kernarg_segment_ptr 1
		.amdhsa_user_sgpr_dispatch_id 0
		.amdhsa_user_sgpr_flat_scratch_init 0
		.amdhsa_user_sgpr_private_segment_size 0
		.amdhsa_uses_dynamic_stack 0
		.amdhsa_system_sgpr_private_segment_wavefront_offset 0
		.amdhsa_system_sgpr_workgroup_id_x 1
		.amdhsa_system_sgpr_workgroup_id_y 0
		.amdhsa_system_sgpr_workgroup_id_z 1
		.amdhsa_system_sgpr_workgroup_info 0
		.amdhsa_system_vgpr_workitem_id 1
		.amdhsa_next_free_vgpr 213
		.amdhsa_next_free_sgpr 98
		.amdhsa_reserve_vcc 1
		.amdhsa_reserve_flat_scratch 0
		.amdhsa_float_round_mode_32 0
		.amdhsa_float_round_mode_16_64 0
		.amdhsa_float_denorm_mode_32 3
		.amdhsa_float_denorm_mode_16_64 3
		.amdhsa_dx10_clamp 1
		.amdhsa_ieee_mode 1
		.amdhsa_fp16_overflow 0
		.amdhsa_exception_fp_ieee_invalid_op 0
		.amdhsa_exception_fp_denorm_src 0
		.amdhsa_exception_fp_ieee_div_zero 0
		.amdhsa_exception_fp_ieee_overflow 0
		.amdhsa_exception_fp_ieee_underflow 0
		.amdhsa_exception_fp_ieee_inexact 0
		.amdhsa_exception_int_div_zero 0
	.end_amdhsa_kernel
	.section	.text._ZL26rocblas_hemvn_kernel_lowerILb0ELi64ELi4ELi33ELi32ELi16Ei19rocblas_complex_numIdEPKS1_PS1_EviT6_lT7_lT5_lS6_lS7_lS5_lT8_i,"axG",@progbits,_ZL26rocblas_hemvn_kernel_lowerILb0ELi64ELi4ELi33ELi32ELi16Ei19rocblas_complex_numIdEPKS1_PS1_EviT6_lT7_lT5_lS6_lS7_lS5_lT8_i,comdat
.Lfunc_end129:
	.size	_ZL26rocblas_hemvn_kernel_lowerILb0ELi64ELi4ELi33ELi32ELi16Ei19rocblas_complex_numIdEPKS1_PS1_EviT6_lT7_lT5_lS6_lS7_lS5_lT8_i, .Lfunc_end129-_ZL26rocblas_hemvn_kernel_lowerILb0ELi64ELi4ELi33ELi32ELi16Ei19rocblas_complex_numIdEPKS1_PS1_EviT6_lT7_lT5_lS6_lS7_lS5_lT8_i
                                        ; -- End function
	.set _ZL26rocblas_hemvn_kernel_lowerILb0ELi64ELi4ELi33ELi32ELi16Ei19rocblas_complex_numIdEPKS1_PS1_EviT6_lT7_lT5_lS6_lS7_lS5_lT8_i.num_vgpr, 213
	.set _ZL26rocblas_hemvn_kernel_lowerILb0ELi64ELi4ELi33ELi32ELi16Ei19rocblas_complex_numIdEPKS1_PS1_EviT6_lT7_lT5_lS6_lS7_lS5_lT8_i.num_agpr, 0
	.set _ZL26rocblas_hemvn_kernel_lowerILb0ELi64ELi4ELi33ELi32ELi16Ei19rocblas_complex_numIdEPKS1_PS1_EviT6_lT7_lT5_lS6_lS7_lS5_lT8_i.numbered_sgpr, 46
	.set _ZL26rocblas_hemvn_kernel_lowerILb0ELi64ELi4ELi33ELi32ELi16Ei19rocblas_complex_numIdEPKS1_PS1_EviT6_lT7_lT5_lS6_lS7_lS5_lT8_i.num_named_barrier, 0
	.set _ZL26rocblas_hemvn_kernel_lowerILb0ELi64ELi4ELi33ELi32ELi16Ei19rocblas_complex_numIdEPKS1_PS1_EviT6_lT7_lT5_lS6_lS7_lS5_lT8_i.private_seg_size, 0
	.set _ZL26rocblas_hemvn_kernel_lowerILb0ELi64ELi4ELi33ELi32ELi16Ei19rocblas_complex_numIdEPKS1_PS1_EviT6_lT7_lT5_lS6_lS7_lS5_lT8_i.uses_vcc, 1
	.set _ZL26rocblas_hemvn_kernel_lowerILb0ELi64ELi4ELi33ELi32ELi16Ei19rocblas_complex_numIdEPKS1_PS1_EviT6_lT7_lT5_lS6_lS7_lS5_lT8_i.uses_flat_scratch, 0
	.set _ZL26rocblas_hemvn_kernel_lowerILb0ELi64ELi4ELi33ELi32ELi16Ei19rocblas_complex_numIdEPKS1_PS1_EviT6_lT7_lT5_lS6_lS7_lS5_lT8_i.has_dyn_sized_stack, 0
	.set _ZL26rocblas_hemvn_kernel_lowerILb0ELi64ELi4ELi33ELi32ELi16Ei19rocblas_complex_numIdEPKS1_PS1_EviT6_lT7_lT5_lS6_lS7_lS5_lT8_i.has_recursion, 0
	.set _ZL26rocblas_hemvn_kernel_lowerILb0ELi64ELi4ELi33ELi32ELi16Ei19rocblas_complex_numIdEPKS1_PS1_EviT6_lT7_lT5_lS6_lS7_lS5_lT8_i.has_indirect_call, 0
	.section	.AMDGPU.csdata,"",@progbits
; Kernel info:
; codeLenInByte = 9488
; TotalNumSgprs: 50
; NumVgprs: 213
; ScratchSize: 0
; MemoryBound: 0
; FloatMode: 240
; IeeeMode: 1
; LDSByteSize: 19200 bytes/workgroup (compile time only)
; SGPRBlocks: 12
; VGPRBlocks: 53
; NumSGPRsForWavesPerEU: 102
; NumVGPRsForWavesPerEU: 213
; Occupancy: 1
; WaveLimiterHint : 1
; COMPUTE_PGM_RSRC2:SCRATCH_EN: 0
; COMPUTE_PGM_RSRC2:USER_SGPR: 6
; COMPUTE_PGM_RSRC2:TRAP_HANDLER: 0
; COMPUTE_PGM_RSRC2:TGID_X_EN: 1
; COMPUTE_PGM_RSRC2:TGID_Y_EN: 0
; COMPUTE_PGM_RSRC2:TGID_Z_EN: 1
; COMPUTE_PGM_RSRC2:TIDIG_COMP_CNT: 1
	.section	.text._ZL50rocblas_symv_kernel_upper_double_buffered_diagonalILi32ELi4E24rocblas_internal_val_ptrIfEPKPKfPKPfEvbiT1_lT2_lllSA_lllS9_lT3_llli,"axG",@progbits,_ZL50rocblas_symv_kernel_upper_double_buffered_diagonalILi32ELi4E24rocblas_internal_val_ptrIfEPKPKfPKPfEvbiT1_lT2_lllSA_lllS9_lT3_llli,comdat
	.globl	_ZL50rocblas_symv_kernel_upper_double_buffered_diagonalILi32ELi4E24rocblas_internal_val_ptrIfEPKPKfPKPfEvbiT1_lT2_lllSA_lllS9_lT3_llli ; -- Begin function _ZL50rocblas_symv_kernel_upper_double_buffered_diagonalILi32ELi4E24rocblas_internal_val_ptrIfEPKPKfPKPfEvbiT1_lT2_lllSA_lllS9_lT3_llli
	.p2align	8
	.type	_ZL50rocblas_symv_kernel_upper_double_buffered_diagonalILi32ELi4E24rocblas_internal_val_ptrIfEPKPKfPKPfEvbiT1_lT2_lllSA_lllS9_lT3_llli,@function
_ZL50rocblas_symv_kernel_upper_double_buffered_diagonalILi32ELi4E24rocblas_internal_val_ptrIfEPKPKfPKPfEvbiT1_lT2_lllSA_lllS9_lT3_llli: ; @_ZL50rocblas_symv_kernel_upper_double_buffered_diagonalILi32ELi4E24rocblas_internal_val_ptrIfEPKPKfPKPfEvbiT1_lT2_lllSA_lllS9_lT3_llli
; %bb.0:
	s_load_dword s0, s[4:5], 0x0
	s_load_dwordx8 s[8:15], s[4:5], 0x8
	s_load_dwordx2 s[20:21], s[4:5], 0x28
	s_mov_b32 s22, s7
	s_mov_b64 s[2:3], -1
	s_waitcnt lgkmcnt(0)
	s_bitcmp1_b32 s0, 0
	s_cselect_b64 s[0:1], -1, 0
	s_xor_b64 s[0:1], s[0:1], -1
	s_and_b64 vcc, exec, s[0:1]
                                        ; implicit-def: $sgpr28
	s_cbranch_vccnz .LBB130_7
; %bb.1:
	s_load_dwordx4 s[16:19], s[4:5], 0x58
	s_andn2_b64 vcc, exec, s[2:3]
	s_cbranch_vccz .LBB130_8
.LBB130_2:
	s_andn2_b64 vcc, exec, s[0:1]
	s_cbranch_vccnz .LBB130_4
.LBB130_3:
	s_waitcnt lgkmcnt(0)
	s_mul_i32 s0, s19, s22
	s_mul_hi_u32 s1, s18, s22
	s_add_i32 s1, s1, s0
	s_mul_i32 s0, s18, s22
	s_lshl_b64 s[0:1], s[0:1], 2
	s_add_u32 s0, s16, s0
	s_addc_u32 s1, s17, s1
	s_load_dword s16, s[0:1], 0x0
.LBB130_4:
	s_waitcnt lgkmcnt(0)
	v_cmp_eq_f32_e64 s[18:19], s28, 0
	v_cmp_eq_f32_e64 s[0:1], s16, 1.0
	s_and_b64 s[0:1], s[18:19], s[0:1]
	s_and_b64 vcc, exec, s[0:1]
	s_cbranch_vccnz .LBB130_42
; %bb.5:
	v_cmp_neq_f32_e64 s[26:27], s28, 0
	s_mov_b32 s23, 0
	s_and_b64 vcc, exec, s[26:27]
	s_cbranch_vccnz .LBB130_9
; %bb.6:
	s_mov_b64 s[0:1], 0
	s_branch .LBB130_10
.LBB130_7:
	s_mul_i32 s2, s11, s22
	s_mul_hi_u32 s3, s10, s22
	s_add_i32 s3, s3, s2
	s_mul_i32 s2, s10, s22
	s_lshl_b64 s[2:3], s[2:3], 2
	s_add_u32 s2, s8, s2
	s_addc_u32 s3, s9, s3
	s_load_dword s28, s[2:3], 0x0
	s_load_dwordx4 s[16:19], s[4:5], 0x58
	s_cbranch_execnz .LBB130_2
.LBB130_8:
	s_waitcnt lgkmcnt(0)
	s_mov_b32 s28, s8
	s_andn2_b64 vcc, exec, s[0:1]
	s_cbranch_vccz .LBB130_3
	s_branch .LBB130_4
.LBB130_9:
	s_mov_b64 s[0:1], -1
.LBB130_10:
	s_load_dwordx2 s[24:25], s[4:5], 0x68
	s_mov_b64 s[10:11], 0
	s_andn2_b64 vcc, exec, s[0:1]
	s_mov_b64 s[8:9], 0
	s_cbranch_vccnz .LBB130_12
; %bb.11:
	s_lshl_b64 s[0:1], s[22:23], 3
	s_add_u32 s0, s12, s0
	s_addc_u32 s1, s13, s1
	s_load_dwordx2 s[0:1], s[0:1], 0x0
	s_lshl_b64 s[2:3], s[14:15], 2
	s_waitcnt lgkmcnt(0)
	s_add_u32 s8, s0, s2
	s_addc_u32 s9, s1, s3
.LBB130_12:
	s_load_dwordx4 s[0:3], s[4:5], 0x38
	s_load_dwordx2 s[12:13], s[4:5], 0x48
	s_andn2_b64 vcc, exec, s[26:27]
	s_cbranch_vccnz .LBB130_14
; %bb.13:
	s_lshl_b64 s[10:11], s[22:23], 3
	s_waitcnt lgkmcnt(0)
	s_add_u32 s0, s0, s10
	s_addc_u32 s1, s1, s11
	s_load_dwordx2 s[0:1], s[0:1], 0x0
	s_lshl_b64 s[2:3], s[2:3], 2
	s_waitcnt lgkmcnt(0)
	s_add_u32 s10, s0, s2
	s_addc_u32 s11, s1, s3
.LBB130_14:
	s_waitcnt lgkmcnt(0)
	s_load_dwordx4 s[0:3], s[4:5], 0x70
	s_lshl_b64 s[4:5], s[22:23], 3
	s_add_u32 s4, s24, s4
	s_addc_u32 s5, s25, s5
	s_load_dwordx2 s[4:5], s[4:5], 0x0
	s_waitcnt lgkmcnt(0)
	s_lshl_b64 s[0:1], s[0:1], 2
	s_add_u32 s4, s4, s0
	s_addc_u32 s5, s5, s1
	s_lshl_b32 s6, s6, 5
	s_ashr_i32 s7, s6, 31
	s_mul_hi_u32 s0, s2, s6
	s_mul_i32 s1, s2, s7
	s_add_i32 s0, s0, s1
	s_mul_i32 s1, s3, s6
	s_add_i32 s1, s0, s1
	s_mul_i32 s0, s2, s6
	s_lshl_b64 s[0:1], s[0:1], 2
	s_add_u32 s14, s4, s0
	s_addc_u32 s15, s5, s1
	s_mov_b64 s[4:5], -1
	s_andn2_b64 vcc, exec, s[18:19]
	v_cmp_eq_u32_e64 s[0:1], 0, v1
	s_cbranch_vccnz .LBB130_18
; %bb.15:
	s_and_saveexec_b64 s[4:5], s[0:1]
	s_cbranch_execz .LBB130_17
; %bb.16:
	v_mad_u64_u32 v[2:3], s[0:1], s2, v0, 0
	v_mad_u64_u32 v[3:4], s[0:1], s3, v0, v[3:4]
	v_mov_b32_e32 v4, s15
	v_lshlrev_b64 v[2:3], 2, v[2:3]
	v_add_co_u32_e32 v2, vcc, s14, v2
	v_addc_co_u32_e32 v3, vcc, v4, v3, vcc
	flat_load_dword v4, v[2:3]
	s_waitcnt vmcnt(0) lgkmcnt(0)
	v_mul_f32_e32 v4, s16, v4
	flat_store_dword v[2:3], v4
.LBB130_17:
	s_or_b64 exec, exec, s[4:5]
	s_mov_b64 s[4:5], 0
.LBB130_18:
	s_andn2_b64 vcc, exec, s[4:5]
	s_cbranch_vccnz .LBB130_42
; %bb.19:
	v_mov_b32_e32 v10, 0
	v_cmp_eq_u32_e64 s[0:1], 0, v1
	s_and_saveexec_b64 s[4:5], s[0:1]
	s_cbranch_execz .LBB130_23
; %bb.20:
	v_cmp_eq_f32_e64 s[18:19], s16, 0
	v_mov_b32_e32 v10, 0
	s_and_b64 vcc, exec, s[18:19]
	s_cbranch_vccnz .LBB130_22
; %bb.21:
	v_mad_u64_u32 v[2:3], s[18:19], s2, v0, 0
	v_mad_u64_u32 v[3:4], s[18:19], s3, v0, v[3:4]
	v_mov_b32_e32 v4, s15
	v_lshlrev_b64 v[2:3], 2, v[2:3]
	v_add_co_u32_e32 v2, vcc, s14, v2
	v_addc_co_u32_e32 v3, vcc, v4, v3, vcc
	flat_load_dword v2, v[2:3]
	s_waitcnt vmcnt(0) lgkmcnt(0)
	v_mul_f32_e32 v10, s16, v2
.LBB130_22:
	s_mul_i32 s17, s12, s7
	s_mul_hi_u32 s18, s12, s6
	s_add_i32 s17, s18, s17
	v_mad_u64_u32 v[2:3], s[18:19], s12, v0, 0
	s_mul_i32 s18, s13, s6
	s_add_i32 s19, s17, s18
	s_mul_i32 s18, s12, s6
	v_mad_u64_u32 v[3:4], s[12:13], s13, v0, v[3:4]
	s_lshl_b64 s[12:13], s[18:19], 2
	s_add_u32 s10, s10, s12
	v_lshlrev_b64 v[2:3], 2, v[2:3]
	s_addc_u32 s11, s11, s13
	v_mov_b32_e32 v4, s11
	v_add_co_u32_e32 v2, vcc, s10, v2
	v_addc_co_u32_e32 v3, vcc, v4, v3, vcc
	flat_load_dword v2, v[2:3]
	v_lshlrev_b32_e32 v3, 2, v0
	s_waitcnt vmcnt(0) lgkmcnt(0)
	ds_write_b32 v3, v2 offset:5120
.LBB130_23:
	s_or_b64 exec, exec, s[4:5]
	s_add_u32 s10, s20, 1
	s_mul_i32 s4, s10, s7
	s_mul_hi_u32 s5, s10, s6
	s_addc_u32 s11, s21, 0
	s_add_i32 s7, s5, s4
	v_mad_u64_u32 v[2:3], s[4:5], s20, v1, 0
	s_mul_i32 s11, s11, s6
	s_add_i32 s5, s7, s11
	s_mul_i32 s4, s10, s6
	v_mad_u64_u32 v[3:4], s[6:7], s21, v1, v[3:4]
	s_lshl_b64 s[4:5], s[4:5], 2
	s_add_u32 s4, s8, s4
	v_lshlrev_b64 v[2:3], 2, v[2:3]
	s_addc_u32 s5, s9, s5
	v_mov_b32_e32 v4, s5
	v_add_co_u32_e32 v2, vcc, s4, v2
	v_addc_co_u32_e32 v3, vcc, v4, v3, vcc
	v_lshlrev_b32_e32 v11, 2, v0
	v_add_co_u32_e32 v2, vcc, v2, v11
	v_addc_co_u32_e32 v3, vcc, 0, v3, vcc
	v_cmp_lt_u32_e32 vcc, 15, v0
	s_mul_i32 s12, s21, 12
	s_mul_hi_u32 s13, s20, 12
	s_mul_i32 s4, s20, 12
                                        ; implicit-def: $sgpr8_sgpr9
                                        ; implicit-def: $sgpr10_sgpr11
	s_and_saveexec_b64 s[6:7], vcc
	s_xor_b64 s[6:7], exec, s[6:7]
; %bb.24:
	s_lshl_b64 s[8:9], s[20:21], 2
	s_lshl_b64 s[10:11], s[20:21], 3
	s_add_i32 s5, s13, s12
; %bb.25:
	s_or_saveexec_b64 s[6:7], s[6:7]
	v_mov_b32_e32 v4, s4
	v_mov_b32_e32 v6, s10
	;; [unrolled: 1-line block ×6, first 2 shown]
	v_lshlrev_b32_e32 v12, 7, v1
	s_xor_b64 exec, exec, s[6:7]
	s_cbranch_execz .LBB130_27
; %bb.26:
	s_lshl_b64 s[8:9], s[20:21], 4
	v_mov_b32_e32 v9, s9
	v_add_co_u32_e32 v4, vcc, s8, v2
	v_addc_co_u32_e32 v5, vcc, v3, v9, vcc
	v_add_co_u32_e32 v6, vcc, s8, v4
	v_addc_co_u32_e32 v7, vcc, v5, v9, vcc
	;; [unrolled: 2-line block ×3, first 2 shown]
	flat_load_dword v13, v[2:3]
	flat_load_dword v14, v[4:5]
	;; [unrolled: 1-line block ×4, first 2 shown]
	v_lshl_add_u32 v8, v0, 2, v12
	s_lshl_b64 s[8:9], s[20:21], 2
	s_lshl_b64 s[10:11], s[20:21], 3
	s_add_i32 s5, s13, s12
	v_mov_b32_e32 v4, s4
	v_mov_b32_e32 v6, s10
	;; [unrolled: 1-line block ×4, first 2 shown]
	s_waitcnt vmcnt(0) lgkmcnt(0)
	ds_write2st64_b32 v8, v13, v14 offset1:2
	ds_write2st64_b32 v8, v15, v16 offset0:4 offset1:6
	v_mov_b32_e32 v8, s8
	v_mov_b32_e32 v9, s9
.LBB130_27:
	s_or_b64 exec, exec, s[6:7]
	s_lshl_b64 s[4:5], s[20:21], 6
	v_mov_b32_e32 v13, s5
	v_add_co_u32_e32 v2, vcc, s4, v2
	v_lshlrev_b64 v[8:9], 2, v[8:9]
	v_addc_co_u32_e32 v3, vcc, v3, v13, vcc
	v_add_co_u32_e32 v8, vcc, v2, v8
	v_lshlrev_b64 v[6:7], 2, v[6:7]
	v_addc_co_u32_e32 v9, vcc, v3, v9, vcc
	;; [unrolled: 3-line block ×3, first 2 shown]
	v_add_co_u32_e32 v4, vcc, v2, v4
	v_addc_co_u32_e32 v5, vcc, v3, v5, vcc
	flat_load_dword v13, v[2:3]
	flat_load_dword v14, v[8:9]
	;; [unrolled: 1-line block ×4, first 2 shown]
	v_add_u32_e32 v2, 0x800, v12
	v_add_u32_e32 v6, 0xe00, v12
	v_sub_u32_e32 v7, v0, v1
	s_movk_i32 s4, 0x7c
	v_add_u32_e32 v3, v11, v2
	v_add_u32_e32 v2, v11, v6
	v_sub_u32_e32 v6, 0, v7
	v_add_u32_e32 v4, 0xa00, v12
	v_add_u32_e32 v5, 0xc00, v12
	v_mad_u32_u24 v9, v0, s4, v11
	v_max_i32_e32 v8, v7, v6
	v_add_u32_e32 v4, v11, v4
	v_add_u32_e32 v5, v11, v5
	v_cmp_lt_u32_e32 vcc, 16, v8
	v_lshl_add_u32 v7, v1, 2, v9
	s_waitcnt vmcnt(0) lgkmcnt(0)
	ds_write_b32 v3, v13
	ds_write_b32 v4, v14
	;; [unrolled: 1-line block ×4, first 2 shown]
	s_waitcnt lgkmcnt(0)
	s_barrier
	s_and_saveexec_b64 s[4:5], vcc
	s_cbranch_execnz .LBB130_43
; %bb.28:
	s_or_b64 exec, exec, s[4:5]
	v_cmp_lt_u32_e32 vcc, 20, v8
	s_and_saveexec_b64 s[4:5], vcc
	s_cbranch_execnz .LBB130_44
.LBB130_29:
	s_or_b64 exec, exec, s[4:5]
	v_cmp_lt_u32_e32 vcc, 24, v8
	s_and_saveexec_b64 s[4:5], vcc
	s_cbranch_execnz .LBB130_45
.LBB130_30:
	s_or_b64 exec, exec, s[4:5]
	v_cmp_lt_u32_e32 vcc, 28, v8
	s_and_saveexec_b64 s[4:5], vcc
	s_cbranch_execz .LBB130_32
.LBB130_31:
	ds_read_b32 v6, v7 offset:112
	s_waitcnt lgkmcnt(0)
	ds_write_b32 v2, v6
.LBB130_32:
	s_or_b64 exec, exec, s[4:5]
	v_lshlrev_b32_e32 v6, 5, v1
	v_cmp_ge_u32_e32 vcc, v0, v1
	s_and_saveexec_b64 s[4:5], vcc
	s_cbranch_execz .LBB130_34
; %bb.33:
	ds_read_b32 v9, v7
	v_lshl_add_u32 v12, v6, 2, v11
	s_waitcnt lgkmcnt(0)
	ds_write_b32 v12, v9
.LBB130_34:
	s_or_b64 exec, exec, s[4:5]
	v_cmp_lt_u32_e32 vcc, 4, v8
	v_lshl_add_u32 v9, v1, 7, v11
	s_and_saveexec_b64 s[4:5], vcc
	s_cbranch_execz .LBB130_36
; %bb.35:
	ds_read_b32 v12, v7 offset:16
	s_waitcnt lgkmcnt(0)
	ds_write_b32 v9, v12 offset:512
.LBB130_36:
	s_or_b64 exec, exec, s[4:5]
	v_cmp_lt_u32_e32 vcc, 8, v8
	s_and_saveexec_b64 s[4:5], vcc
	s_cbranch_execz .LBB130_38
; %bb.37:
	ds_read_b32 v12, v7 offset:32
	s_waitcnt lgkmcnt(0)
	ds_write_b32 v9, v12 offset:1024
.LBB130_38:
	s_or_b64 exec, exec, s[4:5]
	v_cmp_lt_u32_e32 vcc, 12, v8
	v_mov_b32_e32 v8, 0x600
	v_lshl_add_u32 v8, v1, 7, v8
	v_add_u32_e32 v8, v11, v8
	s_and_saveexec_b64 s[4:5], vcc
	s_cbranch_execz .LBB130_40
; %bb.39:
	ds_read_b32 v7, v7 offset:48
	s_waitcnt lgkmcnt(0)
	ds_write_b32 v8, v7
.LBB130_40:
	s_or_b64 exec, exec, s[4:5]
	s_waitcnt lgkmcnt(0)
	s_barrier
	ds_read2st64_b32 v[12:13], v9 offset1:2
	v_lshlrev_b32_e32 v1, 2, v1
	v_add_u32_e32 v1, 0x1400, v1
	ds_read2_b32 v[14:15], v1 offset1:4
	ds_read2_b32 v[16:17], v1 offset0:8 offset1:12
	ds_read_b32 v7, v9 offset:1024
	s_waitcnt lgkmcnt(2)
	v_fma_f32 v9, v12, v14, 0
	ds_read_b32 v14, v8
	v_fmac_f32_e32 v9, v13, v15
	s_waitcnt lgkmcnt(1)
	v_fmac_f32_e32 v9, v7, v16
	ds_read2_b32 v[7:8], v1 offset0:16 offset1:20
	ds_read2_b32 v[12:13], v1 offset0:24 offset1:28
	ds_read_b32 v1, v3
	ds_read_b32 v3, v4
	ds_read_b32 v4, v5
	ds_read_b32 v2, v2
	s_waitcnt lgkmcnt(6)
	v_fmac_f32_e32 v9, v14, v17
	s_waitcnt lgkmcnt(3)
	v_fmac_f32_e32 v9, v1, v7
	;; [unrolled: 2-line block ×5, first 2 shown]
	v_add_lshl_u32 v1, v6, v0, 2
	ds_write_b32 v1, v9 offset:4096
	s_waitcnt lgkmcnt(0)
	s_barrier
	s_and_saveexec_b64 s[4:5], s[0:1]
	s_cbranch_execz .LBB130_42
; %bb.41:
	v_add_u32_e32 v5, 0x1000, v11
	ds_read2_b32 v[1:2], v5 offset1:32
	ds_read2_b32 v[5:6], v5 offset0:64 offset1:96
	v_mad_u64_u32 v[3:4], s[0:1], s2, v0, 0
	v_cmp_neq_f32_e64 vcc, s16, 0
	s_waitcnt lgkmcnt(1)
	v_add_f32_e32 v1, 0, v1
	v_add_f32_e32 v1, v1, v2
	s_waitcnt lgkmcnt(0)
	v_add_f32_e32 v1, v1, v5
	v_add_f32_e32 v2, v1, v6
	v_mul_f32_e32 v5, s28, v2
	v_mad_u64_u32 v[0:1], s[0:1], s3, v0, v[4:5]
	v_fmac_f32_e32 v10, s28, v2
	v_cndmask_b32_e32 v2, v5, v10, vcc
	v_mov_b32_e32 v4, v0
	v_lshlrev_b64 v[0:1], 2, v[3:4]
	v_mov_b32_e32 v3, s15
	v_add_co_u32_e32 v0, vcc, s14, v0
	v_addc_co_u32_e32 v1, vcc, v3, v1, vcc
	flat_store_dword v[0:1], v2
.LBB130_42:
	s_endpgm
.LBB130_43:
	ds_read_b32 v6, v7 offset:64
	s_waitcnt lgkmcnt(0)
	ds_write_b32 v3, v6
	s_or_b64 exec, exec, s[4:5]
	v_cmp_lt_u32_e32 vcc, 20, v8
	s_and_saveexec_b64 s[4:5], vcc
	s_cbranch_execz .LBB130_29
.LBB130_44:
	ds_read_b32 v6, v7 offset:80
	s_waitcnt lgkmcnt(0)
	ds_write_b32 v4, v6
	s_or_b64 exec, exec, s[4:5]
	v_cmp_lt_u32_e32 vcc, 24, v8
	s_and_saveexec_b64 s[4:5], vcc
	s_cbranch_execz .LBB130_30
.LBB130_45:
	ds_read_b32 v6, v7 offset:96
	s_waitcnt lgkmcnt(0)
	ds_write_b32 v5, v6
	s_or_b64 exec, exec, s[4:5]
	v_cmp_lt_u32_e32 vcc, 28, v8
	s_and_saveexec_b64 s[4:5], vcc
	s_cbranch_execnz .LBB130_31
	s_branch .LBB130_32
	.section	.rodata,"a",@progbits
	.p2align	6, 0x0
	.amdhsa_kernel _ZL50rocblas_symv_kernel_upper_double_buffered_diagonalILi32ELi4E24rocblas_internal_val_ptrIfEPKPKfPKPfEvbiT1_lT2_lllSA_lllS9_lT3_llli
		.amdhsa_group_segment_fixed_size 5248
		.amdhsa_private_segment_fixed_size 0
		.amdhsa_kernarg_size 140
		.amdhsa_user_sgpr_count 6
		.amdhsa_user_sgpr_private_segment_buffer 1
		.amdhsa_user_sgpr_dispatch_ptr 0
		.amdhsa_user_sgpr_queue_ptr 0
		.amdhsa_user_sgpr_kernarg_segment_ptr 1
		.amdhsa_user_sgpr_dispatch_id 0
		.amdhsa_user_sgpr_flat_scratch_init 0
		.amdhsa_user_sgpr_private_segment_size 0
		.amdhsa_uses_dynamic_stack 0
		.amdhsa_system_sgpr_private_segment_wavefront_offset 0
		.amdhsa_system_sgpr_workgroup_id_x 1
		.amdhsa_system_sgpr_workgroup_id_y 0
		.amdhsa_system_sgpr_workgroup_id_z 1
		.amdhsa_system_sgpr_workgroup_info 0
		.amdhsa_system_vgpr_workitem_id 1
		.amdhsa_next_free_vgpr 37
		.amdhsa_next_free_sgpr 93
		.amdhsa_reserve_vcc 1
		.amdhsa_reserve_flat_scratch 0
		.amdhsa_float_round_mode_32 0
		.amdhsa_float_round_mode_16_64 0
		.amdhsa_float_denorm_mode_32 3
		.amdhsa_float_denorm_mode_16_64 3
		.amdhsa_dx10_clamp 1
		.amdhsa_ieee_mode 1
		.amdhsa_fp16_overflow 0
		.amdhsa_exception_fp_ieee_invalid_op 0
		.amdhsa_exception_fp_denorm_src 0
		.amdhsa_exception_fp_ieee_div_zero 0
		.amdhsa_exception_fp_ieee_overflow 0
		.amdhsa_exception_fp_ieee_underflow 0
		.amdhsa_exception_fp_ieee_inexact 0
		.amdhsa_exception_int_div_zero 0
	.end_amdhsa_kernel
	.section	.text._ZL50rocblas_symv_kernel_upper_double_buffered_diagonalILi32ELi4E24rocblas_internal_val_ptrIfEPKPKfPKPfEvbiT1_lT2_lllSA_lllS9_lT3_llli,"axG",@progbits,_ZL50rocblas_symv_kernel_upper_double_buffered_diagonalILi32ELi4E24rocblas_internal_val_ptrIfEPKPKfPKPfEvbiT1_lT2_lllSA_lllS9_lT3_llli,comdat
.Lfunc_end130:
	.size	_ZL50rocblas_symv_kernel_upper_double_buffered_diagonalILi32ELi4E24rocblas_internal_val_ptrIfEPKPKfPKPfEvbiT1_lT2_lllSA_lllS9_lT3_llli, .Lfunc_end130-_ZL50rocblas_symv_kernel_upper_double_buffered_diagonalILi32ELi4E24rocblas_internal_val_ptrIfEPKPKfPKPfEvbiT1_lT2_lllSA_lllS9_lT3_llli
                                        ; -- End function
	.set _ZL50rocblas_symv_kernel_upper_double_buffered_diagonalILi32ELi4E24rocblas_internal_val_ptrIfEPKPKfPKPfEvbiT1_lT2_lllSA_lllS9_lT3_llli.num_vgpr, 18
	.set _ZL50rocblas_symv_kernel_upper_double_buffered_diagonalILi32ELi4E24rocblas_internal_val_ptrIfEPKPKfPKPfEvbiT1_lT2_lllSA_lllS9_lT3_llli.num_agpr, 0
	.set _ZL50rocblas_symv_kernel_upper_double_buffered_diagonalILi32ELi4E24rocblas_internal_val_ptrIfEPKPKfPKPfEvbiT1_lT2_lllSA_lllS9_lT3_llli.numbered_sgpr, 29
	.set _ZL50rocblas_symv_kernel_upper_double_buffered_diagonalILi32ELi4E24rocblas_internal_val_ptrIfEPKPKfPKPfEvbiT1_lT2_lllSA_lllS9_lT3_llli.num_named_barrier, 0
	.set _ZL50rocblas_symv_kernel_upper_double_buffered_diagonalILi32ELi4E24rocblas_internal_val_ptrIfEPKPKfPKPfEvbiT1_lT2_lllSA_lllS9_lT3_llli.private_seg_size, 0
	.set _ZL50rocblas_symv_kernel_upper_double_buffered_diagonalILi32ELi4E24rocblas_internal_val_ptrIfEPKPKfPKPfEvbiT1_lT2_lllSA_lllS9_lT3_llli.uses_vcc, 1
	.set _ZL50rocblas_symv_kernel_upper_double_buffered_diagonalILi32ELi4E24rocblas_internal_val_ptrIfEPKPKfPKPfEvbiT1_lT2_lllSA_lllS9_lT3_llli.uses_flat_scratch, 0
	.set _ZL50rocblas_symv_kernel_upper_double_buffered_diagonalILi32ELi4E24rocblas_internal_val_ptrIfEPKPKfPKPfEvbiT1_lT2_lllSA_lllS9_lT3_llli.has_dyn_sized_stack, 0
	.set _ZL50rocblas_symv_kernel_upper_double_buffered_diagonalILi32ELi4E24rocblas_internal_val_ptrIfEPKPKfPKPfEvbiT1_lT2_lllSA_lllS9_lT3_llli.has_recursion, 0
	.set _ZL50rocblas_symv_kernel_upper_double_buffered_diagonalILi32ELi4E24rocblas_internal_val_ptrIfEPKPKfPKPfEvbiT1_lT2_lllSA_lllS9_lT3_llli.has_indirect_call, 0
	.section	.AMDGPU.csdata,"",@progbits
; Kernel info:
; codeLenInByte = 1988
; TotalNumSgprs: 33
; NumVgprs: 18
; ScratchSize: 0
; MemoryBound: 0
; FloatMode: 240
; IeeeMode: 1
; LDSByteSize: 5248 bytes/workgroup (compile time only)
; SGPRBlocks: 12
; VGPRBlocks: 9
; NumSGPRsForWavesPerEU: 97
; NumVGPRsForWavesPerEU: 37
; Occupancy: 6
; WaveLimiterHint : 1
; COMPUTE_PGM_RSRC2:SCRATCH_EN: 0
; COMPUTE_PGM_RSRC2:USER_SGPR: 6
; COMPUTE_PGM_RSRC2:TRAP_HANDLER: 0
; COMPUTE_PGM_RSRC2:TGID_X_EN: 1
; COMPUTE_PGM_RSRC2:TGID_Y_EN: 0
; COMPUTE_PGM_RSRC2:TGID_Z_EN: 1
; COMPUTE_PGM_RSRC2:TIDIG_COMP_CNT: 1
	.section	.text._ZL54rocblas_symv_kernel_upper_double_buffered_non_diagonalILi32ELi4ELi4E24rocblas_internal_val_ptrIfEPKPKfPKPfEvbiT2_lT3_lllSA_lllT4_llli,"axG",@progbits,_ZL54rocblas_symv_kernel_upper_double_buffered_non_diagonalILi32ELi4ELi4E24rocblas_internal_val_ptrIfEPKPKfPKPfEvbiT2_lT3_lllSA_lllT4_llli,comdat
	.globl	_ZL54rocblas_symv_kernel_upper_double_buffered_non_diagonalILi32ELi4ELi4E24rocblas_internal_val_ptrIfEPKPKfPKPfEvbiT2_lT3_lllSA_lllT4_llli ; -- Begin function _ZL54rocblas_symv_kernel_upper_double_buffered_non_diagonalILi32ELi4ELi4E24rocblas_internal_val_ptrIfEPKPKfPKPfEvbiT2_lT3_lllSA_lllT4_llli
	.p2align	8
	.type	_ZL54rocblas_symv_kernel_upper_double_buffered_non_diagonalILi32ELi4ELi4E24rocblas_internal_val_ptrIfEPKPKfPKPfEvbiT2_lT3_lllSA_lllT4_llli,@function
_ZL54rocblas_symv_kernel_upper_double_buffered_non_diagonalILi32ELi4ELi4E24rocblas_internal_val_ptrIfEPKPKfPKPfEvbiT2_lT3_lllSA_lllT4_llli: ; @_ZL54rocblas_symv_kernel_upper_double_buffered_non_diagonalILi32ELi4ELi4E24rocblas_internal_val_ptrIfEPKPKfPKPfEvbiT2_lT3_lllSA_lllT4_llli
; %bb.0:
	s_load_dword s0, s[4:5], 0x0
	s_load_dwordx8 s[12:19], s[4:5], 0x8
	s_load_dwordx2 s[10:11], s[4:5], 0x28
	s_waitcnt lgkmcnt(0)
	s_bitcmp0_b32 s0, 0
	s_cbranch_scc0 .LBB131_2
; %bb.1:
	s_mul_i32 s0, s15, s8
	s_mul_hi_u32 s1, s14, s8
	s_add_i32 s1, s1, s0
	s_mul_i32 s0, s14, s8
	s_lshl_b64 s[0:1], s[0:1], 2
	s_add_u32 s0, s12, s0
	s_addc_u32 s1, s13, s1
	s_load_dword s20, s[0:1], 0x0
	s_cbranch_execz .LBB131_3
	s_branch .LBB131_4
.LBB131_2:
                                        ; implicit-def: $sgpr20
.LBB131_3:
	s_waitcnt lgkmcnt(0)
	s_mov_b32 s20, s12
.LBB131_4:
	s_waitcnt lgkmcnt(0)
	v_cmp_eq_f32_e64 s[0:1], s20, 0
	s_and_b64 vcc, exec, s[0:1]
	s_cbranch_vccnz .LBB131_29
; %bb.5:
	s_load_dword s21, s[4:5], 0x84
	s_cmp_eq_u32 s6, 0
	s_waitcnt lgkmcnt(0)
	v_cvt_f32_u32_e32 v2, s21
	v_rcp_iflag_f32_e32 v2, v2
	v_mul_f32_e32 v2, 0x4f7ffffe, v2
	v_cvt_u32_f32_e32 v2, v2
	v_readfirstlane_b32 s0, v2
	s_cbranch_scc1 .LBB131_29
; %bb.6:
	s_sub_i32 s1, 0, s21
	s_mul_i32 s1, s1, s0
	s_mul_hi_u32 s1, s0, s1
	s_add_i32 s22, s0, s1
	s_load_dwordx4 s[0:3], s[4:5], 0x38
	s_load_dwordx2 s[12:13], s[4:5], 0x48
	s_mov_b32 s9, 0
	s_lshl_b64 s[14:15], s[8:9], 3
	s_add_u32 s8, s16, s14
	s_addc_u32 s9, s17, s15
	s_waitcnt lgkmcnt(0)
	s_add_u32 s0, s0, s14
	s_addc_u32 s1, s1, s15
	s_load_dwordx2 s[24:25], s[0:1], 0x0
	s_load_dwordx2 s[26:27], s[4:5], 0x58
	s_lshl_b64 s[0:1], s[2:3], 2
	s_mul_hi_u32 s17, s6, s22
	v_cmp_eq_u32_e32 vcc, 0, v1
	s_waitcnt lgkmcnt(0)
	s_add_u32 s23, s24, s0
	s_addc_u32 s24, s25, s1
	s_add_u32 s14, s26, s14
	s_addc_u32 s15, s27, s15
	s_lshl_b32 s16, s6, 5
	s_ashr_i32 s22, s16, 31
	s_and_saveexec_b64 s[2:3], vcc
	s_cbranch_execz .LBB131_8
; %bb.7:
	s_mul_i32 s0, s12, s22
	s_mul_hi_u32 s1, s12, s16
	s_add_i32 s25, s1, s0
	v_mad_u64_u32 v[2:3], s[0:1], s12, v0, 0
	s_mul_i32 s0, s13, s16
	s_add_i32 s1, s25, s0
	v_mad_u64_u32 v[3:4], s[26:27], s13, v0, v[3:4]
	s_mul_i32 s0, s12, s16
	s_lshl_b64 s[0:1], s[0:1], 2
	s_add_u32 s0, s23, s0
	v_lshlrev_b64 v[2:3], 2, v[2:3]
	s_addc_u32 s1, s24, s1
	v_mov_b32_e32 v4, s1
	v_add_co_u32_e64 v2, s[0:1], s0, v2
	v_addc_co_u32_e64 v3, s[0:1], v4, v3, s[0:1]
	flat_load_dword v2, v[2:3]
	v_lshlrev_b32_e32 v3, 2, v0
	s_waitcnt vmcnt(0) lgkmcnt(0)
	ds_write_b32 v3, v2 offset:3072
.LBB131_8:
	s_or_b64 exec, exec, s[2:3]
	s_mul_i32 s0, s17, s21
	s_sub_i32 s0, s6, s0
	s_add_i32 s1, s17, 1
	s_sub_i32 s2, s0, s21
	s_cmp_ge_u32 s0, s21
	s_cselect_b32 s1, s1, s17
	s_cselect_b32 s0, s2, s0
	s_add_i32 s2, s1, 1
	s_cmp_ge_u32 s0, s21
	s_cselect_b32 s26, s2, s1
	s_add_i32 s0, s21, -1
	s_cmp_lg_u32 s7, s0
	s_mov_b32 s25, s26
	s_cbranch_scc1 .LBB131_10
; %bb.9:
	s_mul_i32 s0, s26, s21
	s_sub_i32 s0, s6, s0
	s_add_i32 s25, s0, s26
.LBB131_10:
	s_cmp_eq_u32 s25, 0
	s_cbranch_scc1 .LBB131_29
; %bb.11:
	s_load_dwordx4 s[0:3], s[4:5], 0x60
	s_load_dwordx2 s[28:29], s[14:15], 0x0
	v_lshl_add_u32 v2, v1, 5, v0
	v_and_b32_e32 v1, 15, v0
	v_lshrrev_b32_e32 v17, 4, v2
	s_waitcnt lgkmcnt(0)
	s_lshl_b64 s[0:1], s[0:1], 2
	s_add_u32 s17, s28, s0
	s_addc_u32 s21, s29, s1
	s_cmp_lt_i32 s25, 1
	s_barrier
	s_cbranch_scc1 .LBB131_20
; %bb.12:
	s_load_dwordx2 s[0:1], s[8:9], 0x0
	s_mul_i32 s7, s7, s26
	s_lshl_b32 s6, s7, 5
	s_lshl_b64 s[4:5], s[18:19], 2
	s_ashr_i32 s7, s6, 31
	s_waitcnt lgkmcnt(0)
	s_add_u32 s8, s0, s4
	s_addc_u32 s9, s1, s5
	s_mul_i32 s0, s10, s22
	s_mul_hi_u32 s1, s10, s16
	v_lshlrev_b32_e32 v5, 2, v17
	v_mov_b32_e32 v2, 0
	s_add_i32 s0, s1, s0
	s_mul_i32 s1, s11, s16
	v_mad_u64_u32 v[3:4], s[4:5], s10, v5, v[1:2]
	s_add_i32 s1, s0, s1
	s_mul_i32 s0, s10, s16
	s_lshl_b64 s[0:1], s[0:1], 2
	s_add_u32 s4, s8, s0
	s_addc_u32 s5, s9, s1
	v_mad_u64_u32 v[4:5], s[0:1], s11, v5, v[4:5]
	s_lshl_b64 s[0:1], s[6:7], 2
	s_add_u32 s18, s4, s0
	v_lshlrev_b64 v[5:6], 2, v[3:4]
	s_addc_u32 s19, s5, s1
	v_mov_b32_e32 v4, s19
	v_add_co_u32_e64 v3, s[0:1], s18, v5
	v_addc_co_u32_e64 v4, s[0:1], v4, v6, s[0:1]
	s_lshl_b64 s[4:5], s[10:11], 2
	v_mov_b32_e32 v14, s5
	v_add_co_u32_e64 v7, s[0:1], s4, v3
	v_addc_co_u32_e64 v8, s[0:1], v4, v14, s[0:1]
	v_add_co_u32_e64 v9, s[0:1], s4, v7
	v_addc_co_u32_e64 v10, s[0:1], v8, v14, s[0:1]
	v_mad_u64_u32 v[11:12], s[0:1], s12, v1, 0
	v_add_co_u32_e64 v13, s[0:1], s4, v9
	v_addc_co_u32_e64 v14, s[0:1], v10, v14, s[0:1]
	v_mad_u64_u32 v[15:16], s[0:1], s13, v1, v[12:13]
	s_mul_i32 s0, s2, s7
	s_mul_hi_u32 s1, s2, s6
	s_add_i32 s0, s1, s0
	s_mul_i32 s1, s3, s6
	s_add_i32 s1, s0, s1
	s_mul_i32 s0, s2, s6
	s_lshl_b64 s[0:1], s[0:1], 2
	s_add_u32 s14, s17, s0
	s_addc_u32 s15, s21, s1
	s_mul_i32 s0, s12, s7
	s_mul_hi_u32 s1, s12, s6
	s_add_i32 s0, s1, s0
	s_mul_i32 s1, s13, s6
	s_add_i32 s1, s0, s1
	s_mul_i32 s0, s12, s6
	v_mov_b32_e32 v12, v15
	s_lshl_b64 s[0:1], s[0:1], 2
	s_add_u32 s23, s23, s0
	v_lshlrev_b64 v[11:12], 2, v[11:12]
	s_addc_u32 s24, s24, s1
	flat_load_dword v25, v[3:4]
	flat_load_dword v26, v[7:8]
	;; [unrolled: 1-line block ×4, first 2 shown]
	v_mov_b32_e32 v4, s24
	v_add_co_u32_e64 v3, s[0:1], s23, v11
	v_addc_co_u32_e64 v4, s[0:1], v4, v12, s[0:1]
	flat_load_dword v29, v[3:4]
	v_or_b32_e32 v4, 16, v1
	v_mad_u64_u32 v[9:10], s[0:1], s12, v4, 0
	v_mov_b32_e32 v13, 0x800
	v_mov_b32_e32 v14, 0xc00
	;; [unrolled: 1-line block ×3, first 2 shown]
	v_mad_u64_u32 v[7:8], s[0:1], s13, v4, v[3:4]
	v_mad_u64_u32 v[3:4], s[0:1], s2, v0, 0
	v_mov_b32_e32 v10, v7
	v_lshl_or_b32 v22, v1, 2, v13
	v_mad_u64_u32 v[7:8], s[0:1], s3, v0, v[4:5]
	v_lshl_add_u32 v24, v17, 4, v14
	v_lshlrev_b32_e32 v23, 7, v17
	v_lshl_or_b32 v21, v0, 2, v13
	v_mov_b32_e32 v4, v7
	s_cmp_eq_u32 s25, 1
	s_cbranch_scc1 .LBB131_21
; %bb.13:
	s_lshl_b64 s[6:7], s[12:13], 7
	s_lshl_b64 s[8:9], s[2:3], 7
	s_add_i32 s25, s25, -2
	s_lshl_b64 s[0:1], s[10:11], 3
	s_sub_u32 s26, 0, s0
	v_mov_b32_e32 v18, 0
	v_mov_b32_e32 v7, s14
	s_subb_u32 s27, 0, s1
	s_mov_b32 s28, 0
	v_mov_b32_e32 v8, s15
	v_mov_b32_e32 v20, 0
	;; [unrolled: 1-line block ×4, first 2 shown]
.LBB131_14:                             ; =>This Loop Header: Depth=1
                                        ;     Child Loop BB131_16 Depth 2
	v_mov_b32_e32 v14, s19
	v_add_co_u32_e64 v13, s[0:1], s18, v5
	v_addc_co_u32_e64 v14, s[0:1], v14, v6, s[0:1]
	v_mov_b32_e32 v16, s5
	v_add_co_u32_e64 v15, s[0:1], s4, v13
	v_addc_co_u32_e64 v16, s[0:1], v14, v16, s[0:1]
	;; [unrolled: 3-line block ×3, first 2 shown]
	v_add_co_u32_e64 v32, s[0:1], s4, v30
	v_addc_co_u32_e64 v33, s[0:1], v31, v34, s[0:1]
	flat_load_dword v38, v[13:14] offset:64
	flat_load_dword v36, v[15:16] offset:64
	;; [unrolled: 1-line block ×4, first 2 shown]
	v_lshlrev_b64 v[15:16], 2, v[9:10]
	v_mov_b32_e32 v30, s24
	v_add_co_u32_e64 v15, s[0:1], s23, v15
	v_addc_co_u32_e64 v16, s[0:1], v30, v16, s[0:1]
	v_mov_b32_e32 v31, s27
	flat_load_dword v39, v[15:16]
	v_add_co_u32_e64 v15, s[0:1], s26, v32
	v_addc_co_u32_e64 v16, s[0:1], v33, v31, s[0:1]
	v_add_co_u32_e64 v40, s[0:1], s4, v15
	v_addc_co_u32_e64 v41, s[0:1], v16, v34, s[0:1]
	v_add_co_u32_e64 v42, s[0:1], s4, v40
	s_add_u32 s23, s23, s6
	v_addc_co_u32_e64 v43, s[0:1], v41, v34, s[0:1]
	s_addc_u32 s24, s24, s7
	v_mov_b32_e32 v30, s24
	v_add_co_u32_e64 v44, s[0:1], s23, v11
	v_addc_co_u32_e64 v45, s[0:1], v30, v12, s[0:1]
	flat_load_dword v34, v[44:45]
	flat_load_dword v32, v[15:16] offset:128
	flat_load_dword v31, v[40:41] offset:128
	;; [unrolled: 1-line block ×4, first 2 shown]
	ds_read_b128 v[13:16], v24
	v_add_u32_e32 v40, v22, v23
	s_waitcnt vmcnt(0) lgkmcnt(0)
	s_barrier
	v_fma_f32 v41, v25, v13, 0
	v_fmac_f32_e32 v41, v26, v14
	v_fmac_f32_e32 v41, v27, v15
	;; [unrolled: 1-line block ×3, first 2 shown]
	v_fma_f32 v13, v38, v13, 0
	v_fmac_f32_e32 v13, v36, v14
	v_fmac_f32_e32 v13, v35, v15
	;; [unrolled: 1-line block ×3, first 2 shown]
	ds_write2_b32 v40, v41, v13 offset1:16
	s_waitcnt lgkmcnt(0)
	s_barrier
	s_and_saveexec_b64 s[10:11], vcc
	s_cbranch_execz .LBB131_18
; %bb.15:                               ;   in Loop: Header=BB131_14 Depth=1
	v_lshlrev_b64 v[13:14], 2, v[3:4]
	s_mov_b64 s[12:13], 0
	v_add_co_u32_e64 v13, s[0:1], v7, v13
	v_addc_co_u32_e64 v14, s[0:1], v8, v14, s[0:1]
	flat_load_dword v16, v[13:14]
	ds_read2_b32 v[40:41], v21 offset1:32
	ds_read2_b32 v[42:43], v21 offset0:64 offset1:96
	ds_read2_b32 v[44:45], v21 offset0:128 offset1:160
	s_waitcnt lgkmcnt(0)
	v_add_f32_e32 v15, 0, v40
	v_add_f32_e32 v15, v15, v41
	ds_read2_b32 v[40:41], v21 offset0:192 offset1:224
	v_add_f32_e32 v15, v15, v42
	v_add_f32_e32 v15, v15, v43
	;; [unrolled: 1-line block ×4, first 2 shown]
	s_waitcnt lgkmcnt(0)
	v_add_f32_e32 v15, v15, v40
	v_add_f32_e32 v15, v15, v41
	v_mul_f32_e32 v40, s20, v15
.LBB131_16:                             ;   Parent Loop BB131_14 Depth=1
                                        ; =>  This Inner Loop Header: Depth=2
	s_waitcnt vmcnt(0)
	v_add_f32_e32 v15, v16, v40
	flat_atomic_cmpswap v15, v[13:14], v[15:16] glc
	s_waitcnt vmcnt(0) lgkmcnt(0)
	v_cmp_eq_u32_e64 s[0:1], v15, v16
	s_or_b64 s[12:13], s[0:1], s[12:13]
	v_mov_b32_e32 v16, v15
	s_andn2_b64 exec, exec, s[12:13]
	s_cbranch_execnz .LBB131_16
; %bb.17:                               ;   in Loop: Header=BB131_14 Depth=1
	s_or_b64 exec, exec, s[12:13]
	v_mov_b32_e32 v13, s9
	v_add_co_u32_e64 v7, s[0:1], s8, v7
	v_addc_co_u32_e64 v8, s[0:1], v8, v13, s[0:1]
.LBB131_18:                             ;   in Loop: Header=BB131_14 Depth=1
	s_or_b64 exec, exec, s[10:11]
	s_add_u32 s18, s18, 0x80
	v_fmac_f32_e32 v18, v29, v25
	v_fmac_f32_e32 v20, v29, v26
	;; [unrolled: 1-line block ×4, first 2 shown]
	s_addc_u32 s19, s19, 0
	s_add_i32 s0, s28, 1
	v_fmac_f32_e32 v18, v39, v38
	v_fmac_f32_e32 v20, v39, v36
	;; [unrolled: 1-line block ×4, first 2 shown]
	s_cmp_eq_u32 s28, s25
	s_cbranch_scc1 .LBB131_22
; %bb.19:                               ;   in Loop: Header=BB131_14 Depth=1
	s_mov_b32 s28, s0
	v_mov_b32_e32 v29, v34
	v_mov_b32_e32 v25, v33
	;; [unrolled: 1-line block ×5, first 2 shown]
	s_branch .LBB131_14
.LBB131_20:
	v_mov_b32_e32 v2, 0
	v_mov_b32_e32 v19, v2
	;; [unrolled: 1-line block ×4, first 2 shown]
	s_branch .LBB131_26
.LBB131_21:
	v_mov_b32_e32 v7, s14
	v_mov_b32_e32 v8, s15
	s_waitcnt vmcnt(0) lgkmcnt(0)
	v_mov_b32_e32 v30, v28
	v_mov_b32_e32 v31, v27
	;; [unrolled: 1-line block ×8, first 2 shown]
.LBB131_22:
	v_lshlrev_b64 v[13:14], 2, v[9:10]
	v_mov_b32_e32 v9, s19
	v_add_co_u32_e64 v5, s[0:1], s18, v5
	v_addc_co_u32_e64 v6, s[0:1], v9, v6, s[0:1]
	v_mov_b32_e32 v9, s5
	v_add_co_u32_e64 v15, s[0:1], s4, v5
	v_addc_co_u32_e64 v16, s[0:1], v6, v9, s[0:1]
	v_add_co_u32_e64 v25, s[0:1], s4, v15
	v_addc_co_u32_e64 v26, s[0:1], v16, v9, s[0:1]
	v_add_co_u32_e64 v27, s[0:1], s4, v25
	v_addc_co_u32_e64 v28, s[0:1], v26, v9, s[0:1]
	v_mov_b32_e32 v29, s24
	flat_load_dword v12, v[5:6] offset:64
	flat_load_dword v10, v[15:16] offset:64
	flat_load_dword v9, v[25:26] offset:64
	flat_load_dword v11, v[27:28] offset:64
	v_add_co_u32_e64 v5, s[0:1], s23, v13
	v_addc_co_u32_e64 v6, s[0:1], v29, v14, s[0:1]
	flat_load_dword v13, v[5:6]
	ds_read_b128 v[24:27], v24
	v_fmac_f32_e32 v18, v34, v33
	v_fmac_f32_e32 v20, v34, v32
	;; [unrolled: 1-line block ×4, first 2 shown]
	s_waitcnt lgkmcnt(0)
	v_fma_f32 v6, v33, v24, 0
	v_fmac_f32_e32 v6, v32, v25
	v_fmac_f32_e32 v6, v31, v26
	v_add_u32_e32 v5, v22, v23
	v_fmac_f32_e32 v6, v30, v27
	s_waitcnt vmcnt(0)
	s_barrier
	v_fma_f32 v14, v12, v24, 0
	v_fmac_f32_e32 v14, v10, v25
	v_fmac_f32_e32 v14, v9, v26
	v_fmac_f32_e32 v14, v11, v27
	ds_write2_b32 v5, v6, v14 offset1:16
	s_waitcnt lgkmcnt(0)
	s_barrier
	s_and_saveexec_b64 s[4:5], vcc
	s_cbranch_execz .LBB131_25
; %bb.23:
	v_lshlrev_b64 v[3:4], 2, v[3:4]
	s_mov_b64 s[6:7], 0
	v_add_co_u32_e64 v3, s[0:1], v7, v3
	v_addc_co_u32_e64 v4, s[0:1], v8, v4, s[0:1]
	flat_load_dword v6, v[3:4]
	ds_read2_b32 v[7:8], v21 offset1:32
	ds_read2_b32 v[14:15], v21 offset0:64 offset1:96
	ds_read2_b32 v[22:23], v21 offset0:128 offset1:160
	s_waitcnt lgkmcnt(0)
	v_add_f32_e32 v5, 0, v7
	v_add_f32_e32 v5, v5, v8
	ds_read2_b32 v[7:8], v21 offset0:192 offset1:224
	v_add_f32_e32 v5, v5, v14
	v_add_f32_e32 v5, v5, v15
	;; [unrolled: 1-line block ×4, first 2 shown]
	s_waitcnt lgkmcnt(0)
	v_add_f32_e32 v5, v5, v7
	v_add_f32_e32 v5, v5, v8
	v_mul_f32_e32 v7, s20, v5
.LBB131_24:                             ; =>This Inner Loop Header: Depth=1
	s_waitcnt vmcnt(0)
	v_add_f32_e32 v5, v6, v7
	flat_atomic_cmpswap v5, v[3:4], v[5:6] glc
	s_waitcnt vmcnt(0) lgkmcnt(0)
	v_cmp_eq_u32_e64 s[0:1], v5, v6
	s_or_b64 s[6:7], s[0:1], s[6:7]
	v_mov_b32_e32 v6, v5
	s_andn2_b64 exec, exec, s[6:7]
	s_cbranch_execnz .LBB131_24
.LBB131_25:
	s_or_b64 exec, exec, s[4:5]
	v_fmac_f32_e32 v18, v13, v12
	v_fmac_f32_e32 v20, v13, v10
	v_fmac_f32_e32 v19, v13, v9
	v_fmac_f32_e32 v2, v13, v11
.LBB131_26:
	v_lshlrev_b32_e32 v3, 8, v17
	v_lshl_or_b32 v3, v1, 2, v3
	ds_write2_b32 v3, v18, v20 offset1:16
	ds_write2_b32 v3, v19, v2 offset0:32 offset1:48
	s_waitcnt lgkmcnt(0)
	s_barrier
	s_and_saveexec_b64 s[0:1], vcc
	s_cbranch_execz .LBB131_29
; %bb.27:
	s_mul_i32 s0, s2, s22
	s_mul_hi_u32 s1, s2, s16
	s_add_i32 s4, s1, s0
	v_mad_u64_u32 v[2:3], s[0:1], s2, v0, 0
	s_mul_i32 s5, s3, s16
	s_mul_i32 s0, s2, s16
	v_mad_u64_u32 v[3:4], s[2:3], s3, v0, v[3:4]
	s_add_i32 s1, s4, s5
	s_lshl_b64 s[0:1], s[0:1], 2
	s_add_u32 s0, s17, s0
	v_lshlrev_b64 v[2:3], 2, v[2:3]
	s_addc_u32 s1, s21, s1
	v_mov_b32_e32 v5, s1
	v_add_co_u32_e32 v2, vcc, s0, v2
	v_addc_co_u32_e32 v3, vcc, v5, v3, vcc
	flat_load_dword v5, v[2:3]
	v_add_u32_e32 v7, 1, v0
	v_add_u32_e32 v8, 2, v0
	;; [unrolled: 1-line block ×7, first 2 shown]
	v_lshlrev_b32_e32 v4, 6, v0
	v_and_b32_e32 v7, 15, v7
	v_and_b32_e32 v8, 15, v8
	;; [unrolled: 1-line block ×7, first 2 shown]
	v_lshl_or_b32 v6, v1, 2, v4
	v_lshl_or_b32 v7, v7, 2, v4
	;; [unrolled: 1-line block ×8, first 2 shown]
	ds_read_b32 v6, v6
	ds_read_b32 v7, v7
	;; [unrolled: 1-line block ×8, first 2 shown]
	s_waitcnt lgkmcnt(0)
	v_add_f32_e32 v6, 0, v6
	v_add_f32_e32 v6, v6, v7
	;; [unrolled: 1-line block ×7, first 2 shown]
	v_add_u32_e32 v7, 9, v0
	v_add_u32_e32 v8, 10, v0
	;; [unrolled: 1-line block ×6, first 2 shown]
	v_add_u32_e32 v0, -1, v0
	v_xor_b32_e32 v1, 8, v1
	v_and_b32_e32 v7, 15, v7
	v_and_b32_e32 v8, 15, v8
	;; [unrolled: 1-line block ×6, first 2 shown]
	v_lshl_or_b32 v1, v1, 2, v4
	v_lshl_or_b32 v7, v7, 2, v4
	;; [unrolled: 1-line block ×6, first 2 shown]
	v_and_b32_e32 v12, 15, v12
	v_lshl_or_b32 v0, v0, 2, v4
	v_add_f32_e32 v6, v6, v13
	v_lshl_or_b32 v12, v12, 2, v4
	ds_read_b32 v1, v1
	ds_read_b32 v4, v7
	;; [unrolled: 1-line block ×8, first 2 shown]
	s_waitcnt lgkmcnt(0)
	v_add_f32_e32 v1, v6, v1
	v_add_f32_e32 v1, v1, v4
	;; [unrolled: 1-line block ×8, first 2 shown]
	v_mul_f32_e32 v0, s20, v0
	s_mov_b64 s[0:1], 0
.LBB131_28:                             ; =>This Inner Loop Header: Depth=1
	s_waitcnt vmcnt(0)
	v_add_f32_e32 v4, v5, v0
	flat_atomic_cmpswap v1, v[2:3], v[4:5] glc
	s_waitcnt vmcnt(0) lgkmcnt(0)
	v_cmp_eq_u32_e32 vcc, v1, v5
	s_or_b64 s[0:1], vcc, s[0:1]
	v_mov_b32_e32 v5, v1
	s_andn2_b64 exec, exec, s[0:1]
	s_cbranch_execnz .LBB131_28
.LBB131_29:
	s_endpgm
	.section	.rodata,"a",@progbits
	.p2align	6, 0x0
	.amdhsa_kernel _ZL54rocblas_symv_kernel_upper_double_buffered_non_diagonalILi32ELi4ELi4E24rocblas_internal_val_ptrIfEPKPKfPKPfEvbiT2_lT3_lllSA_lllT4_llli
		.amdhsa_group_segment_fixed_size 3200
		.amdhsa_private_segment_fixed_size 0
		.amdhsa_kernarg_size 384
		.amdhsa_user_sgpr_count 6
		.amdhsa_user_sgpr_private_segment_buffer 1
		.amdhsa_user_sgpr_dispatch_ptr 0
		.amdhsa_user_sgpr_queue_ptr 0
		.amdhsa_user_sgpr_kernarg_segment_ptr 1
		.amdhsa_user_sgpr_dispatch_id 0
		.amdhsa_user_sgpr_flat_scratch_init 0
		.amdhsa_user_sgpr_private_segment_size 0
		.amdhsa_uses_dynamic_stack 0
		.amdhsa_system_sgpr_private_segment_wavefront_offset 0
		.amdhsa_system_sgpr_workgroup_id_x 1
		.amdhsa_system_sgpr_workgroup_id_y 1
		.amdhsa_system_sgpr_workgroup_id_z 1
		.amdhsa_system_sgpr_workgroup_info 0
		.amdhsa_system_vgpr_workitem_id 1
		.amdhsa_next_free_vgpr 46
		.amdhsa_next_free_sgpr 61
		.amdhsa_reserve_vcc 1
		.amdhsa_reserve_flat_scratch 0
		.amdhsa_float_round_mode_32 0
		.amdhsa_float_round_mode_16_64 0
		.amdhsa_float_denorm_mode_32 3
		.amdhsa_float_denorm_mode_16_64 3
		.amdhsa_dx10_clamp 1
		.amdhsa_ieee_mode 1
		.amdhsa_fp16_overflow 0
		.amdhsa_exception_fp_ieee_invalid_op 0
		.amdhsa_exception_fp_denorm_src 0
		.amdhsa_exception_fp_ieee_div_zero 0
		.amdhsa_exception_fp_ieee_overflow 0
		.amdhsa_exception_fp_ieee_underflow 0
		.amdhsa_exception_fp_ieee_inexact 0
		.amdhsa_exception_int_div_zero 0
	.end_amdhsa_kernel
	.section	.text._ZL54rocblas_symv_kernel_upper_double_buffered_non_diagonalILi32ELi4ELi4E24rocblas_internal_val_ptrIfEPKPKfPKPfEvbiT2_lT3_lllSA_lllT4_llli,"axG",@progbits,_ZL54rocblas_symv_kernel_upper_double_buffered_non_diagonalILi32ELi4ELi4E24rocblas_internal_val_ptrIfEPKPKfPKPfEvbiT2_lT3_lllSA_lllT4_llli,comdat
.Lfunc_end131:
	.size	_ZL54rocblas_symv_kernel_upper_double_buffered_non_diagonalILi32ELi4ELi4E24rocblas_internal_val_ptrIfEPKPKfPKPfEvbiT2_lT3_lllSA_lllT4_llli, .Lfunc_end131-_ZL54rocblas_symv_kernel_upper_double_buffered_non_diagonalILi32ELi4ELi4E24rocblas_internal_val_ptrIfEPKPKfPKPfEvbiT2_lT3_lllSA_lllT4_llli
                                        ; -- End function
	.set _ZL54rocblas_symv_kernel_upper_double_buffered_non_diagonalILi32ELi4ELi4E24rocblas_internal_val_ptrIfEPKPKfPKPfEvbiT2_lT3_lllSA_lllT4_llli.num_vgpr, 46
	.set _ZL54rocblas_symv_kernel_upper_double_buffered_non_diagonalILi32ELi4ELi4E24rocblas_internal_val_ptrIfEPKPKfPKPfEvbiT2_lT3_lllSA_lllT4_llli.num_agpr, 0
	.set _ZL54rocblas_symv_kernel_upper_double_buffered_non_diagonalILi32ELi4ELi4E24rocblas_internal_val_ptrIfEPKPKfPKPfEvbiT2_lT3_lllSA_lllT4_llli.numbered_sgpr, 30
	.set _ZL54rocblas_symv_kernel_upper_double_buffered_non_diagonalILi32ELi4ELi4E24rocblas_internal_val_ptrIfEPKPKfPKPfEvbiT2_lT3_lllSA_lllT4_llli.num_named_barrier, 0
	.set _ZL54rocblas_symv_kernel_upper_double_buffered_non_diagonalILi32ELi4ELi4E24rocblas_internal_val_ptrIfEPKPKfPKPfEvbiT2_lT3_lllSA_lllT4_llli.private_seg_size, 0
	.set _ZL54rocblas_symv_kernel_upper_double_buffered_non_diagonalILi32ELi4ELi4E24rocblas_internal_val_ptrIfEPKPKfPKPfEvbiT2_lT3_lllSA_lllT4_llli.uses_vcc, 1
	.set _ZL54rocblas_symv_kernel_upper_double_buffered_non_diagonalILi32ELi4ELi4E24rocblas_internal_val_ptrIfEPKPKfPKPfEvbiT2_lT3_lllSA_lllT4_llli.uses_flat_scratch, 0
	.set _ZL54rocblas_symv_kernel_upper_double_buffered_non_diagonalILi32ELi4ELi4E24rocblas_internal_val_ptrIfEPKPKfPKPfEvbiT2_lT3_lllSA_lllT4_llli.has_dyn_sized_stack, 0
	.set _ZL54rocblas_symv_kernel_upper_double_buffered_non_diagonalILi32ELi4ELi4E24rocblas_internal_val_ptrIfEPKPKfPKPfEvbiT2_lT3_lllSA_lllT4_llli.has_recursion, 0
	.set _ZL54rocblas_symv_kernel_upper_double_buffered_non_diagonalILi32ELi4ELi4E24rocblas_internal_val_ptrIfEPKPKfPKPfEvbiT2_lT3_lllSA_lllT4_llli.has_indirect_call, 0
	.section	.AMDGPU.csdata,"",@progbits
; Kernel info:
; codeLenInByte = 2748
; TotalNumSgprs: 34
; NumVgprs: 46
; ScratchSize: 0
; MemoryBound: 0
; FloatMode: 240
; IeeeMode: 1
; LDSByteSize: 3200 bytes/workgroup (compile time only)
; SGPRBlocks: 8
; VGPRBlocks: 11
; NumSGPRsForWavesPerEU: 65
; NumVGPRsForWavesPerEU: 46
; Occupancy: 5
; WaveLimiterHint : 1
; COMPUTE_PGM_RSRC2:SCRATCH_EN: 0
; COMPUTE_PGM_RSRC2:USER_SGPR: 6
; COMPUTE_PGM_RSRC2:TRAP_HANDLER: 0
; COMPUTE_PGM_RSRC2:TGID_X_EN: 1
; COMPUTE_PGM_RSRC2:TGID_Y_EN: 1
; COMPUTE_PGM_RSRC2:TGID_Z_EN: 1
; COMPUTE_PGM_RSRC2:TIDIG_COMP_CNT: 1
	.section	.text._ZL58rocblas_symv_kernel_upper_double_buffered_diagonal_genericILi32ELi8E24rocblas_internal_val_ptrIfEPKPKfPKPfEvbiT1_lT2_lllSA_lllS9_lT3_lllii,"axG",@progbits,_ZL58rocblas_symv_kernel_upper_double_buffered_diagonal_genericILi32ELi8E24rocblas_internal_val_ptrIfEPKPKfPKPfEvbiT1_lT2_lllSA_lllS9_lT3_lllii,comdat
	.globl	_ZL58rocblas_symv_kernel_upper_double_buffered_diagonal_genericILi32ELi8E24rocblas_internal_val_ptrIfEPKPKfPKPfEvbiT1_lT2_lllSA_lllS9_lT3_lllii ; -- Begin function _ZL58rocblas_symv_kernel_upper_double_buffered_diagonal_genericILi32ELi8E24rocblas_internal_val_ptrIfEPKPKfPKPfEvbiT1_lT2_lllSA_lllS9_lT3_lllii
	.p2align	8
	.type	_ZL58rocblas_symv_kernel_upper_double_buffered_diagonal_genericILi32ELi8E24rocblas_internal_val_ptrIfEPKPKfPKPfEvbiT1_lT2_lllSA_lllS9_lT3_lllii,@function
_ZL58rocblas_symv_kernel_upper_double_buffered_diagonal_genericILi32ELi8E24rocblas_internal_val_ptrIfEPKPKfPKPfEvbiT1_lT2_lllSA_lllS9_lT3_lllii: ; @_ZL58rocblas_symv_kernel_upper_double_buffered_diagonal_genericILi32ELi8E24rocblas_internal_val_ptrIfEPKPKfPKPfEvbiT1_lT2_lllSA_lllS9_lT3_lllii
; %bb.0:
	s_load_dword s0, s[4:5], 0x0
	s_load_dwordx8 s[8:15], s[4:5], 0x8
	s_load_dwordx2 s[20:21], s[4:5], 0x28
	s_mov_b32 s24, s7
	s_mov_b64 s[2:3], -1
	s_waitcnt lgkmcnt(0)
	s_bitcmp1_b32 s0, 0
	s_cselect_b64 s[0:1], -1, 0
	s_xor_b64 s[0:1], s[0:1], -1
	s_and_b64 vcc, exec, s[0:1]
                                        ; implicit-def: $sgpr7
	s_cbranch_vccnz .LBB132_7
; %bb.1:
	s_load_dwordx4 s[16:19], s[4:5], 0x58
	s_andn2_b64 vcc, exec, s[2:3]
	s_cbranch_vccz .LBB132_8
.LBB132_2:
	s_andn2_b64 vcc, exec, s[0:1]
	s_cbranch_vccnz .LBB132_4
.LBB132_3:
	s_waitcnt lgkmcnt(0)
	s_mul_i32 s0, s19, s24
	s_mul_hi_u32 s1, s18, s24
	s_add_i32 s1, s1, s0
	s_mul_i32 s0, s18, s24
	s_lshl_b64 s[0:1], s[0:1], 2
	s_add_u32 s0, s16, s0
	s_addc_u32 s1, s17, s1
	s_load_dword s16, s[0:1], 0x0
.LBB132_4:
	s_waitcnt lgkmcnt(0)
	v_cmp_eq_f32_e64 s[26:27], s7, 0
	v_cmp_eq_f32_e64 s[0:1], s16, 1.0
	s_and_b64 s[0:1], s[26:27], s[0:1]
	s_and_b64 vcc, exec, s[0:1]
	s_cbranch_vccnz .LBB132_50
; %bb.5:
	v_cmp_neq_f32_e64 s[8:9], s7, 0
	s_mov_b32 s25, 0
	s_and_b64 vcc, exec, s[8:9]
	s_cbranch_vccnz .LBB132_9
; %bb.6:
	s_mov_b64 s[0:1], 0
	s_branch .LBB132_10
.LBB132_7:
	s_mul_i32 s2, s11, s24
	s_mul_hi_u32 s3, s10, s24
	s_add_i32 s3, s3, s2
	s_mul_i32 s2, s10, s24
	s_lshl_b64 s[2:3], s[2:3], 2
	s_add_u32 s2, s8, s2
	s_addc_u32 s3, s9, s3
	s_load_dword s7, s[2:3], 0x0
	s_load_dwordx4 s[16:19], s[4:5], 0x58
	s_cbranch_execnz .LBB132_2
.LBB132_8:
	s_waitcnt lgkmcnt(0)
	s_mov_b32 s7, s8
	s_andn2_b64 vcc, exec, s[0:1]
	s_cbranch_vccz .LBB132_3
	s_branch .LBB132_4
.LBB132_9:
	s_mov_b64 s[0:1], -1
.LBB132_10:
	s_load_dwordx2 s[28:29], s[4:5], 0x68
	s_mov_b64 s[22:23], 0
	s_andn2_b64 vcc, exec, s[0:1]
	s_mov_b64 s[18:19], 0
	s_cbranch_vccnz .LBB132_12
; %bb.11:
	s_lshl_b64 s[0:1], s[24:25], 3
	s_add_u32 s0, s12, s0
	s_addc_u32 s1, s13, s1
	s_load_dwordx2 s[0:1], s[0:1], 0x0
	s_lshl_b64 s[2:3], s[14:15], 2
	s_waitcnt lgkmcnt(0)
	s_add_u32 s18, s0, s2
	s_addc_u32 s19, s1, s3
.LBB132_12:
	s_load_dwordx4 s[0:3], s[4:5], 0x38
	s_load_dwordx2 s[12:13], s[4:5], 0x48
	s_andn2_b64 vcc, exec, s[8:9]
	s_cbranch_vccnz .LBB132_14
; %bb.13:
	s_lshl_b64 s[8:9], s[24:25], 3
	s_waitcnt lgkmcnt(0)
	s_add_u32 s0, s0, s8
	s_addc_u32 s1, s1, s9
	s_load_dwordx2 s[0:1], s[0:1], 0x0
	s_lshl_b64 s[2:3], s[2:3], 2
	s_waitcnt lgkmcnt(0)
	s_add_u32 s22, s0, s2
	s_addc_u32 s23, s1, s3
.LBB132_14:
	s_waitcnt lgkmcnt(0)
	s_lshl_b64 s[0:1], s[24:25], 3
	s_load_dwordx4 s[8:11], s[4:5], 0x70
	s_add_u32 s0, s28, s0
	s_addc_u32 s1, s29, s1
	s_load_dwordx2 s[2:3], s[0:1], 0x0
	s_load_dword s29, s[4:5], 0x88
	s_waitcnt lgkmcnt(0)
	s_lshl_b64 s[0:1], s[8:9], 2
	s_add_u32 s2, s2, s0
	s_addc_u32 s3, s3, s1
	s_lshl_b32 s30, s6, 5
	s_ashr_i32 s31, s30, 31
	s_mul_i32 s0, s10, s31
	s_mul_hi_u32 s1, s10, s30
	s_add_i32 s0, s1, s0
	s_mul_i32 s1, s11, s30
	s_add_i32 s1, s0, s1
	s_mul_i32 s0, s10, s30
	s_lshl_b64 s[0:1], s[0:1], 2
	s_add_u32 s17, s2, s0
	s_addc_u32 s28, s3, s1
	s_mov_b64 s[2:3], -1
	s_andn2_b64 vcc, exec, s[26:27]
	v_cmp_eq_u32_e64 s[0:1], 0, v1
	s_cbranch_vccnz .LBB132_21
; %bb.15:
	s_and_saveexec_b64 s[2:3], s[0:1]
	s_cbranch_execz .LBB132_20
; %bb.16:
	v_cmp_gt_i32_e64 s[0:1], s29, v0
	v_cmp_le_i32_e32 vcc, s29, v0
	s_and_saveexec_b64 s[8:9], vcc
	s_cbranch_execz .LBB132_18
; %bb.17:
	s_load_dword s14, s[4:5], 0x90
	s_waitcnt lgkmcnt(0)
	s_add_i32 s14, s14, -1
	s_cmp_lt_u32 s6, s14
	s_cselect_b64 s[14:15], -1, 0
	s_andn2_b64 s[0:1], s[0:1], exec
	s_and_b64 s[14:15], s[14:15], exec
	s_or_b64 s[0:1], s[0:1], s[14:15]
.LBB132_18:
	s_or_b64 exec, exec, s[8:9]
	s_and_b64 exec, exec, s[0:1]
	s_cbranch_execz .LBB132_20
; %bb.19:
	v_mad_u64_u32 v[2:3], s[0:1], s10, v0, 0
	v_mad_u64_u32 v[3:4], s[0:1], s11, v0, v[3:4]
	v_mov_b32_e32 v4, s28
	v_lshlrev_b64 v[2:3], 2, v[2:3]
	v_add_co_u32_e32 v2, vcc, s17, v2
	v_addc_co_u32_e32 v3, vcc, v4, v3, vcc
	flat_load_dword v4, v[2:3]
	s_waitcnt vmcnt(0) lgkmcnt(0)
	v_mul_f32_e32 v4, s16, v4
	flat_store_dword v[2:3], v4
.LBB132_20:
	s_or_b64 exec, exec, s[2:3]
	s_mov_b64 s[2:3], 0
.LBB132_21:
	s_andn2_b64 vcc, exec, s[2:3]
	s_cbranch_vccnz .LBB132_50
; %bb.22:
	v_mov_b32_e32 v6, 0
	v_cmp_ne_u32_e64 s[2:3], 0, v1
	v_cmp_eq_u32_e64 s[0:1], 0, v1
	s_and_saveexec_b64 s[8:9], s[0:1]
	s_cbranch_execz .LBB132_29
; %bb.23:
	v_cmp_gt_i32_e64 s[24:25], s29, v0
	v_cmp_le_i32_e32 vcc, s29, v0
	s_and_saveexec_b64 s[14:15], vcc
	s_cbranch_execz .LBB132_25
; %bb.24:
	s_load_dword s26, s[4:5], 0x90
	s_waitcnt lgkmcnt(0)
	s_add_i32 s26, s26, -1
	s_cmp_lt_u32 s6, s26
	s_cselect_b64 s[26:27], -1, 0
	s_andn2_b64 s[24:25], s[24:25], exec
	s_and_b64 s[26:27], s[26:27], exec
	s_or_b64 s[24:25], s[24:25], s[26:27]
.LBB132_25:
	s_or_b64 exec, exec, s[14:15]
	v_mov_b32_e32 v6, 0
	s_and_saveexec_b64 s[14:15], s[24:25]
	s_cbranch_execz .LBB132_28
; %bb.26:
	s_mul_i32 s24, s12, s31
	s_mul_hi_u32 s25, s12, s30
	s_add_i32 s26, s25, s24
	v_mad_u64_u32 v[2:3], s[24:25], s12, v0, 0
	s_mul_i32 s24, s13, s30
	s_add_i32 s25, s26, s24
	s_mul_i32 s24, s12, s30
	v_mad_u64_u32 v[3:4], s[12:13], s13, v0, v[3:4]
	s_lshl_b64 s[12:13], s[24:25], 2
	s_add_u32 s12, s22, s12
	v_lshlrev_b64 v[2:3], 2, v[2:3]
	s_addc_u32 s13, s23, s13
	v_mov_b32_e32 v4, s13
	v_add_co_u32_e32 v2, vcc, s12, v2
	v_addc_co_u32_e32 v3, vcc, v4, v3, vcc
	flat_load_dword v2, v[2:3]
	v_cmp_eq_f32_e64 s[12:13], s16, 0
	v_lshlrev_b32_e32 v3, 2, v0
	v_mov_b32_e32 v6, 0
	s_and_b64 vcc, exec, s[12:13]
	s_waitcnt vmcnt(0) lgkmcnt(0)
	ds_write_b32 v3, v2 offset:6144
	s_cbranch_vccnz .LBB132_28
; %bb.27:
	v_mad_u64_u32 v[2:3], s[12:13], s10, v0, 0
	v_mad_u64_u32 v[3:4], s[12:13], s11, v0, v[3:4]
	v_mov_b32_e32 v4, s28
	v_lshlrev_b64 v[2:3], 2, v[2:3]
	v_add_co_u32_e32 v2, vcc, s17, v2
	v_addc_co_u32_e32 v3, vcc, v4, v3, vcc
	flat_load_dword v2, v[2:3]
	s_waitcnt vmcnt(0) lgkmcnt(0)
	v_mul_f32_e32 v6, s16, v2
.LBB132_28:
	s_or_b64 exec, exec, s[14:15]
.LBB132_29:
	s_or_b64 exec, exec, s[8:9]
	s_add_u32 s12, s20, 1
	s_mul_i32 s8, s12, s31
	s_mul_hi_u32 s9, s12, s30
	s_addc_u32 s13, s21, 0
	s_add_i32 s14, s9, s8
	v_mad_u64_u32 v[2:3], s[8:9], s20, v1, 0
	s_mul_i32 s13, s13, s30
	s_add_i32 s9, s14, s13
	s_mul_i32 s8, s12, s30
	v_mad_u64_u32 v[3:4], s[12:13], s21, v1, v[3:4]
	s_lshl_b64 s[8:9], s[8:9], 2
	s_add_u32 s12, s18, s8
	v_lshlrev_b64 v[4:5], 2, v[2:3]
	s_addc_u32 s13, s19, s9
	v_add_co_u32_e32 v3, vcc, s12, v4
	s_load_dword s12, s[4:5], 0x90
	v_mov_b32_e32 v2, s13
	v_addc_co_u32_e32 v8, vcc, v2, v5, vcc
	v_lshlrev_b32_e32 v7, 2, v0
	v_add_co_u32_e32 v2, vcc, v3, v7
	v_addc_co_u32_e32 v3, vcc, 0, v8, vcc
	s_waitcnt lgkmcnt(0)
	s_add_i32 s12, s12, -1
	v_lshlrev_b32_e32 v8, 7, v1
	v_lshlrev_b32_e32 v9, 5, v1
	s_cmp_eq_u32 s6, s12
	s_mov_b64 s[4:5], -1
	v_add_u32_e32 v8, v7, v8
	s_cbranch_scc1 .LBB132_31
; %bb.30:
	s_lshl_b64 s[4:5], s[20:21], 5
	v_mov_b32_e32 v15, s5
	v_add_co_u32_e32 v10, vcc, s4, v2
	v_addc_co_u32_e32 v11, vcc, v3, v15, vcc
	v_add_co_u32_e32 v12, vcc, s4, v10
	v_addc_co_u32_e32 v13, vcc, v11, v15, vcc
	;; [unrolled: 2-line block ×3, first 2 shown]
	flat_load_dword v16, v[2:3]
	flat_load_dword v17, v[10:11]
	;; [unrolled: 1-line block ×4, first 2 shown]
	s_mov_b64 s[4:5], 0
	s_waitcnt vmcnt(0) lgkmcnt(0)
	ds_write2st64_b32 v8, v16, v17 offset1:4
	ds_write2st64_b32 v8, v18, v19 offset0:8 offset1:12
.LBB132_31:
	s_andn2_b64 vcc, exec, s[4:5]
	v_add_u32_e32 v10, v9, v0
	s_cbranch_vccnz .LBB132_41
; %bb.32:
	v_cmp_gt_i32_e32 vcc, s29, v0
	v_mov_b32_e32 v11, 0
	s_nor_b64 s[4:5], s[2:3], vcc
	ds_write2st64_b32 v8, v11, v11 offset1:4
	ds_write2st64_b32 v8, v11, v11 offset0:8 offset1:12
	s_and_saveexec_b64 s[2:3], s[4:5]
; %bb.33:
	ds_write_b32 v7, v11 offset:6144
; %bb.34:
	s_or_b64 exec, exec, s[2:3]
	s_and_saveexec_b64 s[2:3], vcc
	s_cbranch_execz .LBB132_40
; %bb.35:
	s_cmp_lt_u32 s29, 8
	s_mov_b32 s13, 0
	s_cbranch_scc1 .LBB132_38
; %bb.36:
	v_mov_b32_e32 v12, s9
	v_add_co_u32_e32 v4, vcc, s8, v4
	v_addc_co_u32_e32 v5, vcc, v12, v5, vcc
	v_add_co_u32_e32 v4, vcc, v4, v7
	v_addc_co_u32_e32 v5, vcc, 0, v5, vcc
	s_lshr_b32 s13, s29, 3
	v_mov_b32_e32 v12, s19
	v_add_co_u32_e32 v4, vcc, s18, v4
	s_lshl_b64 s[4:5], s[20:21], 5
	v_lshl_add_u32 v11, v9, 2, v7
	v_addc_co_u32_e32 v5, vcc, v12, v5, vcc
	v_mov_b32_e32 v12, s5
	s_mov_b32 s5, s13
.LBB132_37:                             ; =>This Inner Loop Header: Depth=1
	flat_load_dword v13, v[4:5]
	s_add_i32 s5, s5, -1
	v_add_co_u32_e32 v4, vcc, s4, v4
	v_addc_co_u32_e32 v5, vcc, v5, v12, vcc
	s_cmp_lg_u32 s5, 0
	s_waitcnt vmcnt(0) lgkmcnt(0)
	ds_write_b32 v11, v13
	v_add_u32_e32 v11, 0x400, v11
	s_cbranch_scc1 .LBB132_37
.LBB132_38:
	s_and_b32 s4, s29, 7
	v_cmp_gt_u32_e32 vcc, s4, v1
	s_and_b64 exec, exec, vcc
	s_cbranch_execz .LBB132_40
; %bb.39:
	s_lshl_b32 s4, s13, 3
	s_mul_i32 s5, s21, s4
	s_mul_hi_u32 s8, s20, s4
	s_add_i32 s5, s8, s5
	s_mul_i32 s4, s20, s4
	s_lshl_b64 s[4:5], s[4:5], 2
	v_mov_b32_e32 v4, s5
	v_add_co_u32_e32 v2, vcc, s4, v2
	v_addc_co_u32_e32 v3, vcc, v3, v4, vcc
	flat_load_dword v2, v[2:3]
	v_lshlrev_b32_e32 v3, 2, v10
	v_lshl_add_u32 v3, s13, 10, v3
	s_waitcnt vmcnt(0) lgkmcnt(0)
	ds_write_b32 v3, v2
.LBB132_40:
	s_or_b64 exec, exec, s[2:3]
.LBB132_41:
	v_sub_u32_e32 v2, v0, v1
	v_sub_u32_e32 v3, 0, v2
	s_movk_i32 s2, 0x7c
	v_max_i32_e32 v3, v2, v3
	v_mad_u32_u24 v2, v0, s2, v7
	v_cmp_lt_u32_e32 vcc, 16, v3
	v_lshl_add_u32 v2, v1, 2, v2
	s_waitcnt vmcnt(0) lgkmcnt(0)
	s_barrier
	s_and_saveexec_b64 s[2:3], vcc
	s_cbranch_execnz .LBB132_51
; %bb.42:
	s_or_b64 exec, exec, s[2:3]
	v_cmp_lt_u32_e32 vcc, 24, v3
	s_and_saveexec_b64 s[2:3], vcc
	s_cbranch_execnz .LBB132_52
.LBB132_43:
	s_or_b64 exec, exec, s[2:3]
	v_cmp_ge_u32_e32 vcc, v0, v1
	s_and_saveexec_b64 s[2:3], vcc
	s_cbranch_execz .LBB132_45
.LBB132_44:
	ds_read_b32 v4, v2
	v_lshl_add_u32 v5, v9, 2, v7
	s_waitcnt lgkmcnt(0)
	ds_write_b32 v5, v4
.LBB132_45:
	s_or_b64 exec, exec, s[2:3]
	v_cmp_lt_u32_e32 vcc, 8, v3
	v_mov_b32_e32 v3, 0x400
	v_lshl_add_u32 v3, v1, 7, v3
	v_add_u32_e32 v3, v7, v3
	s_and_saveexec_b64 s[2:3], vcc
	s_cbranch_execz .LBB132_47
; %bb.46:
	ds_read_b32 v2, v2 offset:32
	s_waitcnt lgkmcnt(0)
	ds_write_b32 v3, v2
.LBB132_47:
	s_or_b64 exec, exec, s[2:3]
	v_lshlrev_b32_e32 v2, 2, v1
	v_add_u32_e32 v9, 0x1800, v2
	s_waitcnt lgkmcnt(0)
	s_barrier
	ds_read2_b32 v[4:5], v9 offset1:8
	ds_read_b32 v11, v8
	ds_read_b32 v3, v3
	v_lshl_add_u32 v1, v1, 7, v7
	ds_read2st64_b32 v[1:2], v1 offset0:8 offset1:12
	ds_read2_b32 v[8:9], v9 offset0:16 offset1:24
	s_waitcnt lgkmcnt(3)
	v_fma_f32 v4, v11, v4, 0
	s_waitcnt lgkmcnt(2)
	v_fmac_f32_e32 v4, v3, v5
	s_waitcnt lgkmcnt(0)
	v_fmac_f32_e32 v4, v1, v8
	v_fmac_f32_e32 v4, v2, v9
	v_lshlrev_b32_e32 v1, 2, v10
	ds_write_b32 v1, v4 offset:4096
	s_waitcnt lgkmcnt(0)
	s_barrier
	s_and_saveexec_b64 s[2:3], s[0:1]
	s_cbranch_execz .LBB132_50
; %bb.48:
	s_cmp_lt_u32 s6, s12
	v_cmp_gt_i32_e32 vcc, s29, v0
	s_cselect_b64 s[0:1], -1, 0
	s_or_b64 s[0:1], vcc, s[0:1]
	s_and_b64 exec, exec, s[0:1]
	s_cbranch_execz .LBB132_50
; %bb.49:
	v_add_u32_e32 v5, 0x1000, v7
	ds_read2_b32 v[1:2], v5 offset1:32
	ds_read2_b32 v[3:4], v5 offset0:64 offset1:96
	ds_read2_b32 v[7:8], v5 offset0:128 offset1:160
	;; [unrolled: 1-line block ×3, first 2 shown]
	v_cmp_neq_f32_e64 vcc, s16, 0
	s_waitcnt lgkmcnt(3)
	v_add_f32_e32 v1, 0, v1
	v_add_f32_e32 v1, v1, v2
	s_waitcnt lgkmcnt(2)
	v_add_f32_e32 v1, v1, v3
	v_add_f32_e32 v1, v1, v4
	;; [unrolled: 3-line block ×3, first 2 shown]
	v_mad_u64_u32 v[1:2], s[0:1], s10, v0, 0
	s_waitcnt lgkmcnt(0)
	v_add_f32_e32 v3, v3, v9
	v_add_f32_e32 v4, v3, v10
	v_mad_u64_u32 v[2:3], s[0:1], s11, v0, v[2:3]
	v_mul_f32_e32 v5, s7, v4
	v_fmac_f32_e32 v6, s7, v4
	v_lshlrev_b64 v[0:1], 2, v[1:2]
	v_cndmask_b32_e32 v3, v5, v6, vcc
	v_mov_b32_e32 v2, s28
	v_add_co_u32_e32 v0, vcc, s17, v0
	v_addc_co_u32_e32 v1, vcc, v2, v1, vcc
	flat_store_dword v[0:1], v3
.LBB132_50:
	s_endpgm
.LBB132_51:
	ds_read_b32 v4, v2 offset:64
	s_waitcnt lgkmcnt(0)
	ds_write_b32 v8, v4 offset:2048
	s_or_b64 exec, exec, s[2:3]
	v_cmp_lt_u32_e32 vcc, 24, v3
	s_and_saveexec_b64 s[2:3], vcc
	s_cbranch_execz .LBB132_43
.LBB132_52:
	ds_read_b32 v4, v2 offset:96
	s_waitcnt lgkmcnt(0)
	ds_write_b32 v8, v4 offset:3072
	s_or_b64 exec, exec, s[2:3]
	v_cmp_ge_u32_e32 vcc, v0, v1
	s_and_saveexec_b64 s[2:3], vcc
	s_cbranch_execnz .LBB132_44
	s_branch .LBB132_45
	.section	.rodata,"a",@progbits
	.p2align	6, 0x0
	.amdhsa_kernel _ZL58rocblas_symv_kernel_upper_double_buffered_diagonal_genericILi32ELi8E24rocblas_internal_val_ptrIfEPKPKfPKPfEvbiT1_lT2_lllSA_lllS9_lT3_lllii
		.amdhsa_group_segment_fixed_size 6272
		.amdhsa_private_segment_fixed_size 0
		.amdhsa_kernarg_size 400
		.amdhsa_user_sgpr_count 6
		.amdhsa_user_sgpr_private_segment_buffer 1
		.amdhsa_user_sgpr_dispatch_ptr 0
		.amdhsa_user_sgpr_queue_ptr 0
		.amdhsa_user_sgpr_kernarg_segment_ptr 1
		.amdhsa_user_sgpr_dispatch_id 0
		.amdhsa_user_sgpr_flat_scratch_init 0
		.amdhsa_user_sgpr_private_segment_size 0
		.amdhsa_uses_dynamic_stack 0
		.amdhsa_system_sgpr_private_segment_wavefront_offset 0
		.amdhsa_system_sgpr_workgroup_id_x 1
		.amdhsa_system_sgpr_workgroup_id_y 0
		.amdhsa_system_sgpr_workgroup_id_z 1
		.amdhsa_system_sgpr_workgroup_info 0
		.amdhsa_system_vgpr_workitem_id 1
		.amdhsa_next_free_vgpr 20
		.amdhsa_next_free_sgpr 32
		.amdhsa_reserve_vcc 1
		.amdhsa_reserve_flat_scratch 0
		.amdhsa_float_round_mode_32 0
		.amdhsa_float_round_mode_16_64 0
		.amdhsa_float_denorm_mode_32 3
		.amdhsa_float_denorm_mode_16_64 3
		.amdhsa_dx10_clamp 1
		.amdhsa_ieee_mode 1
		.amdhsa_fp16_overflow 0
		.amdhsa_exception_fp_ieee_invalid_op 0
		.amdhsa_exception_fp_denorm_src 0
		.amdhsa_exception_fp_ieee_div_zero 0
		.amdhsa_exception_fp_ieee_overflow 0
		.amdhsa_exception_fp_ieee_underflow 0
		.amdhsa_exception_fp_ieee_inexact 0
		.amdhsa_exception_int_div_zero 0
	.end_amdhsa_kernel
	.section	.text._ZL58rocblas_symv_kernel_upper_double_buffered_diagonal_genericILi32ELi8E24rocblas_internal_val_ptrIfEPKPKfPKPfEvbiT1_lT2_lllSA_lllS9_lT3_lllii,"axG",@progbits,_ZL58rocblas_symv_kernel_upper_double_buffered_diagonal_genericILi32ELi8E24rocblas_internal_val_ptrIfEPKPKfPKPfEvbiT1_lT2_lllSA_lllS9_lT3_lllii,comdat
.Lfunc_end132:
	.size	_ZL58rocblas_symv_kernel_upper_double_buffered_diagonal_genericILi32ELi8E24rocblas_internal_val_ptrIfEPKPKfPKPfEvbiT1_lT2_lllSA_lllS9_lT3_lllii, .Lfunc_end132-_ZL58rocblas_symv_kernel_upper_double_buffered_diagonal_genericILi32ELi8E24rocblas_internal_val_ptrIfEPKPKfPKPfEvbiT1_lT2_lllSA_lllS9_lT3_lllii
                                        ; -- End function
	.set _ZL58rocblas_symv_kernel_upper_double_buffered_diagonal_genericILi32ELi8E24rocblas_internal_val_ptrIfEPKPKfPKPfEvbiT1_lT2_lllSA_lllS9_lT3_lllii.num_vgpr, 20
	.set _ZL58rocblas_symv_kernel_upper_double_buffered_diagonal_genericILi32ELi8E24rocblas_internal_val_ptrIfEPKPKfPKPfEvbiT1_lT2_lllSA_lllS9_lT3_lllii.num_agpr, 0
	.set _ZL58rocblas_symv_kernel_upper_double_buffered_diagonal_genericILi32ELi8E24rocblas_internal_val_ptrIfEPKPKfPKPfEvbiT1_lT2_lllSA_lllS9_lT3_lllii.numbered_sgpr, 32
	.set _ZL58rocblas_symv_kernel_upper_double_buffered_diagonal_genericILi32ELi8E24rocblas_internal_val_ptrIfEPKPKfPKPfEvbiT1_lT2_lllSA_lllS9_lT3_lllii.num_named_barrier, 0
	.set _ZL58rocblas_symv_kernel_upper_double_buffered_diagonal_genericILi32ELi8E24rocblas_internal_val_ptrIfEPKPKfPKPfEvbiT1_lT2_lllSA_lllS9_lT3_lllii.private_seg_size, 0
	.set _ZL58rocblas_symv_kernel_upper_double_buffered_diagonal_genericILi32ELi8E24rocblas_internal_val_ptrIfEPKPKfPKPfEvbiT1_lT2_lllSA_lllS9_lT3_lllii.uses_vcc, 1
	.set _ZL58rocblas_symv_kernel_upper_double_buffered_diagonal_genericILi32ELi8E24rocblas_internal_val_ptrIfEPKPKfPKPfEvbiT1_lT2_lllSA_lllS9_lT3_lllii.uses_flat_scratch, 0
	.set _ZL58rocblas_symv_kernel_upper_double_buffered_diagonal_genericILi32ELi8E24rocblas_internal_val_ptrIfEPKPKfPKPfEvbiT1_lT2_lllSA_lllS9_lT3_lllii.has_dyn_sized_stack, 0
	.set _ZL58rocblas_symv_kernel_upper_double_buffered_diagonal_genericILi32ELi8E24rocblas_internal_val_ptrIfEPKPKfPKPfEvbiT1_lT2_lllSA_lllS9_lT3_lllii.has_recursion, 0
	.set _ZL58rocblas_symv_kernel_upper_double_buffered_diagonal_genericILi32ELi8E24rocblas_internal_val_ptrIfEPKPKfPKPfEvbiT1_lT2_lllSA_lllS9_lT3_lllii.has_indirect_call, 0
	.section	.AMDGPU.csdata,"",@progbits
; Kernel info:
; codeLenInByte = 1968
; TotalNumSgprs: 36
; NumVgprs: 20
; ScratchSize: 0
; MemoryBound: 0
; FloatMode: 240
; IeeeMode: 1
; LDSByteSize: 6272 bytes/workgroup (compile time only)
; SGPRBlocks: 4
; VGPRBlocks: 4
; NumSGPRsForWavesPerEU: 36
; NumVGPRsForWavesPerEU: 20
; Occupancy: 10
; WaveLimiterHint : 1
; COMPUTE_PGM_RSRC2:SCRATCH_EN: 0
; COMPUTE_PGM_RSRC2:USER_SGPR: 6
; COMPUTE_PGM_RSRC2:TRAP_HANDLER: 0
; COMPUTE_PGM_RSRC2:TGID_X_EN: 1
; COMPUTE_PGM_RSRC2:TGID_Y_EN: 0
; COMPUTE_PGM_RSRC2:TGID_Z_EN: 1
; COMPUTE_PGM_RSRC2:TIDIG_COMP_CNT: 1
	.section	.text._ZL62rocblas_symv_kernel_upper_double_buffered_non_diagonal_genericILi32ELi8ELi2ELi0E24rocblas_internal_val_ptrIfEPKPKfPKPfEvbiT3_lT4_lllSA_lllT5_lllii,"axG",@progbits,_ZL62rocblas_symv_kernel_upper_double_buffered_non_diagonal_genericILi32ELi8ELi2ELi0E24rocblas_internal_val_ptrIfEPKPKfPKPfEvbiT3_lT4_lllSA_lllT5_lllii,comdat
	.globl	_ZL62rocblas_symv_kernel_upper_double_buffered_non_diagonal_genericILi32ELi8ELi2ELi0E24rocblas_internal_val_ptrIfEPKPKfPKPfEvbiT3_lT4_lllSA_lllT5_lllii ; -- Begin function _ZL62rocblas_symv_kernel_upper_double_buffered_non_diagonal_genericILi32ELi8ELi2ELi0E24rocblas_internal_val_ptrIfEPKPKfPKPfEvbiT3_lT4_lllSA_lllT5_lllii
	.p2align	8
	.type	_ZL62rocblas_symv_kernel_upper_double_buffered_non_diagonal_genericILi32ELi8ELi2ELi0E24rocblas_internal_val_ptrIfEPKPKfPKPfEvbiT3_lT4_lllSA_lllT5_lllii,@function
_ZL62rocblas_symv_kernel_upper_double_buffered_non_diagonal_genericILi32ELi8ELi2ELi0E24rocblas_internal_val_ptrIfEPKPKfPKPfEvbiT3_lT4_lllSA_lllT5_lllii: ; @_ZL62rocblas_symv_kernel_upper_double_buffered_non_diagonal_genericILi32ELi8ELi2ELi0E24rocblas_internal_val_ptrIfEPKPKfPKPfEvbiT3_lT4_lllSA_lllT5_lllii
; %bb.0:
	s_load_dword s0, s[4:5], 0x0
	s_load_dwordx8 s[12:19], s[4:5], 0x8
	s_load_dwordx2 s[20:21], s[4:5], 0x28
	s_waitcnt lgkmcnt(0)
	s_bitcmp0_b32 s0, 0
	s_cbranch_scc0 .LBB133_2
; %bb.1:
	s_mul_i32 s0, s15, s8
	s_mul_hi_u32 s1, s14, s8
	s_add_i32 s1, s1, s0
	s_mul_i32 s0, s14, s8
	s_lshl_b64 s[0:1], s[0:1], 2
	s_add_u32 s0, s12, s0
	s_addc_u32 s1, s13, s1
	s_load_dword s24, s[0:1], 0x0
	s_cbranch_execz .LBB133_3
	s_branch .LBB133_4
.LBB133_2:
                                        ; implicit-def: $sgpr24
.LBB133_3:
	s_waitcnt lgkmcnt(0)
	s_mov_b32 s24, s12
.LBB133_4:
	s_waitcnt lgkmcnt(0)
	v_cmp_eq_f32_e64 s[0:1], s24, 0
	s_and_b64 vcc, exec, s[0:1]
	s_cbranch_vccnz .LBB133_47
; %bb.5:
	s_load_dword s12, s[4:5], 0x84
	s_add_u32 s10, s4, 0x80
	s_addc_u32 s11, s5, 0
	s_cmp_eq_u32 s6, 0
	s_waitcnt lgkmcnt(0)
	v_cvt_f32_u32_e32 v2, s12
	v_rcp_iflag_f32_e32 v2, v2
	v_mul_f32_e32 v2, 0x4f7ffffe, v2
	v_cvt_u32_f32_e32 v2, v2
	v_readfirstlane_b32 s0, v2
	s_cbranch_scc1 .LBB133_47
; %bb.6:
	s_sub_i32 s1, 0, s12
	s_mul_i32 s1, s1, s0
	s_mul_hi_u32 s1, s0, s1
	s_add_i32 s0, s0, s1
	s_mul_hi_u32 s13, s6, s0
	s_load_dwordx2 s[14:15], s[4:5], 0x58
	s_load_dwordx4 s[0:3], s[4:5], 0x38
	s_mov_b32 s9, 0
	s_lshl_b64 s[8:9], s[8:9], 3
	s_add_u32 s16, s16, s8
	s_addc_u32 s17, s17, s9
	s_waitcnt lgkmcnt(0)
	s_add_u32 s0, s0, s8
	s_addc_u32 s1, s1, s9
	s_add_u32 s22, s14, s8
	s_mul_i32 s8, s13, s12
	s_addc_u32 s23, s15, s9
	s_sub_i32 s8, s6, s8
	s_add_i32 s9, s13, 1
	s_sub_i32 s14, s8, s12
	s_cmp_ge_u32 s8, s12
	s_cselect_b32 s9, s9, s13
	s_cselect_b32 s8, s14, s8
	s_add_i32 s13, s9, 1
	s_cmp_ge_u32 s8, s12
	s_cselect_b32 s27, s13, s9
	s_add_i32 s8, s12, -1
	s_cmp_lg_u32 s7, s8
	s_mov_b32 s28, s27
	s_cbranch_scc1 .LBB133_8
; %bb.7:
	s_mul_i32 s8, s27, s12
	s_sub_i32 s8, s6, s8
	s_add_i32 s28, s8, s27
.LBB133_8:
	s_cmp_eq_u32 s28, 0
	s_cbranch_scc1 .LBB133_47
; %bb.9:
	s_load_dwordx2 s[30:31], s[0:1], 0x0
	s_load_dwordx2 s[12:13], s[4:5], 0x48
	;; [unrolled: 1-line block ×4, first 2 shown]
	s_lshl_b64 s[0:1], s[2:3], 2
	s_waitcnt lgkmcnt(0)
	s_add_u32 s29, s30, s0
	s_addc_u32 s30, s31, s1
	s_lshl_b32 s22, s6, 5
	s_ashr_i32 s23, s22, 31
	s_mul_i32 s0, s12, s23
	s_mul_hi_u32 s1, s12, s22
	s_load_dword s26, s[10:11], 0x0
	s_add_i32 s0, s1, s0
	s_mul_i32 s1, s13, s22
	s_add_i32 s1, s0, s1
	s_mul_i32 s0, s12, s22
	s_lshl_b64 s[0:1], s[0:1], 2
	s_load_dword s25, s[4:5], 0x78
	s_add_u32 s31, s29, s0
	s_addc_u32 s33, s30, s1
	s_waitcnt lgkmcnt(0)
	s_add_i32 s26, s26, -1
	s_cmp_lg_u32 s6, s26
	v_lshl_add_u32 v3, v1, 5, v0
	s_cselect_b64 s[2:3], -1, 0
	v_and_b32_e32 v2, 15, v0
	v_lshrrev_b32_e32 v6, 4, v3
	v_cmp_eq_u32_e64 s[0:1], 0, v1
	s_mov_b64 s[10:11], -1
	s_and_b64 vcc, exec, s[2:3]
	s_cbranch_vccnz .LBB133_15
; %bb.10:
	s_and_saveexec_b64 s[10:11], s[0:1]
	s_cbranch_execz .LBB133_14
; %bb.11:
	v_cmp_gt_i32_e32 vcc, s25, v0
	v_mov_b32_e32 v1, 0
	s_and_saveexec_b64 s[16:17], vcc
	s_cbranch_execz .LBB133_13
; %bb.12:
	v_mad_u64_u32 v[3:4], s[34:35], s12, v0, 0
	v_mov_b32_e32 v1, v4
	v_mad_u64_u32 v[4:5], s[34:35], s13, v0, v[1:2]
	v_mov_b32_e32 v1, s33
	v_lshlrev_b64 v[3:4], 2, v[3:4]
	v_add_co_u32_e32 v3, vcc, s31, v3
	v_addc_co_u32_e32 v4, vcc, v1, v4, vcc
	flat_load_dword v1, v[3:4]
.LBB133_13:
	s_or_b64 exec, exec, s[16:17]
	v_lshlrev_b32_e32 v3, 2, v0
	s_waitcnt vmcnt(0) lgkmcnt(0)
	ds_write_b32 v3, v1 offset:4096
.LBB133_14:
	s_or_b64 exec, exec, s[10:11]
	v_lshlrev_b32_e32 v1, 2, v2
	v_lshl_or_b32 v1, v6, 7, v1
	v_mov_b32_e32 v3, 0
	ds_write2_b32 v1, v3, v3 offset1:16
	v_add_u32_e32 v1, 0x800, v1
	s_mov_b64 s[10:11], 0
	ds_write2_b32 v1, v3, v3 offset1:16
.LBB133_15:
	s_and_b64 vcc, exec, s[10:11]
	s_cbranch_vccz .LBB133_19
; %bb.16:
	s_and_saveexec_b64 s[10:11], s[0:1]
	s_cbranch_execz .LBB133_18
; %bb.17:
	v_mad_u64_u32 v[3:4], s[16:17], s12, v0, 0
	v_mov_b32_e32 v1, v4
	v_mad_u64_u32 v[4:5], s[16:17], s13, v0, v[1:2]
	v_mov_b32_e32 v1, s33
	v_lshlrev_b64 v[3:4], 2, v[3:4]
	v_add_co_u32_e32 v3, vcc, s31, v3
	v_addc_co_u32_e32 v4, vcc, v1, v4, vcc
	flat_load_dword v1, v[3:4]
	v_lshlrev_b32_e32 v3, 2, v0
	s_waitcnt vmcnt(0) lgkmcnt(0)
	ds_write_b32 v3, v1 offset:4096
.LBB133_18:
	s_or_b64 exec, exec, s[10:11]
.LBB133_19:
	s_lshr_b32 s10, s25, 31
	s_add_i32 s10, s25, s10
	s_ashr_i32 s31, s10, 1
	s_lshl_b64 s[10:11], s[18:19], 2
	s_add_u32 s10, s8, s10
	s_addc_u32 s11, s9, s11
	s_mul_i32 s8, s20, s23
	s_mul_hi_u32 s9, s20, s22
	s_add_i32 s8, s9, s8
	s_mul_i32 s9, s21, s22
	s_add_i32 s9, s8, s9
	s_mul_i32 s8, s20, s22
	s_lshl_b64 s[8:9], s[8:9], 2
	s_add_u32 s10, s10, s8
	v_lshlrev_b32_e32 v7, 1, v6
	v_mov_b32_e32 v3, 0
	s_addc_u32 s11, s11, s9
	s_mul_i32 s7, s7, s27
	v_mad_u64_u32 v[4:5], s[8:9], s20, v7, v[2:3]
	s_lshl_b32 s16, s7, 5
	s_ashr_i32 s17, s16, 31
	s_lshl_b64 s[8:9], s[16:17], 2
	s_add_u32 s19, s10, s8
	v_mov_b32_e32 v1, v5
	s_addc_u32 s27, s11, s9
	v_mad_u64_u32 v[8:9], s[8:9], s21, v7, v[1:2]
	v_cmp_gt_i32_e32 vcc, s31, v6
	s_or_b64 s[2:3], s[2:3], vcc
	v_mov_b32_e32 v5, v8
	v_lshlrev_b64 v[4:5], 2, v[4:5]
	v_mov_b32_e32 v10, v3
	v_mov_b32_e32 v11, v3
	s_waitcnt lgkmcnt(0)
	s_barrier
	s_and_saveexec_b64 s[8:9], s[2:3]
	s_cbranch_execz .LBB133_21
; %bb.20:
	v_mov_b32_e32 v1, s27
	v_add_co_u32_e32 v8, vcc, s19, v4
	v_addc_co_u32_e32 v9, vcc, v1, v5, vcc
	s_lshl_b64 s[10:11], s[20:21], 2
	v_mov_b32_e32 v1, s11
	v_add_co_u32_e32 v12, vcc, s10, v8
	v_addc_co_u32_e32 v13, vcc, v9, v1, vcc
	flat_load_dword v10, v[8:9]
	flat_load_dword v11, v[12:13]
.LBB133_21:
	s_or_b64 exec, exec, s[8:9]
	s_load_dwordx4 s[8:11], s[4:5], 0x60
	v_lshlrev_b32_e32 v1, 7, v6
	s_waitcnt lgkmcnt(0)
	s_lshl_b64 s[4:5], s[8:9], 2
	s_add_u32 s18, s14, s4
	s_addc_u32 s7, s15, s5
	s_cmp_gt_i32 s28, 0
	s_cbranch_scc1 .LBB133_23
; %bb.22:
	v_lshlrev_b32_e32 v3, 7, v6
	v_mov_b32_e32 v23, 0
	v_mov_b32_e32 v22, 0
	s_cbranch_execz .LBB133_24
	s_branch .LBB133_43
.LBB133_23:
                                        ; implicit-def: $vgpr3
	v_mov_b32_e32 v23, 0
	v_mov_b32_e32 v22, 0
.LBB133_24:
	v_mad_u64_u32 v[8:9], s[4:5], s12, v2, 0
	s_mul_i32 s8, s12, s17
	v_or_b32_e32 v6, 16, v2
	v_mov_b32_e32 v3, v9
	v_mad_u64_u32 v[12:13], s[4:5], s13, v2, v[3:4]
	s_mul_hi_u32 s4, s12, s16
	s_mul_i32 s5, s13, s16
	s_add_i32 s4, s4, s8
	s_add_i32 s5, s4, s5
	s_mul_i32 s4, s12, s16
	v_mov_b32_e32 v9, v12
	s_lshl_b64 s[4:5], s[4:5], 2
	s_add_u32 s29, s29, s4
	v_lshlrev_b64 v[12:13], 2, v[8:9]
	s_addc_u32 s30, s30, s5
	v_mov_b32_e32 v3, s30
	v_add_co_u32_e32 v8, vcc, s29, v12
	v_addc_co_u32_e32 v9, vcc, v3, v13, vcc
	flat_load_dword v28, v[8:9]
	v_mad_u64_u32 v[14:15], s[8:9], s12, v6, 0
	s_mul_i32 s4, s10, s17
	s_mul_hi_u32 s5, s10, s16
	v_mov_b32_e32 v3, v15
	v_mad_u64_u32 v[16:17], s[8:9], s10, v0, 0
	s_add_i32 s4, s5, s4
	s_mul_i32 s5, s11, s16
	v_mad_u64_u32 v[8:9], s[8:9], s13, v6, v[3:4]
	s_add_i32 s5, s4, s5
	s_mul_i32 s4, s10, s16
	s_lshl_b64 s[4:5], s[4:5], 2
	s_add_u32 s14, s18, s4
	v_mov_b32_e32 v3, v17
	s_addc_u32 s15, s7, s5
	v_mov_b32_e32 v15, v8
	v_mad_u64_u32 v[8:9], s[4:5], s11, v0, v[3:4]
	v_mov_b32_e32 v3, 0x1000
	v_lshlrev_b32_e32 v18, 2, v2
	v_mov_b32_e32 v17, v8
	v_lshl_add_u32 v27, v7, 2, v3
	v_lshlrev_b64 v[14:15], 2, v[14:15]
	v_lshlrev_b64 v[6:7], 2, v[16:17]
	v_lshlrev_b32_e32 v24, 2, v0
	v_mov_b32_e32 v25, 0
	s_cmp_eq_u32 s28, 1
	v_add_u32_e32 v3, v18, v1
	s_cbranch_scc1 .LBB133_36
; %bb.25:
	v_mov_b32_e32 v8, s14
	s_lshl_b64 s[4:5], s[12:13], 7
	s_lshl_b64 s[8:9], s[10:11], 7
	s_add_i32 s28, s28, -2
	v_mov_b32_e32 v22, 0
	s_mov_b32 s31, 0
	v_mov_b32_e32 v9, s15
	s_lshl_b64 s[12:13], s[20:21], 2
	v_add_u32_e32 v29, 0x400, v24
	v_mov_b32_e32 v23, 0
	v_mov_b32_e32 v26, 0
	;; [unrolled: 1-line block ×3, first 2 shown]
.LBB133_26:                             ; =>This Loop Header: Depth=1
                                        ;     Child Loop BB133_32 Depth 2
	v_mov_b32_e32 v17, s30
	v_add_co_u32_e32 v16, vcc, s29, v14
	v_addc_co_u32_e32 v17, vcc, v17, v15, vcc
	flat_load_dword v31, v[16:17]
	s_and_saveexec_b64 s[14:15], s[2:3]
	s_cbranch_execz .LBB133_28
; %bb.27:                               ;   in Loop: Header=BB133_26 Depth=1
	v_mov_b32_e32 v17, s27
	v_add_co_u32_e32 v16, vcc, s19, v4
	v_addc_co_u32_e32 v17, vcc, v17, v5, vcc
	v_mov_b32_e32 v19, s13
	v_add_co_u32_e32 v18, vcc, s12, v16
	v_addc_co_u32_e32 v19, vcc, v17, v19, vcc
	flat_load_dword v26, v[16:17] offset:64
	flat_load_dword v25, v[18:19] offset:64
.LBB133_28:                             ;   in Loop: Header=BB133_26 Depth=1
	s_or_b64 exec, exec, s[14:15]
	ds_read_b64 v[18:19], v27
	s_waitcnt vmcnt(0)
	v_mov_b32_e32 v17, v11
	v_mov_b32_e32 v16, v10
	s_and_saveexec_b64 s[14:15], s[2:3]
	s_cbranch_execz .LBB133_30
; %bb.29:                               ;   in Loop: Header=BB133_26 Depth=1
	v_mov_b32_e32 v16, s27
	v_add_co_u32_e32 v20, vcc, s19, v4
	v_addc_co_u32_e32 v21, vcc, v16, v5, vcc
	v_mov_b32_e32 v16, s13
	v_add_co_u32_e32 v32, vcc, s12, v20
	v_addc_co_u32_e32 v33, vcc, v21, v16, vcc
	flat_load_dword v16, v[20:21] offset:128
	flat_load_dword v17, v[32:33] offset:128
.LBB133_30:                             ;   in Loop: Header=BB133_26 Depth=1
	s_or_b64 exec, exec, s[14:15]
	s_add_u32 s29, s29, s4
	s_addc_u32 s30, s30, s5
	v_mov_b32_e32 v21, s30
	v_add_co_u32_e32 v20, vcc, s29, v12
	v_addc_co_u32_e32 v21, vcc, v21, v13, vcc
	flat_load_dword v30, v[20:21]
	s_waitcnt lgkmcnt(0)
	v_fma_f32 v20, v10, v18, 0
	v_fma_f32 v18, v26, v18, 0
	v_fmac_f32_e32 v20, v11, v19
	v_fmac_f32_e32 v18, v25, v19
	s_waitcnt vmcnt(0)
	s_barrier
	ds_write2_b32 v3, v20, v18 offset1:16
	s_waitcnt lgkmcnt(0)
	s_barrier
	s_and_saveexec_b64 s[14:15], s[0:1]
	s_cbranch_execz .LBB133_34
; %bb.31:                               ;   in Loop: Header=BB133_26 Depth=1
	v_add_co_u32_e32 v18, vcc, v8, v6
	v_addc_co_u32_e32 v19, vcc, v9, v7, vcc
	flat_load_dword v21, v[18:19]
	ds_read2_b32 v[32:33], v24 offset1:32
	ds_read2_b32 v[34:35], v24 offset0:64 offset1:96
	ds_read2_b32 v[36:37], v24 offset0:128 offset1:160
	s_mov_b64 s[16:17], 0
	s_waitcnt lgkmcnt(0)
	v_add_f32_e32 v20, 0, v32
	v_add_f32_e32 v20, v20, v33
	ds_read2_b32 v[32:33], v24 offset0:192 offset1:224
	v_add_f32_e32 v20, v20, v34
	v_add_f32_e32 v20, v20, v35
	;; [unrolled: 1-line block ×3, first 2 shown]
	ds_read2_b32 v[34:35], v29 offset1:32
	v_add_f32_e32 v20, v20, v37
	s_waitcnt lgkmcnt(0)
	v_add_f32_e32 v20, v20, v32
	v_add_f32_e32 v20, v20, v33
	ds_read2_b32 v[32:33], v29 offset0:64 offset1:96
	ds_read2_b32 v[36:37], v29 offset0:128 offset1:160
	v_add_f32_e32 v20, v20, v34
	v_add_f32_e32 v20, v20, v35
	ds_read2_b32 v[34:35], v29 offset0:192 offset1:224
	s_waitcnt lgkmcnt(0)
	v_add_f32_e32 v20, v20, v32
	v_add_f32_e32 v20, v20, v33
	;; [unrolled: 1-line block ×6, first 2 shown]
	v_mul_f32_e32 v32, s24, v20
.LBB133_32:                             ;   Parent Loop BB133_26 Depth=1
                                        ; =>  This Inner Loop Header: Depth=2
	s_waitcnt vmcnt(0)
	v_add_f32_e32 v20, v21, v32
	flat_atomic_cmpswap v20, v[18:19], v[20:21] glc
	s_waitcnt vmcnt(0) lgkmcnt(0)
	v_cmp_eq_u32_e32 vcc, v20, v21
	s_or_b64 s[16:17], vcc, s[16:17]
	v_mov_b32_e32 v21, v20
	s_andn2_b64 exec, exec, s[16:17]
	s_cbranch_execnz .LBB133_32
; %bb.33:                               ;   in Loop: Header=BB133_26 Depth=1
	s_or_b64 exec, exec, s[16:17]
	v_mov_b32_e32 v18, s9
	v_add_co_u32_e32 v8, vcc, s8, v8
	v_addc_co_u32_e32 v9, vcc, v9, v18, vcc
.LBB133_34:                             ;   in Loop: Header=BB133_26 Depth=1
	s_or_b64 exec, exec, s[14:15]
	s_add_u32 s19, s19, 0x80
	v_fmac_f32_e32 v22, v28, v10
	v_fmac_f32_e32 v23, v28, v11
	s_addc_u32 s27, s27, 0
	s_add_i32 s14, s31, 1
	v_fmac_f32_e32 v22, v31, v26
	v_fmac_f32_e32 v23, v31, v25
	s_cmp_eq_u32 s31, s28
	s_cbranch_scc1 .LBB133_37
; %bb.35:                               ;   in Loop: Header=BB133_26 Depth=1
	v_mov_b32_e32 v10, v16
	s_mov_b32 s31, s14
	v_mov_b32_e32 v28, v30
	v_mov_b32_e32 v11, v17
	s_branch .LBB133_26
.LBB133_36:
	v_mov_b32_e32 v8, s14
	s_waitcnt vmcnt(0)
	v_mov_b32_e32 v17, v11
	v_mov_b32_e32 v9, s15
	;; [unrolled: 1-line block ×6, first 2 shown]
	s_waitcnt lgkmcnt(0)
	v_mov_b32_e32 v30, v28
.LBB133_37:
	v_mov_b32_e32 v11, s30
	v_add_co_u32_e32 v10, vcc, s29, v14
	v_addc_co_u32_e32 v11, vcc, v11, v15, vcc
	flat_load_dword v10, v[10:11]
	s_and_saveexec_b64 s[4:5], s[2:3]
	s_cbranch_execz .LBB133_39
; %bb.38:
	v_mov_b32_e32 v11, s27
	v_add_co_u32_e32 v4, vcc, s19, v4
	v_addc_co_u32_e32 v5, vcc, v11, v5, vcc
	s_lshl_b64 s[2:3], s[20:21], 2
	v_mov_b32_e32 v12, s3
	v_add_co_u32_e32 v11, vcc, s2, v4
	v_addc_co_u32_e32 v12, vcc, v5, v12, vcc
	flat_load_dword v26, v[4:5] offset:64
	flat_load_dword v25, v[11:12] offset:64
.LBB133_39:
	s_or_b64 exec, exec, s[4:5]
	ds_read_b64 v[4:5], v27
	v_fmac_f32_e32 v22, v30, v16
	v_fmac_f32_e32 v23, v30, v17
	s_waitcnt vmcnt(0) lgkmcnt(0)
	s_barrier
	v_fma_f32 v11, v16, v4, 0
	v_fma_f32 v4, v26, v4, 0
	v_fmac_f32_e32 v11, v17, v5
	v_fmac_f32_e32 v4, v25, v5
	ds_write2_b32 v3, v11, v4 offset1:16
	s_waitcnt lgkmcnt(0)
	s_barrier
	s_and_saveexec_b64 s[2:3], s[0:1]
	s_cbranch_execz .LBB133_42
; %bb.40:
	v_add_co_u32_e32 v3, vcc, v8, v6
	v_addc_co_u32_e32 v4, vcc, v9, v7, vcc
	flat_load_dword v6, v[3:4]
	ds_read2_b32 v[7:8], v24 offset1:32
	ds_read2_b32 v[11:12], v24 offset0:64 offset1:96
	ds_read2_b32 v[13:14], v24 offset0:128 offset1:160
	v_add_u32_e32 v9, 0x400, v24
	s_mov_b64 s[4:5], 0
	s_waitcnt lgkmcnt(0)
	v_add_f32_e32 v5, 0, v7
	v_add_f32_e32 v5, v5, v8
	ds_read2_b32 v[7:8], v24 offset0:192 offset1:224
	v_add_f32_e32 v5, v5, v11
	v_add_f32_e32 v5, v5, v12
	;; [unrolled: 1-line block ×3, first 2 shown]
	ds_read2_b32 v[11:12], v9 offset1:32
	v_add_f32_e32 v5, v5, v14
	s_waitcnt lgkmcnt(0)
	v_add_f32_e32 v5, v5, v7
	v_add_f32_e32 v5, v5, v8
	ds_read2_b32 v[7:8], v9 offset0:64 offset1:96
	ds_read2_b32 v[13:14], v9 offset0:128 offset1:160
	v_add_f32_e32 v5, v5, v11
	v_add_f32_e32 v5, v5, v12
	ds_read2_b32 v[11:12], v9 offset0:192 offset1:224
	s_waitcnt lgkmcnt(0)
	v_add_f32_e32 v5, v5, v7
	v_add_f32_e32 v5, v5, v8
	;; [unrolled: 1-line block ×6, first 2 shown]
	v_mul_f32_e32 v7, s24, v5
.LBB133_41:                             ; =>This Inner Loop Header: Depth=1
	s_waitcnt vmcnt(0)
	v_add_f32_e32 v5, v6, v7
	flat_atomic_cmpswap v5, v[3:4], v[5:6] glc
	s_waitcnt vmcnt(0) lgkmcnt(0)
	v_cmp_eq_u32_e32 vcc, v5, v6
	s_or_b64 s[4:5], vcc, s[4:5]
	v_mov_b32_e32 v6, v5
	s_andn2_b64 exec, exec, s[4:5]
	s_cbranch_execnz .LBB133_41
.LBB133_42:
	s_or_b64 exec, exec, s[2:3]
	v_fmac_f32_e32 v22, v10, v26
	v_fmac_f32_e32 v23, v10, v25
	v_mov_b32_e32 v3, v1
.LBB133_43:
	v_lshl_add_u32 v1, v2, 2, v3
	v_add_u32_e32 v1, 0x800, v1
	ds_write2_b32 v1, v22, v23 offset1:16
	s_waitcnt vmcnt(0) lgkmcnt(0)
	s_barrier
	s_and_saveexec_b64 s[2:3], s[0:1]
	s_cbranch_execz .LBB133_47
; %bb.44:
	s_cmp_lt_u32 s6, s26
	v_cmp_gt_i32_e32 vcc, s25, v0
	s_cselect_b64 s[0:1], -1, 0
	s_or_b64 s[0:1], vcc, s[0:1]
	s_and_b64 exec, exec, s[0:1]
	s_cbranch_execz .LBB133_47
; %bb.45:
	v_mad_u64_u32 v[3:4], s[2:3], s10, v0, 0
	s_mul_i32 s0, s10, s23
	s_mul_hi_u32 s1, s10, s22
	v_mov_b32_e32 v1, v4
	v_mad_u64_u32 v[4:5], s[2:3], s11, v0, v[1:2]
	s_add_i32 s0, s1, s0
	s_mul_i32 s1, s11, s22
	s_add_i32 s1, s0, s1
	s_mul_i32 s0, s10, s22
	s_lshl_b64 s[0:1], s[0:1], 2
	s_add_u32 s0, s18, s0
	v_lshlrev_b64 v[3:4], 2, v[3:4]
	s_addc_u32 s1, s7, s1
	v_mov_b32_e32 v1, 0x800
	v_lshl_add_u32 v5, v0, 6, v1
	v_mov_b32_e32 v1, s1
	v_add_co_u32_e32 v3, vcc, s0, v3
	v_addc_co_u32_e32 v4, vcc, v1, v4, vcc
	flat_load_dword v1, v[3:4]
	v_add_u32_e32 v7, 1, v0
	v_add_u32_e32 v8, 2, v0
	;; [unrolled: 1-line block ×7, first 2 shown]
	v_and_b32_e32 v7, 15, v7
	v_and_b32_e32 v8, 15, v8
	;; [unrolled: 1-line block ×7, first 2 shown]
	v_lshl_or_b32 v6, v2, 2, v5
	v_lshl_or_b32 v7, v7, 2, v5
	;; [unrolled: 1-line block ×8, first 2 shown]
	ds_read_b32 v6, v6
	ds_read_b32 v7, v7
	;; [unrolled: 1-line block ×8, first 2 shown]
	s_waitcnt lgkmcnt(0)
	v_add_f32_e32 v6, 0, v6
	v_add_f32_e32 v6, v6, v7
	v_add_f32_e32 v6, v6, v8
	v_add_f32_e32 v6, v6, v9
	v_add_f32_e32 v6, v6, v10
	v_add_f32_e32 v6, v6, v11
	v_add_f32_e32 v6, v6, v12
	v_add_u32_e32 v7, 9, v0
	v_add_u32_e32 v8, 10, v0
	;; [unrolled: 1-line block ×6, first 2 shown]
	v_add_u32_e32 v0, -1, v0
	v_xor_b32_e32 v2, 8, v2
	v_and_b32_e32 v7, 15, v7
	v_and_b32_e32 v8, 15, v8
	;; [unrolled: 1-line block ×6, first 2 shown]
	v_lshl_or_b32 v2, v2, 2, v5
	v_lshl_or_b32 v7, v7, 2, v5
	;; [unrolled: 1-line block ×6, first 2 shown]
	v_and_b32_e32 v12, 15, v12
	v_lshl_or_b32 v0, v0, 2, v5
	v_add_f32_e32 v6, v6, v13
	v_lshl_or_b32 v12, v12, 2, v5
	ds_read_b32 v2, v2
	ds_read_b32 v5, v7
	;; [unrolled: 1-line block ×8, first 2 shown]
	s_waitcnt lgkmcnt(0)
	v_add_f32_e32 v2, v6, v2
	v_add_f32_e32 v2, v2, v5
	;; [unrolled: 1-line block ×8, first 2 shown]
	v_mul_f32_e32 v2, s24, v0
	s_mov_b64 s[0:1], 0
.LBB133_46:                             ; =>This Inner Loop Header: Depth=1
	s_waitcnt vmcnt(0)
	v_add_f32_e32 v0, v1, v2
	flat_atomic_cmpswap v0, v[3:4], v[0:1] glc
	s_waitcnt vmcnt(0) lgkmcnt(0)
	v_cmp_eq_u32_e32 vcc, v0, v1
	s_or_b64 s[0:1], vcc, s[0:1]
	v_mov_b32_e32 v1, v0
	s_andn2_b64 exec, exec, s[0:1]
	s_cbranch_execnz .LBB133_46
.LBB133_47:
	s_endpgm
	.section	.rodata,"a",@progbits
	.p2align	6, 0x0
	.amdhsa_kernel _ZL62rocblas_symv_kernel_upper_double_buffered_non_diagonal_genericILi32ELi8ELi2ELi0E24rocblas_internal_val_ptrIfEPKPKfPKPfEvbiT3_lT4_lllSA_lllT5_lllii
		.amdhsa_group_segment_fixed_size 4224
		.amdhsa_private_segment_fixed_size 0
		.amdhsa_kernarg_size 384
		.amdhsa_user_sgpr_count 6
		.amdhsa_user_sgpr_private_segment_buffer 1
		.amdhsa_user_sgpr_dispatch_ptr 0
		.amdhsa_user_sgpr_queue_ptr 0
		.amdhsa_user_sgpr_kernarg_segment_ptr 1
		.amdhsa_user_sgpr_dispatch_id 0
		.amdhsa_user_sgpr_flat_scratch_init 0
		.amdhsa_user_sgpr_private_segment_size 0
		.amdhsa_uses_dynamic_stack 0
		.amdhsa_system_sgpr_private_segment_wavefront_offset 0
		.amdhsa_system_sgpr_workgroup_id_x 1
		.amdhsa_system_sgpr_workgroup_id_y 1
		.amdhsa_system_sgpr_workgroup_id_z 1
		.amdhsa_system_sgpr_workgroup_info 0
		.amdhsa_system_vgpr_workitem_id 1
		.amdhsa_next_free_vgpr 38
		.amdhsa_next_free_sgpr 36
		.amdhsa_reserve_vcc 1
		.amdhsa_reserve_flat_scratch 0
		.amdhsa_float_round_mode_32 0
		.amdhsa_float_round_mode_16_64 0
		.amdhsa_float_denorm_mode_32 3
		.amdhsa_float_denorm_mode_16_64 3
		.amdhsa_dx10_clamp 1
		.amdhsa_ieee_mode 1
		.amdhsa_fp16_overflow 0
		.amdhsa_exception_fp_ieee_invalid_op 0
		.amdhsa_exception_fp_denorm_src 0
		.amdhsa_exception_fp_ieee_div_zero 0
		.amdhsa_exception_fp_ieee_overflow 0
		.amdhsa_exception_fp_ieee_underflow 0
		.amdhsa_exception_fp_ieee_inexact 0
		.amdhsa_exception_int_div_zero 0
	.end_amdhsa_kernel
	.section	.text._ZL62rocblas_symv_kernel_upper_double_buffered_non_diagonal_genericILi32ELi8ELi2ELi0E24rocblas_internal_val_ptrIfEPKPKfPKPfEvbiT3_lT4_lllSA_lllT5_lllii,"axG",@progbits,_ZL62rocblas_symv_kernel_upper_double_buffered_non_diagonal_genericILi32ELi8ELi2ELi0E24rocblas_internal_val_ptrIfEPKPKfPKPfEvbiT3_lT4_lllSA_lllT5_lllii,comdat
.Lfunc_end133:
	.size	_ZL62rocblas_symv_kernel_upper_double_buffered_non_diagonal_genericILi32ELi8ELi2ELi0E24rocblas_internal_val_ptrIfEPKPKfPKPfEvbiT3_lT4_lllSA_lllT5_lllii, .Lfunc_end133-_ZL62rocblas_symv_kernel_upper_double_buffered_non_diagonal_genericILi32ELi8ELi2ELi0E24rocblas_internal_val_ptrIfEPKPKfPKPfEvbiT3_lT4_lllSA_lllT5_lllii
                                        ; -- End function
	.set _ZL62rocblas_symv_kernel_upper_double_buffered_non_diagonal_genericILi32ELi8ELi2ELi0E24rocblas_internal_val_ptrIfEPKPKfPKPfEvbiT3_lT4_lllSA_lllT5_lllii.num_vgpr, 38
	.set _ZL62rocblas_symv_kernel_upper_double_buffered_non_diagonal_genericILi32ELi8ELi2ELi0E24rocblas_internal_val_ptrIfEPKPKfPKPfEvbiT3_lT4_lllSA_lllT5_lllii.num_agpr, 0
	.set _ZL62rocblas_symv_kernel_upper_double_buffered_non_diagonal_genericILi32ELi8ELi2ELi0E24rocblas_internal_val_ptrIfEPKPKfPKPfEvbiT3_lT4_lllSA_lllT5_lllii.numbered_sgpr, 36
	.set _ZL62rocblas_symv_kernel_upper_double_buffered_non_diagonal_genericILi32ELi8ELi2ELi0E24rocblas_internal_val_ptrIfEPKPKfPKPfEvbiT3_lT4_lllSA_lllT5_lllii.num_named_barrier, 0
	.set _ZL62rocblas_symv_kernel_upper_double_buffered_non_diagonal_genericILi32ELi8ELi2ELi0E24rocblas_internal_val_ptrIfEPKPKfPKPfEvbiT3_lT4_lllSA_lllT5_lllii.private_seg_size, 0
	.set _ZL62rocblas_symv_kernel_upper_double_buffered_non_diagonal_genericILi32ELi8ELi2ELi0E24rocblas_internal_val_ptrIfEPKPKfPKPfEvbiT3_lT4_lllSA_lllT5_lllii.uses_vcc, 1
	.set _ZL62rocblas_symv_kernel_upper_double_buffered_non_diagonal_genericILi32ELi8ELi2ELi0E24rocblas_internal_val_ptrIfEPKPKfPKPfEvbiT3_lT4_lllSA_lllT5_lllii.uses_flat_scratch, 0
	.set _ZL62rocblas_symv_kernel_upper_double_buffered_non_diagonal_genericILi32ELi8ELi2ELi0E24rocblas_internal_val_ptrIfEPKPKfPKPfEvbiT3_lT4_lllSA_lllT5_lllii.has_dyn_sized_stack, 0
	.set _ZL62rocblas_symv_kernel_upper_double_buffered_non_diagonal_genericILi32ELi8ELi2ELi0E24rocblas_internal_val_ptrIfEPKPKfPKPfEvbiT3_lT4_lllSA_lllT5_lllii.has_recursion, 0
	.set _ZL62rocblas_symv_kernel_upper_double_buffered_non_diagonal_genericILi32ELi8ELi2ELi0E24rocblas_internal_val_ptrIfEPKPKfPKPfEvbiT3_lT4_lllSA_lllT5_lllii.has_indirect_call, 0
	.section	.AMDGPU.csdata,"",@progbits
; Kernel info:
; codeLenInByte = 2840
; TotalNumSgprs: 40
; NumVgprs: 38
; ScratchSize: 0
; MemoryBound: 0
; FloatMode: 240
; IeeeMode: 1
; LDSByteSize: 4224 bytes/workgroup (compile time only)
; SGPRBlocks: 4
; VGPRBlocks: 9
; NumSGPRsForWavesPerEU: 40
; NumVGPRsForWavesPerEU: 38
; Occupancy: 6
; WaveLimiterHint : 1
; COMPUTE_PGM_RSRC2:SCRATCH_EN: 0
; COMPUTE_PGM_RSRC2:USER_SGPR: 6
; COMPUTE_PGM_RSRC2:TRAP_HANDLER: 0
; COMPUTE_PGM_RSRC2:TGID_X_EN: 1
; COMPUTE_PGM_RSRC2:TGID_Y_EN: 1
; COMPUTE_PGM_RSRC2:TGID_Z_EN: 1
; COMPUTE_PGM_RSRC2:TIDIG_COMP_CNT: 1
	.section	.text._ZL62rocblas_symv_kernel_upper_double_buffered_non_diagonal_genericILi32ELi8ELi2ELi1E24rocblas_internal_val_ptrIfEPKPKfPKPfEvbiT3_lT4_lllSA_lllT5_lllii,"axG",@progbits,_ZL62rocblas_symv_kernel_upper_double_buffered_non_diagonal_genericILi32ELi8ELi2ELi1E24rocblas_internal_val_ptrIfEPKPKfPKPfEvbiT3_lT4_lllSA_lllT5_lllii,comdat
	.globl	_ZL62rocblas_symv_kernel_upper_double_buffered_non_diagonal_genericILi32ELi8ELi2ELi1E24rocblas_internal_val_ptrIfEPKPKfPKPfEvbiT3_lT4_lllSA_lllT5_lllii ; -- Begin function _ZL62rocblas_symv_kernel_upper_double_buffered_non_diagonal_genericILi32ELi8ELi2ELi1E24rocblas_internal_val_ptrIfEPKPKfPKPfEvbiT3_lT4_lllSA_lllT5_lllii
	.p2align	8
	.type	_ZL62rocblas_symv_kernel_upper_double_buffered_non_diagonal_genericILi32ELi8ELi2ELi1E24rocblas_internal_val_ptrIfEPKPKfPKPfEvbiT3_lT4_lllSA_lllT5_lllii,@function
_ZL62rocblas_symv_kernel_upper_double_buffered_non_diagonal_genericILi32ELi8ELi2ELi1E24rocblas_internal_val_ptrIfEPKPKfPKPfEvbiT3_lT4_lllSA_lllT5_lllii: ; @_ZL62rocblas_symv_kernel_upper_double_buffered_non_diagonal_genericILi32ELi8ELi2ELi1E24rocblas_internal_val_ptrIfEPKPKfPKPfEvbiT3_lT4_lllSA_lllT5_lllii
; %bb.0:
	s_load_dword s0, s[4:5], 0x0
	s_load_dwordx8 s[12:19], s[4:5], 0x8
	s_load_dwordx2 s[20:21], s[4:5], 0x28
	s_waitcnt lgkmcnt(0)
	s_bitcmp0_b32 s0, 0
	s_cbranch_scc0 .LBB134_2
; %bb.1:
	s_mul_i32 s0, s15, s8
	s_mul_hi_u32 s1, s14, s8
	s_add_i32 s1, s1, s0
	s_mul_i32 s0, s14, s8
	s_lshl_b64 s[0:1], s[0:1], 2
	s_add_u32 s0, s12, s0
	s_addc_u32 s1, s13, s1
	s_load_dword s24, s[0:1], 0x0
	s_cbranch_execz .LBB134_3
	s_branch .LBB134_4
.LBB134_2:
                                        ; implicit-def: $sgpr24
.LBB134_3:
	s_waitcnt lgkmcnt(0)
	s_mov_b32 s24, s12
.LBB134_4:
	s_waitcnt lgkmcnt(0)
	v_cmp_eq_f32_e64 s[0:1], s24, 0
	s_and_b64 vcc, exec, s[0:1]
	s_cbranch_vccnz .LBB134_79
; %bb.5:
	s_load_dword s10, s[4:5], 0x84
	s_add_u32 s22, s4, 0x80
	s_addc_u32 s23, s5, 0
	s_cmp_eq_u32 s6, 0
	s_waitcnt lgkmcnt(0)
	v_cvt_f32_u32_e32 v2, s10
	v_rcp_iflag_f32_e32 v2, v2
	v_mul_f32_e32 v2, 0x4f7ffffe, v2
	v_cvt_u32_f32_e32 v2, v2
	v_readfirstlane_b32 s0, v2
	s_cbranch_scc1 .LBB134_79
; %bb.6:
	s_sub_i32 s1, 0, s10
	s_mul_i32 s1, s1, s0
	s_mul_hi_u32 s1, s0, s1
	s_add_i32 s0, s0, s1
	s_mul_hi_u32 s11, s6, s0
	s_load_dwordx2 s[12:13], s[4:5], 0x58
	s_load_dwordx4 s[0:3], s[4:5], 0x38
	s_mov_b32 s9, 0
	s_lshl_b64 s[14:15], s[8:9], 3
	s_add_u32 s8, s16, s14
	s_addc_u32 s9, s17, s15
	s_waitcnt lgkmcnt(0)
	s_add_u32 s0, s0, s14
	s_addc_u32 s1, s1, s15
	s_add_u32 s16, s12, s14
	s_mul_i32 s12, s11, s10
	s_addc_u32 s17, s13, s15
	s_sub_i32 s12, s6, s12
	s_add_i32 s13, s11, 1
	s_sub_i32 s14, s12, s10
	s_cmp_ge_u32 s12, s10
	s_cselect_b32 s11, s13, s11
	s_cselect_b32 s12, s14, s12
	s_add_i32 s13, s11, 1
	s_cmp_ge_u32 s12, s10
	s_cselect_b32 s29, s13, s11
	s_add_i32 s11, s10, -1
	s_cmp_lg_u32 s7, s11
	s_mov_b32 s35, s29
	s_cbranch_scc1 .LBB134_8
; %bb.7:
	s_mul_i32 s10, s29, s10
	s_sub_i32 s10, s6, s10
	s_add_i32 s35, s10, s29
.LBB134_8:
	s_cmp_eq_u32 s35, 0
	s_cbranch_scc1 .LBB134_79
; %bb.9:
	s_load_dwordx2 s[26:27], s[0:1], 0x0
	s_load_dwordx2 s[12:13], s[4:5], 0x48
	;; [unrolled: 1-line block ×4, first 2 shown]
	s_lshl_b64 s[0:1], s[2:3], 2
	s_waitcnt lgkmcnt(0)
	s_add_u32 s33, s26, s0
	s_addc_u32 s34, s27, s1
	s_lshl_b32 s25, s6, 5
	s_ashr_i32 s26, s25, 31
	s_mul_i32 s0, s12, s26
	s_mul_hi_u32 s1, s12, s25
	s_load_dword s27, s[22:23], 0x0
	s_add_i32 s0, s1, s0
	s_mul_i32 s1, s13, s25
	s_add_i32 s1, s0, s1
	s_mul_i32 s0, s12, s25
	s_lshl_b64 s[0:1], s[0:1], 2
	s_add_u32 s22, s33, s0
	s_addc_u32 s23, s34, s1
	s_waitcnt lgkmcnt(0)
	s_add_i32 s27, s27, -1
	s_cmp_lg_u32 s6, s27
	s_cselect_b64 s[8:9], -1, 0
	v_lshl_add_u32 v2, v1, 5, v0
	v_cmp_eq_u32_e64 s[0:1], 0, v1
	s_mov_b64 s[2:3], -1
	s_and_b64 vcc, exec, s[8:9]
	s_cbranch_vccz .LBB134_13
; %bb.10:
	s_and_saveexec_b64 s[2:3], s[0:1]
	s_cbranch_execz .LBB134_12
; %bb.11:
	v_mad_u64_u32 v[3:4], s[16:17], s12, v0, 0
	v_mov_b32_e32 v1, v4
	v_mad_u64_u32 v[4:5], s[16:17], s13, v0, v[1:2]
	v_mov_b32_e32 v1, s23
	v_lshlrev_b64 v[3:4], 2, v[3:4]
	v_add_co_u32_e32 v3, vcc, s22, v3
	v_addc_co_u32_e32 v4, vcc, v1, v4, vcc
	flat_load_dword v1, v[3:4]
	v_lshlrev_b32_e32 v3, 2, v0
	s_waitcnt vmcnt(0) lgkmcnt(0)
	ds_write_b32 v3, v1 offset:4096
.LBB134_12:
	s_or_b64 exec, exec, s[2:3]
	s_mov_b64 s[2:3], 0
.LBB134_13:
	s_load_dword s28, s[4:5], 0x78
	v_and_b32_e32 v1, 15, v0
	s_andn2_b64 vcc, exec, s[2:3]
	v_lshrrev_b32_e32 v6, 4, v2
	s_cbranch_vccnz .LBB134_19
; %bb.14:
	s_and_saveexec_b64 s[2:3], s[0:1]
	s_cbranch_execz .LBB134_18
; %bb.15:
	s_waitcnt lgkmcnt(0)
	v_cmp_gt_i32_e32 vcc, s28, v0
	v_mov_b32_e32 v2, 0
	s_and_saveexec_b64 s[16:17], vcc
	s_cbranch_execz .LBB134_17
; %bb.16:
	v_mad_u64_u32 v[2:3], s[30:31], s12, v0, 0
	v_mad_u64_u32 v[3:4], s[30:31], s13, v0, v[3:4]
	v_mov_b32_e32 v4, s23
	v_lshlrev_b64 v[2:3], 2, v[2:3]
	v_add_co_u32_e32 v2, vcc, s22, v2
	v_addc_co_u32_e32 v3, vcc, v4, v3, vcc
	flat_load_dword v2, v[2:3]
.LBB134_17:
	s_or_b64 exec, exec, s[16:17]
	v_lshlrev_b32_e32 v3, 2, v0
	s_waitcnt vmcnt(0) lgkmcnt(0)
	ds_write_b32 v3, v2 offset:4096
.LBB134_18:
	s_or_b64 exec, exec, s[2:3]
	v_lshlrev_b32_e32 v2, 2, v1
	v_lshl_or_b32 v2, v6, 7, v2
	v_mov_b32_e32 v3, 0
	ds_write2_b32 v2, v3, v3 offset1:16
	v_add_u32_e32 v2, 0x800, v2
	ds_write2_b32 v2, v3, v3 offset1:16
.LBB134_19:
	s_waitcnt lgkmcnt(0)
	s_lshr_b32 s2, s28, 31
	s_add_i32 s2, s28, s2
	s_ashr_i32 s22, s2, 1
	s_lshl_b64 s[2:3], s[18:19], 2
	s_add_u32 s10, s10, s2
	s_addc_u32 s11, s11, s3
	s_mul_i32 s2, s20, s26
	s_mul_hi_u32 s3, s20, s25
	s_add_i32 s2, s3, s2
	s_mul_i32 s3, s21, s25
	s_add_i32 s3, s2, s3
	s_mul_i32 s2, s20, s25
	s_lshl_b64 s[2:3], s[2:3], 2
	s_add_u32 s10, s10, s2
	s_mul_i32 s7, s7, s29
	s_addc_u32 s11, s11, s3
	s_lshl_b32 s16, s7, 5
	s_ashr_i32 s17, s16, 31
	s_lshl_b64 s[2:3], s[16:17], 2
	s_add_u32 s30, s10, s2
	v_lshlrev_b32_e32 v7, 1, v6
	v_mov_b32_e32 v2, 0
	s_addc_u32 s31, s11, s3
	v_mad_u64_u32 v[2:3], s[2:3], s20, v7, v[1:2]
	s_andn2_b64 vcc, exec, s[8:9]
	v_mad_u64_u32 v[3:4], s[2:3], s21, v7, v[3:4]
	v_cndmask_b32_e64 v4, 0, 1, s[8:9]
	v_cmp_ne_u32_e64 s[2:3], 1, v4
	s_barrier
	s_cbranch_vccnz .LBB134_21
; %bb.20:
	v_lshlrev_b64 v[4:5], 2, v[2:3]
	v_mov_b32_e32 v8, s31
	v_add_co_u32_e32 v4, vcc, s30, v4
	v_addc_co_u32_e32 v5, vcc, v8, v5, vcc
	s_lshl_b64 s[8:9], s[20:21], 2
	v_mov_b32_e32 v8, s9
	v_add_co_u32_e32 v10, vcc, s8, v4
	v_addc_co_u32_e32 v11, vcc, v5, v8, vcc
	flat_load_dword v8, v[4:5]
	flat_load_dword v9, v[10:11]
	v_cmp_le_i32_e64 s[8:9], s22, v6
	s_cbranch_execz .LBB134_22
	s_branch .LBB134_29
.LBB134_21:
                                        ; implicit-def: $vgpr8_vgpr9
	v_cmp_le_i32_e64 s[8:9], s22, v6
.LBB134_22:
                                        ; implicit-def: $vgpr8_vgpr9
	s_and_saveexec_b64 s[10:11], s[8:9]
	s_xor_b64 s[8:9], exec, s[10:11]
	s_cbranch_execz .LBB134_26
; %bb.23:
	s_waitcnt vmcnt(0) lgkmcnt(0)
	v_mov_b32_e32 v8, 0
	v_cmp_eq_u32_e32 vcc, s22, v6
	v_mov_b32_e32 v9, v8
	s_and_saveexec_b64 s[10:11], vcc
	s_cbranch_execz .LBB134_25
; %bb.24:
	v_lshlrev_b64 v[4:5], 2, v[2:3]
	v_mov_b32_e32 v9, s31
	v_add_co_u32_e32 v4, vcc, s30, v4
	v_addc_co_u32_e32 v5, vcc, v9, v5, vcc
	flat_load_dword v4, v[4:5]
	v_mov_b32_e32 v5, v8
	s_waitcnt vmcnt(0) lgkmcnt(0)
	v_mov_b32_e32 v9, v5
	v_mov_b32_e32 v8, v4
.LBB134_25:
	s_or_b64 exec, exec, s[10:11]
.LBB134_26:
	s_andn2_saveexec_b64 s[8:9], s[8:9]
	s_cbranch_execz .LBB134_28
; %bb.27:
	v_lshlrev_b64 v[4:5], 2, v[2:3]
	s_waitcnt vmcnt(0) lgkmcnt(0)
	v_mov_b32_e32 v8, s31
	v_add_co_u32_e32 v4, vcc, s30, v4
	v_addc_co_u32_e32 v5, vcc, v8, v5, vcc
	s_lshl_b64 s[10:11], s[20:21], 2
	v_mov_b32_e32 v8, s11
	v_add_co_u32_e32 v10, vcc, s10, v4
	v_addc_co_u32_e32 v11, vcc, v5, v8, vcc
	flat_load_dword v8, v[4:5]
	flat_load_dword v9, v[10:11]
.LBB134_28:
	s_or_b64 exec, exec, s[8:9]
.LBB134_29:
	s_load_dwordx4 s[8:11], s[4:5], 0x60
	v_lshlrev_b32_e32 v22, 7, v6
	s_waitcnt lgkmcnt(0)
	s_lshl_b64 s[4:5], s[8:9], 2
	s_add_u32 s29, s14, s4
	s_addc_u32 s7, s15, s5
	s_cmp_gt_i32 s35, 0
	s_cbranch_scc1 .LBB134_31
; %bb.30:
	v_lshlrev_b32_e32 v4, 7, v6
	v_mov_b32_e32 v24, 0
	v_mov_b32_e32 v23, 0
	s_cbranch_execz .LBB134_32
	s_branch .LBB134_75
.LBB134_31:
                                        ; implicit-def: $vgpr4
	v_mov_b32_e32 v24, 0
	v_mov_b32_e32 v23, 0
.LBB134_32:
	v_mad_u64_u32 v[4:5], s[4:5], s12, v1, 0
	s_mul_i32 s8, s12, s17
	v_lshlrev_b32_e32 v26, 2, v1
	v_mad_u64_u32 v[10:11], s[4:5], s13, v1, v[5:6]
	s_mul_hi_u32 s4, s12, s16
	s_mul_i32 s5, s13, s16
	s_add_i32 s4, s4, s8
	s_add_i32 s5, s4, s5
	s_mul_i32 s4, s12, s16
	v_mov_b32_e32 v5, v10
	s_lshl_b64 s[4:5], s[4:5], 2
	s_add_u32 s33, s33, s4
	v_lshlrev_b64 v[10:11], 2, v[4:5]
	s_addc_u32 s34, s34, s5
	v_mov_b32_e32 v5, s34
	v_add_co_u32_e32 v4, vcc, s33, v10
	v_addc_co_u32_e32 v5, vcc, v5, v11, vcc
	flat_load_dword v28, v[4:5]
	v_or_b32_e32 v5, 16, v1
	s_mul_i32 s4, s10, s17
	s_mul_hi_u32 s5, s10, s16
	v_mad_u64_u32 v[12:13], s[8:9], s12, v5, 0
	s_add_i32 s4, s5, s4
	s_mul_i32 s5, s11, s16
	s_add_i32 s5, s4, s5
	s_mul_i32 s4, s10, s16
	s_lshl_b64 s[4:5], s[4:5], 2
	s_add_u32 s16, s29, s4
	v_mov_b32_e32 v4, v13
	s_addc_u32 s17, s7, s5
	v_mad_u64_u32 v[13:14], s[4:5], s13, v5, v[4:5]
	v_mad_u64_u32 v[4:5], s[4:5], s10, v0, 0
	v_cmp_le_i32_e64 s[8:9], s22, v6
	v_cmp_eq_u32_e64 s[4:5], s22, v6
	v_mad_u64_u32 v[5:6], s[14:15], s11, v0, v[5:6]
	v_mov_b32_e32 v6, 0x1000
	v_lshlrev_b64 v[12:13], 2, v[12:13]
	v_lshl_add_u32 v27, v7, 2, v6
	v_lshlrev_b32_e32 v25, 2, v0
	v_mov_b32_e32 v29, 0
	s_cmp_eq_u32 s35, 1
	s_cbranch_scc1 .LBB134_60
; %bb.33:
	v_mov_b32_e32 v6, s16
	v_lshlrev_b64 v[14:15], 2, v[2:3]
	s_lshl_b64 s[12:13], s[12:13], 7
	s_lshl_b64 s[14:15], s[10:11], 7
	s_add_i32 s35, s35, -2
	v_mov_b32_e32 v23, 0
	s_mov_b32 s36, 0
	v_mov_b32_e32 v7, s17
	s_lshl_b64 s[16:17], s[20:21], 2
	v_mov_b32_e32 v24, 0
	v_mov_b32_e32 v17, 0
	;; [unrolled: 1-line block ×3, first 2 shown]
.LBB134_34:                             ; =>This Loop Header: Depth=1
                                        ;     Child Loop BB134_56 Depth 2
	v_mov_b32_e32 v19, s34
	v_add_co_u32_e32 v18, vcc, s33, v12
	v_addc_co_u32_e32 v19, vcc, v19, v13, vcc
	flat_load_dword v31, v[18:19]
	s_and_b64 vcc, exec, s[2:3]
	s_mov_b64 s[18:19], -1
                                        ; implicit-def: $vgpr29
                                        ; implicit-def: $vgpr30
	s_cbranch_vccnz .LBB134_38
; %bb.35:                               ;   in Loop: Header=BB134_34 Depth=1
	v_mov_b32_e32 v19, s31
	v_add_co_u32_e32 v18, vcc, s30, v14
	v_addc_co_u32_e32 v19, vcc, v19, v15, vcc
	v_mov_b32_e32 v21, s17
	v_add_co_u32_e32 v20, vcc, s16, v18
	v_addc_co_u32_e32 v21, vcc, v19, v21, vcc
	flat_load_dword v30, v[18:19] offset:64
	flat_load_dword v29, v[20:21] offset:64
	s_cbranch_execz .LBB134_39
.LBB134_36:                             ;   in Loop: Header=BB134_34 Depth=1
	ds_read_b64 v[18:19], v27
	s_and_b64 vcc, exec, s[2:3]
	s_mov_b64 s[18:19], -1
                                        ; implicit-def: $vgpr16_vgpr17
	s_cbranch_vccnz .LBB134_46
.LBB134_37:                             ;   in Loop: Header=BB134_34 Depth=1
	v_mov_b32_e32 v16, s31
	v_add_co_u32_e32 v20, vcc, s30, v14
	v_addc_co_u32_e32 v21, vcc, v16, v15, vcc
	v_mov_b32_e32 v16, s17
	v_add_co_u32_e32 v32, vcc, s16, v20
	v_addc_co_u32_e32 v33, vcc, v21, v16, vcc
	flat_load_dword v16, v[20:21] offset:128
	flat_load_dword v17, v[32:33] offset:128
	s_cbranch_execnz .LBB134_54
	s_branch .LBB134_47
.LBB134_38:                             ;   in Loop: Header=BB134_34 Depth=1
	s_andn2_b64 vcc, exec, s[18:19]
	s_cbranch_vccnz .LBB134_36
.LBB134_39:                             ;   in Loop: Header=BB134_34 Depth=1
	s_and_saveexec_b64 s[18:19], s[8:9]
	s_xor_b64 s[18:19], exec, s[18:19]
	s_cbranch_execz .LBB134_43
; %bb.40:                               ;   in Loop: Header=BB134_34 Depth=1
	s_and_saveexec_b64 s[22:23], s[4:5]
	s_cbranch_execz .LBB134_42
; %bb.41:                               ;   in Loop: Header=BB134_34 Depth=1
	v_mov_b32_e32 v18, s31
	v_add_co_u32_e32 v17, vcc, s30, v14
	v_addc_co_u32_e32 v18, vcc, v18, v15, vcc
	flat_load_dword v17, v[17:18] offset:64
.LBB134_42:                             ;   in Loop: Header=BB134_34 Depth=1
	s_or_b64 exec, exec, s[22:23]
.LBB134_43:                             ;   in Loop: Header=BB134_34 Depth=1
	s_andn2_saveexec_b64 s[18:19], s[18:19]
	s_cbranch_execz .LBB134_45
; %bb.44:                               ;   in Loop: Header=BB134_34 Depth=1
	v_mov_b32_e32 v16, s31
	v_add_co_u32_e32 v18, vcc, s30, v14
	v_addc_co_u32_e32 v19, vcc, v16, v15, vcc
	v_mov_b32_e32 v16, s17
	v_add_co_u32_e32 v20, vcc, s16, v18
	v_addc_co_u32_e32 v21, vcc, v19, v16, vcc
	s_waitcnt vmcnt(0) lgkmcnt(0)
	flat_load_dword v17, v[18:19] offset:64
	flat_load_dword v16, v[20:21] offset:64
.LBB134_45:                             ;   in Loop: Header=BB134_34 Depth=1
	s_or_b64 exec, exec, s[18:19]
	s_waitcnt vmcnt(0) lgkmcnt(0)
	v_mov_b32_e32 v30, v17
	v_mov_b32_e32 v29, v16
	ds_read_b64 v[18:19], v27
	s_and_b64 vcc, exec, s[2:3]
	s_mov_b64 s[18:19], -1
                                        ; implicit-def: $vgpr16_vgpr17
	s_cbranch_vccz .LBB134_37
.LBB134_46:                             ;   in Loop: Header=BB134_34 Depth=1
	s_andn2_b64 vcc, exec, s[18:19]
	s_cbranch_vccnz .LBB134_54
.LBB134_47:                             ;   in Loop: Header=BB134_34 Depth=1
                                        ; implicit-def: $vgpr16_vgpr17
	s_and_saveexec_b64 s[18:19], s[8:9]
	s_xor_b64 s[18:19], exec, s[18:19]
	s_cbranch_execz .LBB134_51
; %bb.48:                               ;   in Loop: Header=BB134_34 Depth=1
	s_waitcnt vmcnt(0) lgkmcnt(0)
	v_mov_b32_e32 v17, v9
	v_mov_b32_e32 v16, v8
	s_and_saveexec_b64 s[22:23], s[4:5]
	s_cbranch_execz .LBB134_50
; %bb.49:                               ;   in Loop: Header=BB134_34 Depth=1
	v_mov_b32_e32 v17, s31
	v_add_co_u32_e32 v16, vcc, s30, v14
	v_addc_co_u32_e32 v17, vcc, v17, v15, vcc
	flat_load_dword v16, v[16:17] offset:128
	v_mov_b32_e32 v17, v9
.LBB134_50:                             ;   in Loop: Header=BB134_34 Depth=1
	s_or_b64 exec, exec, s[22:23]
.LBB134_51:                             ;   in Loop: Header=BB134_34 Depth=1
	s_andn2_saveexec_b64 s[18:19], s[18:19]
	s_cbranch_execz .LBB134_53
; %bb.52:                               ;   in Loop: Header=BB134_34 Depth=1
	s_waitcnt vmcnt(0) lgkmcnt(0)
	v_mov_b32_e32 v16, s31
	v_add_co_u32_e32 v20, vcc, s30, v14
	v_addc_co_u32_e32 v21, vcc, v16, v15, vcc
	v_mov_b32_e32 v16, s17
	v_add_co_u32_e32 v32, vcc, s16, v20
	v_addc_co_u32_e32 v33, vcc, v21, v16, vcc
	flat_load_dword v16, v[20:21] offset:128
	flat_load_dword v17, v[32:33] offset:128
.LBB134_53:                             ;   in Loop: Header=BB134_34 Depth=1
	s_or_b64 exec, exec, s[18:19]
.LBB134_54:                             ;   in Loop: Header=BB134_34 Depth=1
	s_add_u32 s33, s33, s12
	s_addc_u32 s34, s34, s13
	v_mov_b32_e32 v21, s34
	v_add_co_u32_e32 v20, vcc, s33, v10
	v_addc_co_u32_e32 v21, vcc, v21, v11, vcc
	flat_load_dword v32, v[20:21]
	s_waitcnt vmcnt(0) lgkmcnt(0)
	v_fma_f32 v20, v8, v18, 0
	v_fma_f32 v18, v30, v18, 0
	v_fmac_f32_e32 v20, v9, v19
	v_fmac_f32_e32 v18, v29, v19
	v_add_u32_e32 v19, v26, v22
	s_barrier
	ds_write2_b32 v19, v20, v18 offset1:16
	s_waitcnt lgkmcnt(0)
	s_barrier
	s_and_saveexec_b64 s[18:19], s[0:1]
	s_cbranch_execz .LBB134_58
; %bb.55:                               ;   in Loop: Header=BB134_34 Depth=1
	v_lshlrev_b64 v[18:19], 2, v[4:5]
	v_add_u32_e32 v39, 0x400, v25
	v_add_co_u32_e32 v18, vcc, v6, v18
	v_addc_co_u32_e32 v19, vcc, v7, v19, vcc
	flat_load_dword v21, v[18:19]
	ds_read2_b32 v[33:34], v25 offset1:32
	ds_read2_b32 v[35:36], v25 offset0:64 offset1:96
	ds_read2_b32 v[37:38], v25 offset0:128 offset1:160
	s_mov_b64 s[22:23], 0
	s_waitcnt lgkmcnt(0)
	v_add_f32_e32 v20, 0, v33
	v_add_f32_e32 v20, v20, v34
	ds_read2_b32 v[33:34], v25 offset0:192 offset1:224
	v_add_f32_e32 v20, v20, v35
	v_add_f32_e32 v20, v20, v36
	;; [unrolled: 1-line block ×3, first 2 shown]
	ds_read2_b32 v[35:36], v39 offset1:32
	v_add_f32_e32 v20, v20, v38
	s_waitcnt lgkmcnt(0)
	v_add_f32_e32 v20, v20, v33
	v_add_f32_e32 v20, v20, v34
	ds_read2_b32 v[33:34], v39 offset0:64 offset1:96
	ds_read2_b32 v[37:38], v39 offset0:128 offset1:160
	v_add_f32_e32 v20, v20, v35
	v_add_f32_e32 v20, v20, v36
	ds_read2_b32 v[35:36], v39 offset0:192 offset1:224
	s_waitcnt lgkmcnt(0)
	v_add_f32_e32 v20, v20, v33
	v_add_f32_e32 v20, v20, v34
	;; [unrolled: 1-line block ×6, first 2 shown]
	v_mul_f32_e32 v33, s24, v20
.LBB134_56:                             ;   Parent Loop BB134_34 Depth=1
                                        ; =>  This Inner Loop Header: Depth=2
	s_waitcnt vmcnt(0)
	v_add_f32_e32 v20, v21, v33
	flat_atomic_cmpswap v20, v[18:19], v[20:21] glc
	s_waitcnt vmcnt(0) lgkmcnt(0)
	v_cmp_eq_u32_e32 vcc, v20, v21
	s_or_b64 s[22:23], vcc, s[22:23]
	v_mov_b32_e32 v21, v20
	s_andn2_b64 exec, exec, s[22:23]
	s_cbranch_execnz .LBB134_56
; %bb.57:                               ;   in Loop: Header=BB134_34 Depth=1
	s_or_b64 exec, exec, s[22:23]
	v_mov_b32_e32 v18, s15
	v_add_co_u32_e32 v6, vcc, s14, v6
	v_addc_co_u32_e32 v7, vcc, v7, v18, vcc
.LBB134_58:                             ;   in Loop: Header=BB134_34 Depth=1
	s_or_b64 exec, exec, s[18:19]
	s_add_u32 s30, s30, 0x80
	v_fmac_f32_e32 v23, v28, v8
	v_fmac_f32_e32 v24, v28, v9
	s_addc_u32 s31, s31, 0
	s_add_i32 s18, s36, 1
	v_fmac_f32_e32 v23, v31, v30
	v_fmac_f32_e32 v24, v31, v29
	s_cmp_eq_u32 s36, s35
	s_cbranch_scc1 .LBB134_61
; %bb.59:                               ;   in Loop: Header=BB134_34 Depth=1
	v_mov_b32_e32 v8, v16
	s_mov_b32 s36, s18
	v_mov_b32_e32 v28, v32
	v_mov_b32_e32 v9, v17
	;; [unrolled: 1-line block ×4, first 2 shown]
	s_branch .LBB134_34
.LBB134_60:
	v_mov_b32_e32 v6, s16
	s_waitcnt vmcnt(0)
	v_mov_b32_e32 v17, v9
	v_mov_b32_e32 v7, s17
	;; [unrolled: 1-line block ×6, first 2 shown]
	s_waitcnt lgkmcnt(0)
	v_mov_b32_e32 v32, v28
.LBB134_61:
	v_mov_b32_e32 v9, s34
	v_add_co_u32_e32 v8, vcc, s33, v12
	v_addc_co_u32_e32 v9, vcc, v9, v13, vcc
	flat_load_dword v8, v[8:9]
	s_and_b64 vcc, exec, s[2:3]
	s_cbranch_vccnz .LBB134_63
; %bb.62:
	v_lshlrev_b64 v[9:10], 2, v[2:3]
	v_mov_b32_e32 v12, s31
	v_add_co_u32_e32 v11, vcc, s30, v9
	v_addc_co_u32_e32 v12, vcc, v12, v10, vcc
	s_lshl_b64 s[2:3], s[20:21], 2
	v_mov_b32_e32 v9, s3
	v_add_co_u32_e32 v13, vcc, s2, v11
	v_addc_co_u32_e32 v14, vcc, v12, v9, vcc
	flat_load_dword v9, v[11:12] offset:64
	flat_load_dword v10, v[13:14] offset:64
	s_cbranch_execz .LBB134_64
	s_branch .LBB134_71
.LBB134_63:
                                        ; implicit-def: $vgpr10
                                        ; implicit-def: $vgpr9
.LBB134_64:
	s_and_saveexec_b64 s[2:3], s[8:9]
	s_xor_b64 s[2:3], exec, s[2:3]
	s_cbranch_execz .LBB134_68
; %bb.65:
	s_and_saveexec_b64 s[8:9], s[4:5]
	s_cbranch_execz .LBB134_67
; %bb.66:
	v_lshlrev_b64 v[2:3], 2, v[2:3]
	s_waitcnt vmcnt(0) lgkmcnt(0)
	v_mov_b32_e32 v9, s31
	v_add_co_u32_e32 v2, vcc, s30, v2
	v_addc_co_u32_e32 v3, vcc, v9, v3, vcc
	flat_load_dword v30, v[2:3] offset:64
.LBB134_67:
	s_or_b64 exec, exec, s[8:9]
                                        ; implicit-def: $vgpr2_vgpr3
.LBB134_68:
	s_andn2_saveexec_b64 s[2:3], s[2:3]
	s_cbranch_execz .LBB134_70
; %bb.69:
	v_lshlrev_b64 v[2:3], 2, v[2:3]
	s_waitcnt vmcnt(0) lgkmcnt(0)
	v_mov_b32_e32 v9, s31
	v_add_co_u32_e32 v2, vcc, s30, v2
	v_addc_co_u32_e32 v3, vcc, v9, v3, vcc
	s_lshl_b64 s[4:5], s[20:21], 2
	v_mov_b32_e32 v10, s5
	v_add_co_u32_e32 v9, vcc, s4, v2
	v_addc_co_u32_e32 v10, vcc, v3, v10, vcc
	flat_load_dword v30, v[2:3] offset:64
	flat_load_dword v29, v[9:10] offset:64
.LBB134_70:
	s_or_b64 exec, exec, s[2:3]
	s_waitcnt vmcnt(0) lgkmcnt(0)
	v_mov_b32_e32 v9, v30
	v_mov_b32_e32 v10, v29
.LBB134_71:
	ds_read_b64 v[2:3], v27
	v_fmac_f32_e32 v23, v32, v16
	v_fmac_f32_e32 v24, v32, v17
	s_waitcnt vmcnt(0) lgkmcnt(0)
	s_barrier
	v_fma_f32 v11, v16, v2, 0
	v_fma_f32 v2, v9, v2, 0
	v_fmac_f32_e32 v11, v17, v3
	v_fmac_f32_e32 v2, v10, v3
	v_add_u32_e32 v3, v26, v22
	ds_write2_b32 v3, v11, v2 offset1:16
	s_waitcnt lgkmcnt(0)
	s_barrier
	s_and_saveexec_b64 s[2:3], s[0:1]
	s_cbranch_execz .LBB134_74
; %bb.72:
	v_lshlrev_b64 v[2:3], 2, v[4:5]
	v_add_u32_e32 v15, 0x400, v25
	v_add_co_u32_e32 v2, vcc, v6, v2
	v_addc_co_u32_e32 v3, vcc, v7, v3, vcc
	flat_load_dword v5, v[2:3]
	ds_read2_b32 v[6:7], v25 offset1:32
	ds_read2_b32 v[11:12], v25 offset0:64 offset1:96
	ds_read2_b32 v[13:14], v25 offset0:128 offset1:160
	s_mov_b64 s[4:5], 0
	s_waitcnt lgkmcnt(0)
	v_add_f32_e32 v4, 0, v6
	v_add_f32_e32 v4, v4, v7
	ds_read2_b32 v[6:7], v25 offset0:192 offset1:224
	v_add_f32_e32 v4, v4, v11
	v_add_f32_e32 v4, v4, v12
	v_add_f32_e32 v4, v4, v13
	ds_read2_b32 v[11:12], v15 offset1:32
	v_add_f32_e32 v4, v4, v14
	s_waitcnt lgkmcnt(0)
	v_add_f32_e32 v4, v4, v6
	v_add_f32_e32 v4, v4, v7
	ds_read2_b32 v[6:7], v15 offset0:64 offset1:96
	ds_read2_b32 v[13:14], v15 offset0:128 offset1:160
	v_add_f32_e32 v4, v4, v11
	v_add_f32_e32 v4, v4, v12
	ds_read2_b32 v[11:12], v15 offset0:192 offset1:224
	s_waitcnt lgkmcnt(0)
	v_add_f32_e32 v4, v4, v6
	v_add_f32_e32 v4, v4, v7
	;; [unrolled: 1-line block ×6, first 2 shown]
	v_mul_f32_e32 v6, s24, v4
.LBB134_73:                             ; =>This Inner Loop Header: Depth=1
	s_waitcnt vmcnt(0)
	v_add_f32_e32 v4, v5, v6
	flat_atomic_cmpswap v4, v[2:3], v[4:5] glc
	s_waitcnt vmcnt(0) lgkmcnt(0)
	v_cmp_eq_u32_e32 vcc, v4, v5
	s_or_b64 s[4:5], vcc, s[4:5]
	v_mov_b32_e32 v5, v4
	s_andn2_b64 exec, exec, s[4:5]
	s_cbranch_execnz .LBB134_73
.LBB134_74:
	s_or_b64 exec, exec, s[2:3]
	v_fmac_f32_e32 v23, v8, v9
	v_fmac_f32_e32 v24, v8, v10
	v_mov_b32_e32 v4, v22
.LBB134_75:
	v_lshl_add_u32 v2, v1, 2, v4
	v_add_u32_e32 v2, 0x800, v2
	ds_write2_b32 v2, v23, v24 offset1:16
	s_waitcnt vmcnt(0) lgkmcnt(0)
	s_barrier
	s_and_saveexec_b64 s[2:3], s[0:1]
	s_cbranch_execz .LBB134_79
; %bb.76:
	s_cmp_lt_u32 s6, s27
	v_cmp_gt_i32_e32 vcc, s28, v0
	s_cselect_b64 s[0:1], -1, 0
	s_or_b64 s[0:1], vcc, s[0:1]
	s_and_b64 exec, exec, s[0:1]
	s_cbranch_execz .LBB134_79
; %bb.77:
	v_mad_u64_u32 v[2:3], s[2:3], s10, v0, 0
	s_mul_i32 s0, s10, s26
	s_mul_hi_u32 s1, s10, s25
	v_mad_u64_u32 v[3:4], s[2:3], s11, v0, v[3:4]
	s_add_i32 s0, s1, s0
	s_mul_i32 s1, s11, s25
	s_add_i32 s1, s0, s1
	s_mul_i32 s0, s10, s25
	s_lshl_b64 s[0:1], s[0:1], 2
	s_add_u32 s0, s29, s0
	v_lshlrev_b64 v[2:3], 2, v[2:3]
	s_addc_u32 s1, s7, s1
	v_mov_b32_e32 v5, s1
	v_add_co_u32_e32 v2, vcc, s0, v2
	v_addc_co_u32_e32 v3, vcc, v5, v3, vcc
	flat_load_dword v5, v[2:3]
	v_mov_b32_e32 v4, 0x800
	v_add_u32_e32 v7, 1, v0
	v_add_u32_e32 v8, 2, v0
	;; [unrolled: 1-line block ×7, first 2 shown]
	v_lshl_add_u32 v4, v0, 6, v4
	v_and_b32_e32 v7, 15, v7
	v_and_b32_e32 v8, 15, v8
	;; [unrolled: 1-line block ×7, first 2 shown]
	v_lshl_or_b32 v6, v1, 2, v4
	v_lshl_or_b32 v7, v7, 2, v4
	;; [unrolled: 1-line block ×8, first 2 shown]
	ds_read_b32 v6, v6
	ds_read_b32 v7, v7
	;; [unrolled: 1-line block ×8, first 2 shown]
	s_waitcnt lgkmcnt(0)
	v_add_f32_e32 v6, 0, v6
	v_add_f32_e32 v6, v6, v7
	;; [unrolled: 1-line block ×7, first 2 shown]
	v_add_u32_e32 v7, 9, v0
	v_add_u32_e32 v8, 10, v0
	;; [unrolled: 1-line block ×6, first 2 shown]
	v_add_u32_e32 v0, -1, v0
	v_xor_b32_e32 v1, 8, v1
	v_and_b32_e32 v7, 15, v7
	v_and_b32_e32 v8, 15, v8
	;; [unrolled: 1-line block ×6, first 2 shown]
	v_lshl_or_b32 v1, v1, 2, v4
	v_lshl_or_b32 v7, v7, 2, v4
	;; [unrolled: 1-line block ×6, first 2 shown]
	v_and_b32_e32 v12, 15, v12
	v_lshl_or_b32 v0, v0, 2, v4
	v_add_f32_e32 v6, v6, v13
	v_lshl_or_b32 v12, v12, 2, v4
	ds_read_b32 v1, v1
	ds_read_b32 v4, v7
	;; [unrolled: 1-line block ×8, first 2 shown]
	s_waitcnt lgkmcnt(0)
	v_add_f32_e32 v1, v6, v1
	v_add_f32_e32 v1, v1, v4
	;; [unrolled: 1-line block ×8, first 2 shown]
	v_mul_f32_e32 v0, s24, v0
	s_mov_b64 s[0:1], 0
.LBB134_78:                             ; =>This Inner Loop Header: Depth=1
	s_waitcnt vmcnt(0)
	v_add_f32_e32 v4, v5, v0
	flat_atomic_cmpswap v1, v[2:3], v[4:5] glc
	s_waitcnt vmcnt(0) lgkmcnt(0)
	v_cmp_eq_u32_e32 vcc, v1, v5
	s_or_b64 s[0:1], vcc, s[0:1]
	v_mov_b32_e32 v5, v1
	s_andn2_b64 exec, exec, s[0:1]
	s_cbranch_execnz .LBB134_78
.LBB134_79:
	s_endpgm
	.section	.rodata,"a",@progbits
	.p2align	6, 0x0
	.amdhsa_kernel _ZL62rocblas_symv_kernel_upper_double_buffered_non_diagonal_genericILi32ELi8ELi2ELi1E24rocblas_internal_val_ptrIfEPKPKfPKPfEvbiT3_lT4_lllSA_lllT5_lllii
		.amdhsa_group_segment_fixed_size 4224
		.amdhsa_private_segment_fixed_size 0
		.amdhsa_kernarg_size 384
		.amdhsa_user_sgpr_count 6
		.amdhsa_user_sgpr_private_segment_buffer 1
		.amdhsa_user_sgpr_dispatch_ptr 0
		.amdhsa_user_sgpr_queue_ptr 0
		.amdhsa_user_sgpr_kernarg_segment_ptr 1
		.amdhsa_user_sgpr_dispatch_id 0
		.amdhsa_user_sgpr_flat_scratch_init 0
		.amdhsa_user_sgpr_private_segment_size 0
		.amdhsa_uses_dynamic_stack 0
		.amdhsa_system_sgpr_private_segment_wavefront_offset 0
		.amdhsa_system_sgpr_workgroup_id_x 1
		.amdhsa_system_sgpr_workgroup_id_y 1
		.amdhsa_system_sgpr_workgroup_id_z 1
		.amdhsa_system_sgpr_workgroup_info 0
		.amdhsa_system_vgpr_workitem_id 1
		.amdhsa_next_free_vgpr 40
		.amdhsa_next_free_sgpr 37
		.amdhsa_reserve_vcc 1
		.amdhsa_reserve_flat_scratch 0
		.amdhsa_float_round_mode_32 0
		.amdhsa_float_round_mode_16_64 0
		.amdhsa_float_denorm_mode_32 3
		.amdhsa_float_denorm_mode_16_64 3
		.amdhsa_dx10_clamp 1
		.amdhsa_ieee_mode 1
		.amdhsa_fp16_overflow 0
		.amdhsa_exception_fp_ieee_invalid_op 0
		.amdhsa_exception_fp_denorm_src 0
		.amdhsa_exception_fp_ieee_div_zero 0
		.amdhsa_exception_fp_ieee_overflow 0
		.amdhsa_exception_fp_ieee_underflow 0
		.amdhsa_exception_fp_ieee_inexact 0
		.amdhsa_exception_int_div_zero 0
	.end_amdhsa_kernel
	.section	.text._ZL62rocblas_symv_kernel_upper_double_buffered_non_diagonal_genericILi32ELi8ELi2ELi1E24rocblas_internal_val_ptrIfEPKPKfPKPfEvbiT3_lT4_lllSA_lllT5_lllii,"axG",@progbits,_ZL62rocblas_symv_kernel_upper_double_buffered_non_diagonal_genericILi32ELi8ELi2ELi1E24rocblas_internal_val_ptrIfEPKPKfPKPfEvbiT3_lT4_lllSA_lllT5_lllii,comdat
.Lfunc_end134:
	.size	_ZL62rocblas_symv_kernel_upper_double_buffered_non_diagonal_genericILi32ELi8ELi2ELi1E24rocblas_internal_val_ptrIfEPKPKfPKPfEvbiT3_lT4_lllSA_lllT5_lllii, .Lfunc_end134-_ZL62rocblas_symv_kernel_upper_double_buffered_non_diagonal_genericILi32ELi8ELi2ELi1E24rocblas_internal_val_ptrIfEPKPKfPKPfEvbiT3_lT4_lllSA_lllT5_lllii
                                        ; -- End function
	.set _ZL62rocblas_symv_kernel_upper_double_buffered_non_diagonal_genericILi32ELi8ELi2ELi1E24rocblas_internal_val_ptrIfEPKPKfPKPfEvbiT3_lT4_lllSA_lllT5_lllii.num_vgpr, 40
	.set _ZL62rocblas_symv_kernel_upper_double_buffered_non_diagonal_genericILi32ELi8ELi2ELi1E24rocblas_internal_val_ptrIfEPKPKfPKPfEvbiT3_lT4_lllSA_lllT5_lllii.num_agpr, 0
	.set _ZL62rocblas_symv_kernel_upper_double_buffered_non_diagonal_genericILi32ELi8ELi2ELi1E24rocblas_internal_val_ptrIfEPKPKfPKPfEvbiT3_lT4_lllSA_lllT5_lllii.numbered_sgpr, 37
	.set _ZL62rocblas_symv_kernel_upper_double_buffered_non_diagonal_genericILi32ELi8ELi2ELi1E24rocblas_internal_val_ptrIfEPKPKfPKPfEvbiT3_lT4_lllSA_lllT5_lllii.num_named_barrier, 0
	.set _ZL62rocblas_symv_kernel_upper_double_buffered_non_diagonal_genericILi32ELi8ELi2ELi1E24rocblas_internal_val_ptrIfEPKPKfPKPfEvbiT3_lT4_lllSA_lllT5_lllii.private_seg_size, 0
	.set _ZL62rocblas_symv_kernel_upper_double_buffered_non_diagonal_genericILi32ELi8ELi2ELi1E24rocblas_internal_val_ptrIfEPKPKfPKPfEvbiT3_lT4_lllSA_lllT5_lllii.uses_vcc, 1
	.set _ZL62rocblas_symv_kernel_upper_double_buffered_non_diagonal_genericILi32ELi8ELi2ELi1E24rocblas_internal_val_ptrIfEPKPKfPKPfEvbiT3_lT4_lllSA_lllT5_lllii.uses_flat_scratch, 0
	.set _ZL62rocblas_symv_kernel_upper_double_buffered_non_diagonal_genericILi32ELi8ELi2ELi1E24rocblas_internal_val_ptrIfEPKPKfPKPfEvbiT3_lT4_lllSA_lllT5_lllii.has_dyn_sized_stack, 0
	.set _ZL62rocblas_symv_kernel_upper_double_buffered_non_diagonal_genericILi32ELi8ELi2ELi1E24rocblas_internal_val_ptrIfEPKPKfPKPfEvbiT3_lT4_lllSA_lllT5_lllii.has_recursion, 0
	.set _ZL62rocblas_symv_kernel_upper_double_buffered_non_diagonal_genericILi32ELi8ELi2ELi1E24rocblas_internal_val_ptrIfEPKPKfPKPfEvbiT3_lT4_lllSA_lllT5_lllii.has_indirect_call, 0
	.section	.AMDGPU.csdata,"",@progbits
; Kernel info:
; codeLenInByte = 3436
; TotalNumSgprs: 41
; NumVgprs: 40
; ScratchSize: 0
; MemoryBound: 0
; FloatMode: 240
; IeeeMode: 1
; LDSByteSize: 4224 bytes/workgroup (compile time only)
; SGPRBlocks: 5
; VGPRBlocks: 9
; NumSGPRsForWavesPerEU: 41
; NumVGPRsForWavesPerEU: 40
; Occupancy: 6
; WaveLimiterHint : 1
; COMPUTE_PGM_RSRC2:SCRATCH_EN: 0
; COMPUTE_PGM_RSRC2:USER_SGPR: 6
; COMPUTE_PGM_RSRC2:TRAP_HANDLER: 0
; COMPUTE_PGM_RSRC2:TGID_X_EN: 1
; COMPUTE_PGM_RSRC2:TGID_Y_EN: 1
; COMPUTE_PGM_RSRC2:TGID_Z_EN: 1
; COMPUTE_PGM_RSRC2:TIDIG_COMP_CNT: 1
	.section	.text._ZL26rocblas_hemvn_kernel_upperILb0ELi64ELi4ELi33ELi32ELi16ElPKfPKS1_PfEviT6_lT7_lT5_lS6_lS7_lS5_lT8_i,"axG",@progbits,_ZL26rocblas_hemvn_kernel_upperILb0ELi64ELi4ELi33ELi32ELi16ElPKfPKS1_PfEviT6_lT7_lT5_lS6_lS7_lS5_lT8_i,comdat
	.globl	_ZL26rocblas_hemvn_kernel_upperILb0ELi64ELi4ELi33ELi32ELi16ElPKfPKS1_PfEviT6_lT7_lT5_lS6_lS7_lS5_lT8_i ; -- Begin function _ZL26rocblas_hemvn_kernel_upperILb0ELi64ELi4ELi33ELi32ELi16ElPKfPKS1_PfEviT6_lT7_lT5_lS6_lS7_lS5_lT8_i
	.p2align	8
	.type	_ZL26rocblas_hemvn_kernel_upperILb0ELi64ELi4ELi33ELi32ELi16ElPKfPKS1_PfEviT6_lT7_lT5_lS6_lS7_lS5_lT8_i,@function
_ZL26rocblas_hemvn_kernel_upperILb0ELi64ELi4ELi33ELi32ELi16ElPKfPKS1_PfEviT6_lT7_lT5_lS6_lS7_lS5_lT8_i: ; @_ZL26rocblas_hemvn_kernel_upperILb0ELi64ELi4ELi33ELi32ELi16ElPKfPKS1_PfEviT6_lT7_lT5_lS6_lS7_lS5_lT8_i
; %bb.0:
	s_load_dwordx2 s[2:3], s[4:5], 0x84
	s_add_u32 s0, s4, 0x78
	s_mov_b32 s26, s7
	s_addc_u32 s1, s5, 0
	s_waitcnt lgkmcnt(0)
	s_lshr_b32 s7, s2, 16
	s_and_b32 s2, s2, 0xffff
	s_and_b32 s3, s3, 0xffff
	s_mul_i32 s2, s7, s2
	s_mul_i32 s2, s2, s3
	s_cmpk_lg_i32 s2, 0x100
	s_cbranch_scc1 .LBB135_4
; %bb.1:
	s_load_dwordx8 s[8:15], s[4:5], 0x8
	s_load_dwordx4 s[16:19], s[4:5], 0x58
	s_waitcnt lgkmcnt(0)
	s_mul_i32 s3, s11, s26
	s_mul_hi_u32 s7, s10, s26
	s_mul_i32 s2, s10, s26
	s_add_i32 s3, s7, s3
	s_lshl_b64 s[2:3], s[2:3], 2
	s_add_u32 s2, s8, s2
	s_addc_u32 s3, s9, s3
	s_mul_i32 s10, s19, s26
	s_load_dword s7, s[2:3], 0x0
	s_mul_hi_u32 s2, s18, s26
	s_add_i32 s3, s2, s10
	s_mul_i32 s2, s18, s26
	s_lshl_b64 s[2:3], s[2:3], 2
	s_add_u32 s2, s16, s2
	s_addc_u32 s3, s17, s3
	s_load_dword s8, s[2:3], 0x0
	s_waitcnt lgkmcnt(0)
	v_cmp_eq_f32_e64 s[2:3], s7, 0
	v_cmp_eq_f32_e64 s[8:9], s8, 1.0
	s_and_b64 s[8:9], s[2:3], s[8:9]
	s_and_b64 vcc, exec, s[8:9]
	s_cbranch_vccnz .LBB135_4
; %bb.2:
	s_and_b64 vcc, exec, s[2:3]
	s_cbranch_vccz .LBB135_5
; %bb.3:
	s_cbranch_execz .LBB135_6
.LBB135_4:
	s_endpgm
.LBB135_5:
.LBB135_6:
	s_mov_b32 s27, 0
	s_load_dword s7, s[0:1], 0x0
	s_load_dwordx4 s[8:11], s[4:5], 0x38
	s_load_dwordx2 s[16:17], s[4:5], 0x48
	s_lshl_b64 s[0:1], s[26:27], 3
	s_add_u32 s12, s12, s0
	s_addc_u32 s13, s13, s1
	s_waitcnt lgkmcnt(0)
	s_add_u32 s0, s8, s0
	s_addc_u32 s1, s9, s1
	s_load_dwordx2 s[8:9], s[0:1], 0x0
	s_load_dwordx2 s[22:23], s[4:5], 0x28
	s_load_dword s33, s[4:5], 0x0
	s_load_dwordx2 s[2:3], s[12:13], 0x0
	s_lshl_b64 s[0:1], s[10:11], 2
	s_load_dwordx2 s[28:29], s[4:5], 0x68
	s_waitcnt lgkmcnt(0)
	s_add_u32 s4, s8, s0
	s_addc_u32 s5, s9, s1
	s_lshl_b32 s24, s6, 6
	s_ashr_i32 s40, s33, 31
	s_lshr_b32 s0, s40, 26
	v_add_u32_e32 v18, s24, v0
	s_add_i32 s0, s33, s0
	v_ashrrev_i32_e32 v19, 31, v18
	s_and_b32 s9, s0, 0xffffffc0
	v_mul_lo_u32 v4, s16, v19
	v_mul_lo_u32 v5, s17, v18
	v_mad_u64_u32 v[2:3], s[0:1], s16, v18, 0
	s_add_i32 s8, s7, -1
	s_sub_i32 s27, s33, s9
	v_add3_u32 v3, v3, v4, v5
	v_lshlrev_b64 v[2:3], 2, v[2:3]
	s_cmp_eq_u32 s6, s8
	v_mov_b32_e32 v4, s5
	v_add_co_u32_e32 v8, vcc, s4, v2
	s_cselect_b32 s18, s27, 0
	v_addc_co_u32_e32 v9, vcc, v4, v3, vcc
	v_cmp_eq_u32_e64 s[0:1], 0, v1
	s_and_saveexec_b64 s[4:5], s[0:1]
	s_cbranch_execz .LBB135_10
; %bb.7:
	s_cmp_eq_u32 s18, 0
	s_cselect_b64 s[8:9], -1, 0
	v_cmp_gt_i32_e32 vcc, s18, v0
	s_or_b64 s[10:11], s[8:9], vcc
	v_mov_b32_e32 v2, 0
	s_and_saveexec_b64 s[8:9], s[10:11]
	s_cbranch_execz .LBB135_9
; %bb.8:
	flat_load_dword v2, v[8:9]
.LBB135_9:
	s_or_b64 exec, exec, s[8:9]
	v_lshlrev_b32_e32 v3, 2, v0
	s_waitcnt vmcnt(0) lgkmcnt(0)
	ds_write_b32 v3, v2 offset:4544
.LBB135_10:
	s_or_b64 exec, exec, s[4:5]
	v_lshl_add_u32 v14, v1, 6, v0
	v_and_b32_e32 v2, 31, v0
	v_lshrrev_b32_e32 v15, 5, v14
	v_mov_b32_e32 v3, 0
	v_mad_u64_u32 v[4:5], s[8:9], s22, v15, v[2:3]
	s_lshl_b64 s[4:5], s[14:15], 2
	s_add_u32 s4, s2, s4
	s_addc_u32 s5, s3, s5
	v_mad_u64_u32 v[5:6], s[2:3], s23, v15, v[5:6]
	s_ashr_i32 s25, s24, 31
	s_lshl_b64 s[2:3], s[24:25], 2
	s_add_u32 s2, s4, s2
	v_lshlrev_b64 v[6:7], 2, v[4:5]
	s_addc_u32 s3, s5, s3
	v_mov_b32_e32 v4, s3
	v_add_co_u32_e32 v5, vcc, s2, v6
	s_mul_hi_u32 s2, s22, s24
	s_mul_i32 s3, s22, s25
	s_add_i32 s2, s2, s3
	s_mul_i32 s3, s23, s24
	s_add_i32 s3, s2, s3
	s_mul_i32 s2, s22, s24
	s_lshl_b64 s[2:3], s[2:3], 2
	v_addc_co_u32_e32 v10, vcc, v4, v7, vcc
	s_cmp_eq_u32 s18, 0
	v_mov_b32_e32 v11, s3
	v_add_co_u32_e32 v4, vcc, s2, v5
	s_cselect_b64 s[20:21], -1, 0
	s_cmp_lg_u32 s18, 0
	v_addc_co_u32_e32 v5, vcc, v10, v11, vcc
	s_cselect_b64 s[34:35], -1, 0
	s_and_b64 vcc, exec, s[34:35]
	v_cmp_gt_i32_e64 s[2:3], s18, v2
	v_lshlrev_b32_e32 v16, 2, v2
	s_cbranch_vccz .LBB135_20
; %bb.11:
	v_sub_co_u32_e32 v10, vcc, v4, v16
	s_ashr_i32 s19, s18, 31
	v_subbrev_co_u32_e32 v11, vcc, 0, v5, vcc
	s_lshl_b64 s[4:5], s[18:19], 2
	v_mov_b32_e32 v12, s5
	v_add_co_u32_e32 v10, vcc, s4, v10
	v_addc_co_u32_e32 v11, vcc, v11, v12, vcc
	v_add_co_u32_e32 v10, vcc, -4, v10
	v_addc_co_u32_e32 v11, vcc, -1, v11, vcc
	v_cndmask_b32_e64 v11, v11, v5, s[2:3]
	v_cndmask_b32_e64 v10, v10, v4, s[2:3]
	v_cmp_gt_i32_e32 vcc, s18, v15
	s_and_saveexec_b64 s[8:9], vcc
	s_cbranch_execz .LBB135_13
; %bb.12:
	flat_load_dword v3, v[10:11]
.LBB135_13:
	s_or_b64 exec, exec, s[8:9]
	v_lshlrev_b32_e32 v13, 2, v2
	s_movk_i32 s8, 0x84
	v_mad_u32_u24 v12, v15, s8, v13
	s_waitcnt vmcnt(0) lgkmcnt(0)
	ds_write_b32 v12, v3
	v_add_u32_e32 v3, 8, v15
	v_mul_u32_u24_e32 v17, 0x84, v15
	v_cmp_gt_i32_e32 vcc, s18, v3
	v_mov_b32_e32 v12, 0
	v_mov_b32_e32 v20, 0
	s_and_saveexec_b64 s[8:9], vcc
	s_cbranch_execz .LBB135_15
; %bb.14:
	s_lshl_b64 s[10:11], s[22:23], 5
	v_mov_b32_e32 v3, s11
	v_add_co_u32_e32 v20, vcc, s10, v10
	v_addc_co_u32_e32 v21, vcc, v11, v3, vcc
	flat_load_dword v20, v[20:21]
.LBB135_15:
	s_or_b64 exec, exec, s[8:9]
	v_add_u32_e32 v3, v17, v13
	v_add_u32_e32 v13, 16, v15
	v_cmp_gt_i32_e32 vcc, s18, v13
	s_waitcnt vmcnt(0) lgkmcnt(0)
	ds_write_b32 v3, v20 offset:1056
	s_and_saveexec_b64 s[8:9], vcc
	s_cbranch_execz .LBB135_17
; %bb.16:
	s_lshl_b64 s[10:11], s[22:23], 6
	v_mov_b32_e32 v13, s11
	v_add_co_u32_e32 v12, vcc, s10, v10
	v_addc_co_u32_e32 v13, vcc, v11, v13, vcc
	flat_load_dword v12, v[12:13]
.LBB135_17:
	s_or_b64 exec, exec, s[8:9]
	s_waitcnt vmcnt(0) lgkmcnt(0)
	ds_write_b32 v3, v12 offset:2112
	v_add_u32_e32 v12, 24, v15
	v_cmp_gt_i32_e32 vcc, s18, v12
	v_mov_b32_e32 v12, 0
	s_and_saveexec_b64 s[8:9], vcc
	s_cbranch_execz .LBB135_19
; %bb.18:
	v_mov_b32_e32 v12, 0x60
	v_mad_u64_u32 v[12:13], s[10:11], s22, v12, v[10:11]
	s_mul_i32 s10, s23, 0x60
	v_add_u32_e32 v13, s10, v13
	flat_load_dword v12, v[12:13]
.LBB135_19:
	s_or_b64 exec, exec, s[8:9]
	s_waitcnt vmcnt(0) lgkmcnt(0)
	ds_write_b32 v3, v12 offset:3168
	v_add_co_u32_e32 v3, vcc, v10, v16
	v_addc_co_u32_e32 v10, vcc, 0, v11, vcc
	v_mov_b32_e32 v11, s5
	v_subrev_co_u32_e32 v3, vcc, s4, v3
	v_subb_co_u32_e32 v10, vcc, v10, v11, vcc
	v_add_co_u32_e32 v3, vcc, 4, v3
	v_addc_co_u32_e32 v10, vcc, 0, v10, vcc
	v_cndmask_b32_e64 v11, v10, v5, s[2:3]
	v_cndmask_b32_e64 v10, v3, v4, s[2:3]
	s_branch .LBB135_22
.LBB135_20:
                                        ; implicit-def: $vgpr10_vgpr11
	s_cbranch_execz .LBB135_22
; %bb.21:
	s_lshl_b64 s[2:3], s[22:23], 5
	v_mov_b32_e32 v3, s3
	v_add_co_u32_e32 v10, vcc, s2, v4
	v_addc_co_u32_e32 v11, vcc, v5, v3, vcc
	v_add_co_u32_e32 v12, vcc, s2, v10
	v_addc_co_u32_e32 v13, vcc, v11, v3, vcc
	;; [unrolled: 2-line block ×3, first 2 shown]
	flat_load_dword v3, v[4:5]
	flat_load_dword v17, v[10:11]
	;; [unrolled: 1-line block ×4, first 2 shown]
	v_mul_u32_u24_e32 v10, 0x84, v15
	v_lshl_add_u32 v10, v2, 2, v10
	s_waitcnt vmcnt(0) lgkmcnt(0)
	ds_write_b32 v10, v3
	ds_write_b32 v10, v17 offset:1056
	ds_write_b32 v10, v22 offset:2112
	;; [unrolled: 1-line block ×3, first 2 shown]
	v_mov_b32_e32 v11, v5
	v_mov_b32_e32 v10, v4
.LBB135_22:
	v_lshlrev_b32_e32 v20, 2, v2
	v_lshlrev_b32_e32 v5, 2, v15
	v_lshl_or_b32 v3, v2, 7, v20
	v_cmp_gt_u32_e64 s[4:5], v5, v2
	v_lshl_add_u32 v3, v5, 2, v3
	s_waitcnt lgkmcnt(0)
	s_barrier
	s_and_saveexec_b64 s[2:3], s[4:5]
	s_cbranch_execz .LBB135_24
; %bb.23:
	s_movk_i32 s8, 0x210
	v_mad_u32_u24 v4, v15, s8, v20
	ds_read_b32 v4, v4
	s_waitcnt lgkmcnt(0)
	ds_write_b32 v3, v4
.LBB135_24:
	s_or_b64 exec, exec, s[2:3]
	v_or_b32_e32 v23, 1, v5
	v_cmp_ge_u32_e64 s[14:15], v5, v2
	s_and_saveexec_b64 s[2:3], s[14:15]
	s_cbranch_execz .LBB135_26
; %bb.25:
	s_movk_i32 s8, 0x84
	v_mad_u32_u24 v4, v23, s8, v20
	ds_read_b32 v4, v4
	s_waitcnt lgkmcnt(0)
	ds_write_b32 v3, v4 offset:4
.LBB135_26:
	s_or_b64 exec, exec, s[2:3]
	v_or_b32_e32 v4, 2, v5
	v_cmp_gt_u32_e64 s[8:9], v4, v2
	s_and_saveexec_b64 s[2:3], s[8:9]
	s_cbranch_execz .LBB135_28
; %bb.27:
	s_movk_i32 s10, 0x84
	v_mad_u32_u24 v4, v4, s10, v20
	ds_read_b32 v4, v4
	s_waitcnt lgkmcnt(0)
	ds_write_b32 v3, v4 offset:8
.LBB135_28:
	s_or_b64 exec, exec, s[2:3]
	v_or_b32_e32 v12, 3, v5
	v_cmp_gt_u32_e64 s[10:11], v12, v2
	v_cmp_le_u32_e32 vcc, v12, v2
                                        ; implicit-def: $vgpr4
	s_and_saveexec_b64 s[2:3], vcc
	s_xor_b64 s[2:3], exec, s[2:3]
; %bb.29:
	v_mul_u32_u24_e32 v4, 0x84, v12
                                        ; implicit-def: $vgpr12
                                        ; implicit-def: $vgpr3
; %bb.30:
	s_andn2_saveexec_b64 s[2:3], s[2:3]
	s_cbranch_execz .LBB135_32
; %bb.31:
	s_movk_i32 s12, 0x84
	v_mad_u32_u24 v4, v12, s12, v20
	ds_read_b32 v13, v4
	v_mul_u32_u24_e32 v4, 0x84, v12
	s_waitcnt lgkmcnt(0)
	ds_write_b32 v3, v13 offset:12
.LBB135_32:
	s_or_b64 exec, exec, s[2:3]
	s_movk_i32 s2, 0x210
	v_mad_u32_u24 v3, v15, s2, v20
	s_movk_i32 s2, 0x84
	s_waitcnt lgkmcnt(0)
	s_barrier
	v_lshlrev_b32_e32 v25, 2, v5
	ds_read_b32 v3, v3
	ds_read_b128 v[26:29], v25 offset:4544
	v_mad_u32_u24 v12, v23, s2, v20
	ds_read2_b32 v[12:13], v12 offset1:33
	v_add_u32_e32 v22, v20, v4
	ds_read_b32 v4, v22
	s_waitcnt lgkmcnt(2)
	v_fma_f32 v3, v3, v26, 0
	v_mov_b32_e32 v30, 0
	s_waitcnt lgkmcnt(1)
	v_fmac_f32_e32 v3, v12, v27
	v_fmac_f32_e32 v3, v13, v28
	s_waitcnt lgkmcnt(0)
	v_fmac_f32_e32 v3, v4, v29
	v_mul_u32_u24_e32 v4, 33, v2
	v_lshlrev_b32_e32 v17, 2, v4
	v_lshl_add_u32 v21, v15, 2, v17
	v_cmp_gt_u32_e64 s[2:3], 32, v14
	s_barrier
	ds_write_b32 v21, v3
	s_waitcnt lgkmcnt(0)
	s_barrier
	s_and_saveexec_b64 s[12:13], s[2:3]
	s_cbranch_execz .LBB135_34
; %bb.33:
	ds_read2_b32 v[3:4], v17 offset1:1
	ds_read2_b32 v[12:13], v17 offset0:2 offset1:3
	ds_read2_b32 v[26:27], v17 offset0:4 offset1:5
	;; [unrolled: 1-line block ×3, first 2 shown]
	s_waitcnt lgkmcnt(3)
	v_add_f32_e32 v3, v3, v4
	s_waitcnt lgkmcnt(2)
	v_add_f32_e32 v3, v3, v12
	v_add_f32_e32 v3, v3, v13
	s_waitcnt lgkmcnt(1)
	v_add_f32_e32 v3, v3, v26
	;; [unrolled: 3-line block ×3, first 2 shown]
	v_add_f32_e32 v30, v3, v29
.LBB135_34:
	s_or_b64 exec, exec, s[12:13]
	s_lshl_b64 s[12:13], s[22:23], 7
	v_mov_b32_e32 v3, s13
	v_add_co_u32_e32 v10, vcc, s12, v10
	v_addc_co_u32_e32 v11, vcc, v11, v3, vcc
	v_add_co_u32_e32 v3, vcc, 0x80, v10
	v_addc_co_u32_e32 v4, vcc, 0, v11, vcc
	s_lshl_b64 s[30:31], s[22:23], 5
	s_and_b64 vcc, exec, s[34:35]
	s_barrier
	s_cbranch_vccz .LBB135_44
; %bb.35:
	v_sub_co_u32_e32 v13, vcc, v10, v16
	s_ashr_i32 s19, s18, 31
	v_subbrev_co_u32_e32 v26, vcc, 0, v11, vcc
	s_lshl_b64 s[36:37], s[18:19], 2
	v_mov_b32_e32 v27, s37
	v_add_co_u32_e32 v13, vcc, s36, v13
	v_addc_co_u32_e32 v26, vcc, v26, v27, vcc
	v_or_b32_e32 v12, 32, v2
	v_add_co_u32_e32 v27, vcc, -4, v13
	v_addc_co_u32_e32 v13, vcc, -1, v26, vcc
	v_cmp_gt_i32_e64 s[12:13], s18, v12
	s_sub_i32 s19, s18, 32
	v_mov_b32_e32 v24, 0
	v_cndmask_b32_e64 v13, v13, v4, s[12:13]
	v_cndmask_b32_e64 v12, v27, v3, s[12:13]
	v_cmp_gt_i32_e32 vcc, s19, v15
	v_mov_b32_e32 v27, 0
	s_and_saveexec_b64 s[38:39], vcc
	s_cbranch_execz .LBB135_37
; %bb.36:
	flat_load_dword v27, v[12:13]
.LBB135_37:
	s_or_b64 exec, exec, s[38:39]
	s_movk_i32 s38, 0x84
	v_mad_u32_u24 v28, v15, s38, v20
	s_waitcnt vmcnt(0) lgkmcnt(0)
	ds_write_b32 v28, v27
	v_add_u32_e32 v27, 8, v15
	v_mul_u32_u24_e32 v26, 0x84, v15
	v_cmp_gt_i32_e32 vcc, s19, v27
	s_and_saveexec_b64 s[38:39], vcc
	s_cbranch_execz .LBB135_39
; %bb.38:
	v_mov_b32_e32 v24, s31
	v_add_co_u32_e32 v27, vcc, s30, v12
	v_addc_co_u32_e32 v28, vcc, v13, v24, vcc
	flat_load_dword v24, v[27:28]
.LBB135_39:
	s_or_b64 exec, exec, s[38:39]
	v_add_u32_e32 v26, v26, v20
	s_waitcnt vmcnt(0) lgkmcnt(0)
	ds_write_b32 v26, v24 offset:1056
	v_add_u32_e32 v24, 16, v15
	v_cmp_gt_i32_e32 vcc, s19, v24
	v_mov_b32_e32 v24, 0
	v_mov_b32_e32 v27, 0
	s_and_saveexec_b64 s[38:39], vcc
	s_cbranch_execz .LBB135_41
; %bb.40:
	s_lshl_b64 s[42:43], s[22:23], 6
	v_mov_b32_e32 v28, s43
	v_add_co_u32_e32 v27, vcc, s42, v12
	v_addc_co_u32_e32 v28, vcc, v13, v28, vcc
	flat_load_dword v27, v[27:28]
.LBB135_41:
	s_or_b64 exec, exec, s[38:39]
	s_waitcnt vmcnt(0) lgkmcnt(0)
	ds_write_b32 v26, v27 offset:2112
	v_add_u32_e32 v27, 24, v15
	v_cmp_gt_i32_e32 vcc, s19, v27
	s_and_saveexec_b64 s[38:39], vcc
	s_cbranch_execz .LBB135_43
; %bb.42:
	v_mov_b32_e32 v24, 0x60
	v_mad_u64_u32 v[27:28], s[42:43], s22, v24, v[12:13]
	s_mul_i32 s19, s23, 0x60
	v_add_u32_e32 v28, s19, v28
	flat_load_dword v24, v[27:28]
.LBB135_43:
	s_or_b64 exec, exec, s[38:39]
	v_add_co_u32_e32 v12, vcc, v12, v16
	v_addc_co_u32_e32 v13, vcc, 0, v13, vcc
	s_waitcnt vmcnt(0) lgkmcnt(0)
	ds_write_b32 v26, v24 offset:3168
	v_mov_b32_e32 v24, s37
	v_subrev_co_u32_e32 v12, vcc, s36, v12
	v_subb_co_u32_e32 v13, vcc, v13, v24, vcc
	v_add_co_u32_e32 v12, vcc, 0x84, v12
	v_addc_co_u32_e32 v13, vcc, 0, v13, vcc
	v_cndmask_b32_e64 v13, v13, v4, s[12:13]
	v_cndmask_b32_e64 v12, v12, v3, s[12:13]
	v_mul_u32_u24_e32 v24, 0x210, v15
	s_branch .LBB135_46
.LBB135_44:
                                        ; implicit-def: $vgpr12_vgpr13
	v_mul_u32_u24_e32 v24, 0x210, v15
	s_cbranch_execz .LBB135_46
; %bb.45:
	v_mov_b32_e32 v29, s31
	v_add_co_u32_e32 v12, vcc, s30, v10
	v_addc_co_u32_e32 v13, vcc, v11, v29, vcc
	v_add_co_u32_e32 v26, vcc, s30, v12
	v_addc_co_u32_e32 v27, vcc, v13, v29, vcc
	;; [unrolled: 2-line block ×3, first 2 shown]
	flat_load_dword v31, v[10:11] offset:128
	flat_load_dword v32, v[12:13] offset:128
	;; [unrolled: 1-line block ×4, first 2 shown]
	s_movk_i32 s12, 0x84
	v_mov_b32_e32 v13, v4
	v_mad_u32_u24 v10, v15, s12, v20
	v_mov_b32_e32 v12, v3
	s_waitcnt vmcnt(0) lgkmcnt(0)
	ds_write_b32 v10, v31
	ds_write_b32 v10, v32 offset:1056
	ds_write_b32 v10, v33 offset:2112
	;; [unrolled: 1-line block ×3, first 2 shown]
.LBB135_46:
	v_mul_u32_u24_e32 v4, 0x84, v23
	v_add_u32_e32 v23, v20, v24
	v_lshl_add_u32 v3, v5, 2, v17
	s_waitcnt lgkmcnt(0)
	s_barrier
	s_and_saveexec_b64 s[12:13], s[4:5]
	s_cbranch_execz .LBB135_50
; %bb.47:
	ds_read_b32 v10, v23
	s_waitcnt lgkmcnt(0)
	ds_write_b32 v3, v10
	s_or_b64 exec, exec, s[12:13]
	v_add_u32_e32 v24, v20, v4
	s_and_saveexec_b64 s[4:5], s[14:15]
	s_cbranch_execnz .LBB135_51
.LBB135_48:
	s_or_b64 exec, exec, s[4:5]
	s_and_saveexec_b64 s[4:5], s[8:9]
	s_cbranch_execz .LBB135_52
.LBB135_49:
	ds_read_b32 v4, v24 offset:132
	s_waitcnt lgkmcnt(0)
	ds_write_b32 v3, v4 offset:8
	s_or_b64 exec, exec, s[4:5]
	v_add_u32_e32 v25, 0x11c0, v25
	s_and_saveexec_b64 s[4:5], s[10:11]
	s_cbranch_execnz .LBB135_53
	s_branch .LBB135_54
.LBB135_50:
	s_or_b64 exec, exec, s[12:13]
	v_add_u32_e32 v24, v20, v4
	s_and_saveexec_b64 s[4:5], s[14:15]
	s_cbranch_execz .LBB135_48
.LBB135_51:
	ds_read_b32 v4, v24
	s_waitcnt lgkmcnt(0)
	ds_write_b32 v3, v4 offset:4
	s_or_b64 exec, exec, s[4:5]
	s_and_saveexec_b64 s[4:5], s[8:9]
	s_cbranch_execnz .LBB135_49
.LBB135_52:
	s_or_b64 exec, exec, s[4:5]
	v_add_u32_e32 v25, 0x11c0, v25
	s_and_saveexec_b64 s[4:5], s[10:11]
	s_cbranch_execz .LBB135_54
.LBB135_53:
	ds_read_b32 v4, v22
	s_waitcnt lgkmcnt(0)
	ds_write_b32 v3, v4 offset:12
.LBB135_54:
	s_or_b64 exec, exec, s[4:5]
	s_waitcnt lgkmcnt(0)
	s_barrier
	ds_read_b32 v10, v23
	ds_read_b128 v[26:29], v25 offset:128
	ds_read2_b32 v[3:4], v24 offset1:33
	ds_read_b32 v11, v22
	v_cmp_eq_u32_e64 s[4:5], 1, v15
	s_waitcnt lgkmcnt(0)
	v_fma_f32 v10, v10, v26, 0
	v_fmac_f32_e32 v10, v3, v27
	v_fmac_f32_e32 v10, v4, v28
	;; [unrolled: 1-line block ×3, first 2 shown]
	s_barrier
	ds_write_b32 v21, v10
	s_waitcnt lgkmcnt(0)
	s_barrier
	s_and_saveexec_b64 s[8:9], s[4:5]
	s_cbranch_execz .LBB135_56
; %bb.55:
	ds_read2_b32 v[3:4], v17 offset1:1
	ds_read2_b32 v[10:11], v17 offset0:2 offset1:3
	ds_read2_b32 v[26:27], v17 offset0:4 offset1:5
	;; [unrolled: 1-line block ×3, first 2 shown]
	s_waitcnt lgkmcnt(3)
	v_add_f32_e32 v3, v3, v4
	s_waitcnt lgkmcnt(2)
	v_add_f32_e32 v3, v3, v10
	v_add_f32_e32 v3, v3, v11
	s_waitcnt lgkmcnt(1)
	v_add_f32_e32 v3, v3, v26
	v_add_f32_e32 v3, v3, v27
	s_waitcnt lgkmcnt(0)
	v_add_f32_e32 v3, v3, v28
	v_add_f32_e32 v30, v3, v29
.LBB135_56:
	s_or_b64 exec, exec, s[8:9]
	v_add_co_u32_e32 v3, vcc, 0xffffff80, v12
	v_addc_co_u32_e32 v4, vcc, -1, v13, vcc
	s_and_b64 vcc, exec, s[34:35]
	s_barrier
	s_cbranch_vccz .LBB135_66
; %bb.57:
	v_sub_co_u32_e32 v10, vcc, v3, v16
	s_ashr_i32 s19, s18, 31
	v_subbrev_co_u32_e32 v11, vcc, 0, v4, vcc
	s_lshl_b64 s[10:11], s[18:19], 2
	v_mov_b32_e32 v13, s11
	v_add_co_u32_e32 v10, vcc, s10, v10
	v_addc_co_u32_e32 v11, vcc, v11, v13, vcc
	v_add_co_u32_e32 v10, vcc, -4, v10
	v_addc_co_u32_e32 v11, vcc, -1, v11, vcc
	v_cmp_gt_i32_e32 vcc, s18, v2
	s_sub_i32 s14, s18, 32
	v_mov_b32_e32 v12, 0
	v_cndmask_b32_e32 v11, v11, v4, vcc
	v_cndmask_b32_e32 v10, v10, v3, vcc
	v_cmp_gt_i32_e64 s[8:9], s14, v15
	v_mov_b32_e32 v2, 0
	s_and_saveexec_b64 s[12:13], s[8:9]
	s_cbranch_execz .LBB135_59
; %bb.58:
	flat_load_dword v2, v[10:11]
.LBB135_59:
	s_or_b64 exec, exec, s[12:13]
	s_movk_i32 s8, 0x84
	v_mad_u32_u24 v26, v15, s8, v20
	s_waitcnt vmcnt(0) lgkmcnt(0)
	ds_write_b32 v26, v2
	v_add_u32_e32 v2, 8, v15
	v_mul_u32_u24_e32 v13, 0x84, v15
	v_cmp_gt_i32_e64 s[8:9], s14, v2
	s_and_saveexec_b64 s[12:13], s[8:9]
	s_cbranch_execz .LBB135_61
; %bb.60:
	v_mov_b32_e32 v12, s31
	v_add_co_u32_e64 v26, s[8:9], s30, v10
	v_addc_co_u32_e64 v27, s[8:9], v11, v12, s[8:9]
	flat_load_dword v12, v[26:27]
.LBB135_61:
	s_or_b64 exec, exec, s[12:13]
	v_add_u32_e32 v26, v13, v20
	s_waitcnt vmcnt(0) lgkmcnt(0)
	ds_write_b32 v26, v12 offset:1056
	v_add_u32_e32 v12, 16, v15
	v_cmp_gt_i32_e64 s[8:9], s14, v12
	v_mov_b32_e32 v27, 0
	v_mov_b32_e32 v13, 0
	s_and_saveexec_b64 s[12:13], s[8:9]
	s_cbranch_execz .LBB135_63
; %bb.62:
	s_lshl_b64 s[8:9], s[22:23], 6
	v_mov_b32_e32 v13, s9
	v_add_co_u32_e64 v28, s[8:9], s8, v10
	v_addc_co_u32_e64 v29, s[8:9], v11, v13, s[8:9]
	flat_load_dword v13, v[28:29]
.LBB135_63:
	s_or_b64 exec, exec, s[12:13]
	s_waitcnt vmcnt(0) lgkmcnt(0)
	ds_write_b32 v26, v13 offset:2112
	v_add_u32_e32 v13, 24, v15
	v_cmp_gt_i32_e64 s[8:9], s14, v13
	s_and_saveexec_b64 s[12:13], s[8:9]
	s_cbranch_execz .LBB135_65
; %bb.64:
	v_mov_b32_e32 v27, 0x60
	v_mad_u64_u32 v[27:28], s[8:9], s22, v27, v[10:11]
	s_mul_i32 s8, s23, 0x60
	v_add_u32_e32 v28, s8, v28
	flat_load_dword v27, v[27:28]
.LBB135_65:
	s_or_b64 exec, exec, s[12:13]
	v_add_co_u32_e64 v10, s[8:9], v10, v16
	v_addc_co_u32_e64 v11, s[8:9], 0, v11, s[8:9]
	v_mov_b32_e32 v16, s11
	v_subrev_co_u32_e64 v10, s[8:9], s10, v10
	v_subb_co_u32_e64 v11, s[8:9], v11, v16, s[8:9]
	v_add_co_u32_e64 v10, s[8:9], 4, v10
	v_addc_co_u32_e64 v11, s[8:9], 0, v11, s[8:9]
	s_waitcnt vmcnt(0) lgkmcnt(0)
	ds_write_b32 v26, v27 offset:3168
	v_cndmask_b32_e32 v11, v11, v4, vcc
	v_cndmask_b32_e32 v10, v10, v3, vcc
	s_branch .LBB135_68
.LBB135_66:
                                        ; implicit-def: $vgpr10_vgpr11
                                        ; implicit-def: $vgpr2
                                        ; implicit-def: $vgpr12
                                        ; implicit-def: $vgpr13
	s_cbranch_execz .LBB135_68
; %bb.67:
	v_mov_b32_e32 v2, s31
	v_add_co_u32_e32 v10, vcc, s30, v3
	v_addc_co_u32_e32 v11, vcc, v4, v2, vcc
	v_add_co_u32_e32 v12, vcc, s30, v10
	v_addc_co_u32_e32 v13, vcc, v11, v2, vcc
	;; [unrolled: 2-line block ×3, first 2 shown]
	flat_load_dword v16, v[3:4]
	flat_load_dword v28, v[10:11]
	flat_load_dword v29, v[12:13]
	flat_load_dword v31, v[26:27]
	s_movk_i32 s8, 0x84
	v_mad_u32_u24 v10, v15, s8, v20
	v_add_u32_e32 v2, 8, v15
	v_add_u32_e32 v12, 16, v15
	;; [unrolled: 1-line block ×3, first 2 shown]
	s_waitcnt vmcnt(0) lgkmcnt(0)
	ds_write_b32 v10, v16
	ds_write_b32 v10, v28 offset:1056
	ds_write_b32 v10, v29 offset:2112
	;; [unrolled: 1-line block ×3, first 2 shown]
	v_mov_b32_e32 v11, v4
	v_mov_b32_e32 v10, v3
.LBB135_68:
	v_add_u32_e32 v3, v17, v5
	s_waitcnt lgkmcnt(0)
	s_barrier
	ds_read_b32 v20, v3
	ds_read_b32 v26, v5 offset:4544
	v_lshlrev_b32_e32 v2, 2, v2
	v_lshlrev_b32_e32 v4, 2, v12
	;; [unrolled: 1-line block ×3, first 2 shown]
	v_add_u32_e32 v3, v17, v2
	v_add_u32_e32 v5, v17, v4
	;; [unrolled: 1-line block ×3, first 2 shown]
	ds_read_b32 v27, v3
	ds_read_b32 v28, v5
	;; [unrolled: 1-line block ×4, first 2 shown]
	ds_read_b32 v23, v12 offset:4544
	ds_read_b32 v31, v4 offset:4544
	;; [unrolled: 1-line block ×3, first 2 shown]
	ds_read2_b32 v[12:13], v24 offset1:33
	ds_read_b128 v[2:5], v25 offset:128
	ds_read_b32 v16, v22
	s_waitcnt lgkmcnt(10)
	v_fma_f32 v20, v20, v26, 0
	s_waitcnt lgkmcnt(3)
	v_fmac_f32_e32 v20, v27, v32
	v_fmac_f32_e32 v20, v28, v31
	;; [unrolled: 1-line block ×3, first 2 shown]
	s_waitcnt lgkmcnt(0)
	s_barrier
	ds_write_b32 v21, v20
	s_waitcnt lgkmcnt(0)
	s_barrier
	s_and_saveexec_b64 s[8:9], s[4:5]
	s_cbranch_execz .LBB135_70
; %bb.69:
	ds_read2_b32 v[22:23], v17 offset1:1
	ds_read2_b32 v[24:25], v17 offset0:2 offset1:3
	ds_read2_b32 v[26:27], v17 offset0:4 offset1:5
	;; [unrolled: 1-line block ×3, first 2 shown]
	s_waitcnt lgkmcnt(3)
	v_add_f32_e32 v20, v30, v22
	v_add_f32_e32 v20, v20, v23
	s_waitcnt lgkmcnt(2)
	v_add_f32_e32 v20, v20, v24
	v_add_f32_e32 v20, v20, v25
	;; [unrolled: 3-line block ×4, first 2 shown]
.LBB135_70:
	s_or_b64 exec, exec, s[8:9]
	v_fma_f32 v2, v15, v2, 0
	v_fmac_f32_e32 v2, v12, v3
	v_fmac_f32_e32 v2, v13, v4
	;; [unrolled: 1-line block ×3, first 2 shown]
	s_barrier
	ds_write_b32 v21, v2
	s_waitcnt lgkmcnt(0)
	s_barrier
	s_and_saveexec_b64 s[4:5], s[2:3]
	s_cbranch_execz .LBB135_72
; %bb.71:
	ds_read2_b32 v[2:3], v17 offset1:1
	ds_read2_b32 v[4:5], v17 offset0:2 offset1:3
	ds_read2_b32 v[12:13], v17 offset0:4 offset1:5
	;; [unrolled: 1-line block ×3, first 2 shown]
	s_waitcnt lgkmcnt(3)
	v_add_f32_e32 v2, v30, v2
	v_add_f32_e32 v2, v2, v3
	s_waitcnt lgkmcnt(2)
	v_add_f32_e32 v2, v2, v4
	v_add_f32_e32 v2, v2, v5
	;; [unrolled: 3-line block ×4, first 2 shown]
.LBB135_72:
	s_or_b64 exec, exec, s[4:5]
	s_mul_hi_u32 s2, s33, s26
	s_mul_i32 s40, s40, s26
	s_add_i32 s2, s2, s40
	s_mul_i32 s4, s33, s26
	s_mul_i32 s2, s2, s7
	s_mul_hi_u32 s3, s4, s7
	s_add_i32 s3, s3, s2
	s_mul_i32 s2, s4, s7
	s_lshl_b64 s[2:3], s[2:3], 2
	s_add_u32 s4, s28, s2
	s_addc_u32 s5, s29, s3
	s_mul_hi_i32 s3, s33, s6
	s_mul_i32 s2, s33, s6
	s_lshl_b64 s[2:3], s[2:3], 2
	s_add_u32 s14, s4, s2
	s_addc_u32 s15, s5, s3
	s_add_i32 s2, s6, 1
	s_cmp_ge_u32 s2, s7
	v_lshlrev_b32_e32 v31, 2, v0
	s_barrier
	s_cbranch_scc1 .LBB135_129
; %bb.73:
	v_lshlrev_b32_e32 v12, 4, v1
	s_mul_i32 s2, s16, s25
	s_mul_hi_u32 s3, s16, s24
	v_add_u32_e32 v5, 0x88, v12
	s_add_i32 s2, s3, s2
	s_mul_i32 s3, s17, s24
	v_mad_u64_u32 v[2:3], s[4:5], s22, v5, 0
	s_add_i32 s3, s2, s3
	s_mul_i32 s2, s16, s24
	s_lshl_b64 s[2:3], s[2:3], 2
	v_mov_b32_e32 v4, s3
	v_subrev_co_u32_e32 v32, vcc, s2, v8
	v_subb_co_u32_e32 v33, vcc, v9, v4, vcc
	v_mad_u64_u32 v[3:4], s[2:3], s23, v5, v[3:4]
	v_add_u32_e32 v8, 0x8c, v12
	v_mad_u64_u32 v[4:5], s[2:3], s22, v8, 0
	v_sub_co_u32_e32 v13, vcc, v2, v6
	v_mov_b32_e32 v2, v5
	v_subb_co_u32_e32 v15, vcc, v3, v7, vcc
	v_mad_u64_u32 v[2:3], s[2:3], s23, v8, v[2:3]
	v_add_u32_e32 v3, 0x84, v12
	v_mad_u64_u32 v[8:9], s[2:3], s22, v3, 0
	v_sub_co_u32_e32 v16, vcc, v4, v6
	v_subb_co_u32_e32 v17, vcc, v2, v7, vcc
	v_mov_b32_e32 v2, v9
	v_mad_u64_u32 v[2:3], s[2:3], s23, v3, v[2:3]
	v_add_u32_e32 v5, 0xc8, v12
	v_mad_u64_u32 v[3:4], s[2:3], s22, v5, 0
	v_sub_co_u32_e32 v20, vcc, v8, v6
	v_subb_co_u32_e32 v21, vcc, v2, v7, vcc
	v_mov_b32_e32 v2, v4
	v_mad_u64_u32 v[4:5], s[2:3], s23, v5, v[2:3]
	v_add_u32_e32 v5, 0xcc, v12
	v_mad_u64_u32 v[8:9], s[2:3], s22, v5, 0
	v_sub_co_u32_e32 v22, vcc, v3, v6
	v_mov_b32_e32 v2, v9
	v_mad_u64_u32 v[2:3], s[2:3], s23, v5, v[2:3]
	v_add_u32_e32 v5, 0xc4, v12
	v_subb_co_u32_e32 v23, vcc, v4, v7, vcc
	v_mad_u64_u32 v[3:4], s[2:3], s22, v5, 0
	v_sub_co_u32_e32 v24, vcc, v8, v6
	v_subb_co_u32_e32 v25, vcc, v2, v7, vcc
	v_mov_b32_e32 v2, v4
	v_mad_u64_u32 v[4:5], s[2:3], s23, v5, v[2:3]
	v_add_u32_e32 v5, 0xc0, v12
	v_mad_u64_u32 v[8:9], s[2:3], s22, v5, 0
	v_sub_co_u32_e32 v26, vcc, v3, v6
	v_mov_b32_e32 v2, v9
	v_mad_u64_u32 v[2:3], s[2:3], s23, v5, v[2:3]
	v_add_u32_e32 v5, 0x108, v12
	v_subb_co_u32_e32 v27, vcc, v4, v7, vcc
	;; [unrolled: 12-line block ×5, first 2 shown]
	v_mad_u64_u32 v[3:4], s[2:3], s22, v5, 0
	v_sub_co_u32_e32 v61, vcc, v8, v6
	v_subb_co_u32_e32 v62, vcc, v2, v7, vcc
	v_mov_b32_e32 v2, v4
	v_mad_u64_u32 v[4:5], s[2:3], s23, v5, v[2:3]
	v_add_u32_e32 v5, 0x140, v12
	v_mad_u64_u32 v[8:9], s[2:3], s22, v5, 0
	v_sub_co_u32_e32 v63, vcc, v3, v6
	v_mov_b32_e32 v2, v9
	v_mad_u64_u32 v[2:3], s[2:3], s23, v5, v[2:3]
	v_subb_co_u32_e32 v64, vcc, v4, v7, vcc
	v_sub_co_u32_e32 v5, vcc, v8, v6
	v_lshlrev_b32_e32 v34, 2, v1
	v_subb_co_u32_e32 v8, vcc, v2, v7, vcc
	v_mad_u64_u32 v[2:3], s[4:5], s22, v34, 0
	s_lshl_b64 s[2:3], s[30:31], 2
	v_mov_b32_e32 v4, s3
	v_add_co_u32_e32 v9, vcc, s2, v10
	v_addc_co_u32_e32 v35, vcc, v11, v4, vcc
	v_mad_u64_u32 v[3:4], s[2:3], s23, v34, v[3:4]
	v_sub_co_u32_e32 v4, vcc, v9, v6
	v_lshlrev_b64 v[2:3], 2, v[2:3]
	v_subb_co_u32_e32 v6, vcc, v35, v7, vcc
	v_add_co_u32_e32 v35, vcc, v4, v2
	v_addc_co_u32_e32 v36, vcc, v6, v3, vcc
	v_add_co_u32_e32 v37, vcc, v10, v13
	v_addc_co_u32_e32 v38, vcc, v11, v15, vcc
	;; [unrolled: 2-line block ×13, first 2 shown]
	v_lshrrev_b32_e32 v2, 2, v14
	v_add_co_u32_e32 v61, vcc, v10, v61
	s_movk_i32 s2, 0x10c
	v_and_b32_e32 v2, 0x1ffc, v2
	v_and_b32_e32 v3, 15, v0
	v_addc_co_u32_e32 v62, vcc, v11, v62, vcc
	v_mad_u32_u24 v67, v3, s2, v2
	v_and_b32_e32 v2, 48, v0
	v_add_co_u32_e32 v63, vcc, v10, v63
	v_lshlrev_b32_e32 v2, 2, v2
	v_addc_co_u32_e32 v64, vcc, v11, v64, vcc
	v_mad_u32_u24 v68, v3, s2, v2
	v_or_b32_e32 v2, 60, v31
	v_add_co_u32_e32 v65, vcc, v10, v5
	v_mad_u32_u24 v69, v3, s2, v2
	v_mul_u32_u24_e32 v2, 0x10c, v3
	v_and_b32_e32 v3, 0x7ff0, v14
	s_movk_i32 s4, 0x430
	v_addc_co_u32_e32 v66, vcc, v11, v8, vcc
	v_cmp_gt_u32_e64 s[2:3], 64, v14
	v_add_u32_e32 v70, v2, v3
	s_add_i32 s19, s7, -2
	v_add_u32_e32 v71, 0x10c0, v12
	s_add_i32 s24, s24, 64
	s_lshl_b64 s[8:9], s[22:23], 8
	v_add_u32_e32 v72, 0x10c0, v31
	v_add_u32_e32 v73, 0x11c0, v31
	v_mad_u32_u24 v74, v1, s4, v31
	v_or_b32_e32 v75, 1, v34
	v_or_b32_e32 v76, 2, v34
	v_or_b32_e32 v77, 3, v34
	v_add_u32_e32 v78, 16, v34
	v_add_u32_e32 v79, 17, v34
	;; [unrolled: 1-line block ×12, first 2 shown]
	s_cmp_eq_u32 s19, s6
	s_cselect_b32 s22, s27, 0
	s_and_saveexec_b64 s[4:5], s[0:1]
	s_cbranch_execz .LBB135_78
	s_branch .LBB135_75
.LBB135_74:                             ;   in Loop: Header=BB135_78 Depth=1
	s_mov_b32 s6, s4
	s_cmp_eq_u32 s19, s6
	s_cselect_b32 s22, s27, 0
	s_and_saveexec_b64 s[4:5], s[0:1]
	s_cbranch_execz .LBB135_78
.LBB135_75:
	s_cmp_eq_u32 s22, 0
	s_cselect_b64 s[10:11], -1, 0
	v_cmp_gt_i32_e32 vcc, s22, v0
	s_or_b64 s[12:13], s[10:11], vcc
	v_mov_b32_e32 v2, 0
	s_and_saveexec_b64 s[10:11], s[12:13]
	s_cbranch_execz .LBB135_77
; %bb.76:
	s_ashr_i32 s12, s24, 31
	s_mul_hi_u32 s13, s16, s24
	s_mul_i32 s12, s16, s12
	s_add_i32 s12, s13, s12
	s_mul_i32 s13, s17, s24
	s_add_i32 s13, s12, s13
	s_mul_i32 s12, s16, s24
	s_lshl_b64 s[12:13], s[12:13], 2
	v_mov_b32_e32 v3, s13
	v_add_co_u32_e32 v2, vcc, s12, v32
	v_addc_co_u32_e32 v3, vcc, v33, v3, vcc
	flat_load_dword v2, v[2:3]
.LBB135_77:
	s_or_b64 exec, exec, s[10:11]
	s_waitcnt vmcnt(0) lgkmcnt(0)
	ds_write_b32 v72, v2
.LBB135_78:                             ; =>This Inner Loop Header: Depth=1
	s_or_b64 exec, exec, s[4:5]
	s_cmp_eq_u32 s22, 0
	v_add_co_u32_e32 v2, vcc, v35, v31
	s_cselect_b64 s[10:11], -1, 0
	s_cmp_lg_u32 s22, 0
	v_addc_co_u32_e32 v3, vcc, 0, v36, vcc
	s_cselect_b64 s[12:13], -1, 0
	s_mov_b64 s[4:5], -1
	s_and_b64 vcc, exec, s[12:13]
	s_waitcnt lgkmcnt(0)
	s_barrier
                                        ; implicit-def: $vgpr93
                                        ; implicit-def: $vgpr92
                                        ; implicit-def: $vgpr91
                                        ; implicit-def: $vgpr90
	s_cbranch_vccz .LBB135_88
; %bb.79:                               ;   in Loop: Header=BB135_78 Depth=1
	v_cmp_gt_i32_e32 vcc, s22, v34
	v_mov_b32_e32 v91, 0
	v_mov_b32_e32 v90, 0
	s_and_saveexec_b64 s[4:5], vcc
	s_cbranch_execz .LBB135_81
; %bb.80:                               ;   in Loop: Header=BB135_78 Depth=1
	flat_load_dword v90, v[2:3]
.LBB135_81:                             ;   in Loop: Header=BB135_78 Depth=1
	s_or_b64 exec, exec, s[4:5]
	v_cmp_gt_i32_e32 vcc, s22, v75
	s_and_saveexec_b64 s[4:5], vcc
	s_cbranch_execz .LBB135_83
; %bb.82:                               ;   in Loop: Header=BB135_78 Depth=1
	v_add_co_u32_e32 v4, vcc, v41, v31
	v_addc_co_u32_e32 v5, vcc, 0, v42, vcc
	flat_load_dword v91, v[4:5]
.LBB135_83:                             ;   in Loop: Header=BB135_78 Depth=1
	s_or_b64 exec, exec, s[4:5]
	v_cmp_gt_i32_e32 vcc, s22, v76
	v_mov_b32_e32 v93, 0
	v_mov_b32_e32 v92, 0
	s_and_saveexec_b64 s[4:5], vcc
	s_cbranch_execz .LBB135_85
; %bb.84:                               ;   in Loop: Header=BB135_78 Depth=1
	v_add_co_u32_e32 v4, vcc, v37, v31
	v_addc_co_u32_e32 v5, vcc, 0, v38, vcc
	flat_load_dword v92, v[4:5]
.LBB135_85:                             ;   in Loop: Header=BB135_78 Depth=1
	s_or_b64 exec, exec, s[4:5]
	v_cmp_gt_i32_e32 vcc, s22, v77
	s_and_saveexec_b64 s[4:5], vcc
	s_cbranch_execz .LBB135_87
; %bb.86:                               ;   in Loop: Header=BB135_78 Depth=1
	v_add_co_u32_e32 v4, vcc, v39, v31
	v_addc_co_u32_e32 v5, vcc, 0, v40, vcc
	flat_load_dword v93, v[4:5]
.LBB135_87:                             ;   in Loop: Header=BB135_78 Depth=1
	s_or_b64 exec, exec, s[4:5]
	s_mov_b64 s[4:5], 0
.LBB135_88:                             ;   in Loop: Header=BB135_78 Depth=1
	s_and_b64 vcc, exec, s[4:5]
	s_cbranch_vccz .LBB135_90
; %bb.89:                               ;   in Loop: Header=BB135_78 Depth=1
	s_waitcnt vmcnt(0) lgkmcnt(0)
	flat_load_dword v90, v[2:3]
	v_add_co_u32_e32 v2, vcc, v41, v31
	v_addc_co_u32_e32 v3, vcc, 0, v42, vcc
	flat_load_dword v91, v[2:3]
	v_add_co_u32_e32 v2, vcc, v37, v31
	v_addc_co_u32_e32 v3, vcc, 0, v38, vcc
	flat_load_dword v92, v[2:3]
	v_add_co_u32_e32 v2, vcc, v39, v31
	v_addc_co_u32_e32 v3, vcc, 0, v40, vcc
	flat_load_dword v93, v[2:3]
.LBB135_90:                             ;   in Loop: Header=BB135_78 Depth=1
	ds_read_b32 v6, v73
	ds_read_b128 v[2:5], v71
                                        ; implicit-def: $vgpr97
                                        ; implicit-def: $vgpr96
                                        ; implicit-def: $vgpr95
                                        ; implicit-def: $vgpr94
	s_waitcnt vmcnt(0) lgkmcnt(0)
	v_mul_f32_e32 v7, v90, v6
	v_mul_f32_e32 v8, v91, v6
	;; [unrolled: 1-line block ×4, first 2 shown]
	ds_write2_b32 v74, v7, v8 offset1:67
	ds_write2_b32 v74, v9, v6 offset0:134 offset1:201
	s_waitcnt lgkmcnt(0)
	s_barrier
	ds_read2_b32 v[22:23], v70 offset1:1
	ds_read2_b32 v[20:21], v70 offset0:2 offset1:3
	v_add_co_u32_e32 v6, vcc, v49, v31
	v_addc_co_u32_e32 v7, vcc, 0, v50, vcc
	v_cndmask_b32_e64 v8, 0, 1, s[12:13]
	v_cmp_ne_u32_e64 s[4:5], 1, v8
	s_andn2_b64 vcc, exec, s[12:13]
	s_mov_b64 s[12:13], -1
	s_waitcnt lgkmcnt(0)
	s_barrier
	s_cbranch_vccnz .LBB135_100
; %bb.91:                               ;   in Loop: Header=BB135_78 Depth=1
	v_cmp_gt_i32_e32 vcc, s22, v78
	v_mov_b32_e32 v95, 0
	v_mov_b32_e32 v94, 0
	s_and_saveexec_b64 s[12:13], vcc
	s_cbranch_execz .LBB135_93
; %bb.92:                               ;   in Loop: Header=BB135_78 Depth=1
	flat_load_dword v94, v[6:7]
.LBB135_93:                             ;   in Loop: Header=BB135_78 Depth=1
	s_or_b64 exec, exec, s[12:13]
	v_cmp_gt_i32_e32 vcc, s22, v79
	s_and_saveexec_b64 s[12:13], vcc
	s_cbranch_execz .LBB135_95
; %bb.94:                               ;   in Loop: Header=BB135_78 Depth=1
	v_add_co_u32_e32 v8, vcc, v47, v31
	v_addc_co_u32_e32 v9, vcc, 0, v48, vcc
	flat_load_dword v95, v[8:9]
.LBB135_95:                             ;   in Loop: Header=BB135_78 Depth=1
	s_or_b64 exec, exec, s[12:13]
	v_cmp_gt_i32_e32 vcc, s22, v80
	v_mov_b32_e32 v97, 0
	v_mov_b32_e32 v96, 0
	s_and_saveexec_b64 s[12:13], vcc
	s_cbranch_execz .LBB135_97
; %bb.96:                               ;   in Loop: Header=BB135_78 Depth=1
	v_add_co_u32_e32 v8, vcc, v43, v31
	v_addc_co_u32_e32 v9, vcc, 0, v44, vcc
	flat_load_dword v96, v[8:9]
.LBB135_97:                             ;   in Loop: Header=BB135_78 Depth=1
	s_or_b64 exec, exec, s[12:13]
	v_cmp_gt_i32_e32 vcc, s22, v81
	s_and_saveexec_b64 s[12:13], vcc
	s_cbranch_execz .LBB135_99
; %bb.98:                               ;   in Loop: Header=BB135_78 Depth=1
	v_add_co_u32_e32 v8, vcc, v45, v31
	v_addc_co_u32_e32 v9, vcc, 0, v46, vcc
	flat_load_dword v97, v[8:9]
.LBB135_99:                             ;   in Loop: Header=BB135_78 Depth=1
	s_or_b64 exec, exec, s[12:13]
	s_mov_b64 s[12:13], 0
.LBB135_100:                            ;   in Loop: Header=BB135_78 Depth=1
	s_and_b64 vcc, exec, s[12:13]
	s_cbranch_vccz .LBB135_102
; %bb.101:                              ;   in Loop: Header=BB135_78 Depth=1
	s_waitcnt vmcnt(0) lgkmcnt(0)
	flat_load_dword v94, v[6:7]
	v_add_co_u32_e32 v6, vcc, v47, v31
	v_addc_co_u32_e32 v7, vcc, 0, v48, vcc
	flat_load_dword v95, v[6:7]
	v_add_co_u32_e32 v6, vcc, v43, v31
	v_addc_co_u32_e32 v7, vcc, 0, v44, vcc
	;; [unrolled: 3-line block ×3, first 2 shown]
	flat_load_dword v97, v[6:7]
.LBB135_102:                            ;   in Loop: Header=BB135_78 Depth=1
	ds_read_b32 v10, v73
	ds_read_b128 v[6:9], v71 offset:64
	s_mov_b64 s[12:13], -1
                                        ; implicit-def: $vgpr101
                                        ; implicit-def: $vgpr100
                                        ; implicit-def: $vgpr99
                                        ; implicit-def: $vgpr98
	s_waitcnt vmcnt(0) lgkmcnt(0)
	v_mul_f32_e32 v11, v94, v10
	v_mul_f32_e32 v12, v95, v10
	;; [unrolled: 1-line block ×4, first 2 shown]
	ds_write2_b32 v74, v11, v12 offset1:67
	ds_write2_b32 v74, v13, v10 offset0:134 offset1:201
	s_waitcnt lgkmcnt(0)
	s_barrier
	ds_read2_b32 v[16:17], v70 offset1:1
	ds_read2_b32 v[14:15], v70 offset0:2 offset1:3
	v_add_co_u32_e32 v10, vcc, v57, v31
	v_addc_co_u32_e32 v11, vcc, 0, v58, vcc
	s_and_b64 vcc, exec, s[4:5]
	s_waitcnt lgkmcnt(0)
	s_barrier
	s_cbranch_vccnz .LBB135_112
; %bb.103:                              ;   in Loop: Header=BB135_78 Depth=1
	v_cmp_gt_i32_e32 vcc, s22, v82
	v_mov_b32_e32 v99, 0
	v_mov_b32_e32 v98, 0
	s_and_saveexec_b64 s[12:13], vcc
	s_cbranch_execz .LBB135_105
; %bb.104:                              ;   in Loop: Header=BB135_78 Depth=1
	flat_load_dword v98, v[10:11]
.LBB135_105:                            ;   in Loop: Header=BB135_78 Depth=1
	s_or_b64 exec, exec, s[12:13]
	v_cmp_gt_i32_e32 vcc, s22, v83
	s_and_saveexec_b64 s[12:13], vcc
	s_cbranch_execz .LBB135_107
; %bb.106:                              ;   in Loop: Header=BB135_78 Depth=1
	v_add_co_u32_e32 v12, vcc, v55, v31
	v_addc_co_u32_e32 v13, vcc, 0, v56, vcc
	flat_load_dword v99, v[12:13]
.LBB135_107:                            ;   in Loop: Header=BB135_78 Depth=1
	s_or_b64 exec, exec, s[12:13]
	v_cmp_gt_i32_e32 vcc, s22, v84
	v_mov_b32_e32 v101, 0
	v_mov_b32_e32 v100, 0
	s_and_saveexec_b64 s[12:13], vcc
	s_cbranch_execz .LBB135_109
; %bb.108:                              ;   in Loop: Header=BB135_78 Depth=1
	v_add_co_u32_e32 v12, vcc, v51, v31
	v_addc_co_u32_e32 v13, vcc, 0, v52, vcc
	flat_load_dword v100, v[12:13]
.LBB135_109:                            ;   in Loop: Header=BB135_78 Depth=1
	s_or_b64 exec, exec, s[12:13]
	v_cmp_gt_i32_e32 vcc, s22, v85
	s_and_saveexec_b64 s[12:13], vcc
	s_cbranch_execz .LBB135_111
; %bb.110:                              ;   in Loop: Header=BB135_78 Depth=1
	v_add_co_u32_e32 v12, vcc, v53, v31
	v_addc_co_u32_e32 v13, vcc, 0, v54, vcc
	flat_load_dword v101, v[12:13]
.LBB135_111:                            ;   in Loop: Header=BB135_78 Depth=1
	s_or_b64 exec, exec, s[12:13]
	s_mov_b64 s[12:13], 0
.LBB135_112:                            ;   in Loop: Header=BB135_78 Depth=1
	s_and_b64 vcc, exec, s[12:13]
	s_cbranch_vccz .LBB135_114
; %bb.113:                              ;   in Loop: Header=BB135_78 Depth=1
	s_waitcnt vmcnt(0) lgkmcnt(0)
	flat_load_dword v98, v[10:11]
	v_add_co_u32_e32 v10, vcc, v55, v31
	v_addc_co_u32_e32 v11, vcc, 0, v56, vcc
	flat_load_dword v99, v[10:11]
	v_add_co_u32_e32 v10, vcc, v51, v31
	v_addc_co_u32_e32 v11, vcc, 0, v52, vcc
	;; [unrolled: 3-line block ×3, first 2 shown]
	flat_load_dword v101, v[10:11]
.LBB135_114:                            ;   in Loop: Header=BB135_78 Depth=1
	ds_read_b32 v24, v73
	ds_read_b128 v[10:13], v71 offset:128
	v_add_co_u32_e32 v28, vcc, v65, v31
	v_addc_co_u32_e32 v29, vcc, 0, v66, vcc
	s_waitcnt vmcnt(0) lgkmcnt(0)
	v_mul_f32_e32 v25, v98, v24
	v_mul_f32_e32 v26, v99, v24
	v_mul_f32_e32 v27, v100, v24
	v_mul_f32_e32 v24, v101, v24
	ds_write2_b32 v74, v25, v26 offset1:67
	ds_write2_b32 v74, v27, v24 offset0:134 offset1:201
	s_waitcnt lgkmcnt(0)
	s_barrier
	ds_read2_b32 v[26:27], v70 offset1:1
	ds_read2_b32 v[24:25], v70 offset0:2 offset1:3
	s_and_b64 vcc, exec, s[4:5]
	s_mov_b64 s[4:5], -1
	s_waitcnt lgkmcnt(0)
	s_barrier
                                        ; implicit-def: $vgpr105
                                        ; implicit-def: $vgpr104
                                        ; implicit-def: $vgpr103
                                        ; implicit-def: $vgpr102
	s_cbranch_vccnz .LBB135_124
; %bb.115:                              ;   in Loop: Header=BB135_78 Depth=1
	v_cmp_gt_i32_e32 vcc, s22, v86
	v_mov_b32_e32 v103, 0
	v_mov_b32_e32 v102, 0
	s_and_saveexec_b64 s[4:5], vcc
	s_cbranch_execz .LBB135_117
; %bb.116:                              ;   in Loop: Header=BB135_78 Depth=1
	flat_load_dword v102, v[28:29]
.LBB135_117:                            ;   in Loop: Header=BB135_78 Depth=1
	s_or_b64 exec, exec, s[4:5]
	v_cmp_gt_i32_e32 vcc, s22, v87
	s_and_saveexec_b64 s[4:5], vcc
	s_cbranch_execz .LBB135_119
; %bb.118:                              ;   in Loop: Header=BB135_78 Depth=1
	v_add_co_u32_e32 v103, vcc, v63, v31
	v_addc_co_u32_e32 v104, vcc, 0, v64, vcc
	flat_load_dword v103, v[103:104]
.LBB135_119:                            ;   in Loop: Header=BB135_78 Depth=1
	s_or_b64 exec, exec, s[4:5]
	v_cmp_gt_i32_e32 vcc, s22, v88
	v_mov_b32_e32 v105, 0
	v_mov_b32_e32 v104, 0
	s_and_saveexec_b64 s[4:5], vcc
	s_cbranch_execz .LBB135_121
; %bb.120:                              ;   in Loop: Header=BB135_78 Depth=1
	v_add_co_u32_e32 v106, vcc, v59, v31
	v_addc_co_u32_e32 v107, vcc, 0, v60, vcc
	flat_load_dword v104, v[106:107]
.LBB135_121:                            ;   in Loop: Header=BB135_78 Depth=1
	s_or_b64 exec, exec, s[4:5]
	v_cmp_gt_i32_e32 vcc, s22, v89
	s_and_saveexec_b64 s[4:5], vcc
	s_cbranch_execz .LBB135_123
; %bb.122:                              ;   in Loop: Header=BB135_78 Depth=1
	v_add_co_u32_e32 v105, vcc, v61, v31
	v_addc_co_u32_e32 v106, vcc, 0, v62, vcc
	flat_load_dword v105, v[105:106]
.LBB135_123:                            ;   in Loop: Header=BB135_78 Depth=1
	s_or_b64 exec, exec, s[4:5]
	s_mov_b64 s[4:5], 0
.LBB135_124:                            ;   in Loop: Header=BB135_78 Depth=1
	s_and_b64 vcc, exec, s[4:5]
	s_cbranch_vccz .LBB135_126
; %bb.125:                              ;   in Loop: Header=BB135_78 Depth=1
	s_waitcnt vmcnt(0) lgkmcnt(0)
	flat_load_dword v102, v[28:29]
	v_add_co_u32_e32 v28, vcc, v63, v31
	v_addc_co_u32_e32 v29, vcc, 0, v64, vcc
	flat_load_dword v103, v[28:29]
	v_add_co_u32_e32 v28, vcc, v59, v31
	v_addc_co_u32_e32 v29, vcc, 0, v60, vcc
	;; [unrolled: 3-line block ×3, first 2 shown]
	flat_load_dword v105, v[28:29]
.LBB135_126:                            ;   in Loop: Header=BB135_78 Depth=1
	v_add_f32_e32 v26, 0, v26
	v_add_f32_e32 v26, v26, v27
	;; [unrolled: 1-line block ×4, first 2 shown]
	ds_read_b32 v24, v73
	v_add_f32_e32 v16, 0, v16
	v_add_f32_e32 v16, v16, v17
	v_add_f32_e32 v14, v16, v14
	v_add_f32_e32 v27, v14, v15
	ds_read_b128 v[14:17], v71 offset:192
	s_waitcnt vmcnt(0) lgkmcnt(0)
	v_mul_f32_e32 v25, v102, v24
	v_mul_f32_e32 v28, v103, v24
	ds_write2_b32 v74, v25, v28 offset1:67
	v_mul_f32_e32 v25, v104, v24
	v_mul_f32_e32 v24, v105, v24
	ds_write2_b32 v74, v25, v24 offset0:134 offset1:201
	s_waitcnt lgkmcnt(0)
	s_barrier
	ds_read2_b32 v[24:25], v70 offset1:1
	v_add_f32_e32 v22, 0, v22
	v_add_f32_e32 v28, v22, v23
	ds_read2_b32 v[22:23], v70 offset0:2 offset1:3
	v_add_f32_e32 v20, v28, v20
	v_add_f32_e32 v20, v20, v21
	s_waitcnt lgkmcnt(1)
	v_add_f32_e32 v21, 0, v24
	v_cmp_gt_i32_e32 vcc, s22, v0
	v_add_f32_e32 v21, v21, v25
	s_or_b64 s[4:5], s[10:11], vcc
	s_waitcnt lgkmcnt(0)
	v_add_f32_e32 v21, v21, v22
	s_and_b64 s[10:11], s[2:3], s[4:5]
	v_add_f32_e32 v21, v21, v23
	s_barrier
	ds_write2_b32 v67, v20, v27 offset1:16
	ds_write2_b32 v67, v26, v21 offset0:32 offset1:48
	s_waitcnt lgkmcnt(0)
	s_barrier
	s_and_saveexec_b64 s[4:5], s[10:11]
	s_cbranch_execz .LBB135_128
; %bb.127:                              ;   in Loop: Header=BB135_78 Depth=1
	ds_read2_b32 v[20:21], v68 offset1:1
	ds_read2_b32 v[22:23], v68 offset0:2 offset1:3
	ds_read2_b32 v[24:25], v68 offset0:4 offset1:5
	;; [unrolled: 1-line block ×4, first 2 shown]
	s_waitcnt lgkmcnt(4)
	v_add_f32_e32 v20, v20, v21
	s_waitcnt lgkmcnt(3)
	v_add_f32_e32 v20, v20, v22
	v_add_f32_e32 v20, v20, v23
	s_waitcnt lgkmcnt(2)
	v_add_f32_e32 v20, v20, v24
	;; [unrolled: 3-line block ×3, first 2 shown]
	v_add_f32_e32 v24, v20, v27
	ds_read2_b32 v[20:21], v68 offset0:10 offset1:11
	ds_read2_b32 v[22:23], v68 offset0:12 offset1:13
	ds_read_b32 v25, v68 offset:56
	s_waitcnt lgkmcnt(3)
	v_add_f32_e32 v24, v24, v28
	v_add_f32_e32 v24, v24, v29
	s_waitcnt lgkmcnt(2)
	v_add_f32_e32 v20, v24, v20
	ds_read_b32 v24, v69
	v_add_f32_e32 v20, v20, v21
	s_waitcnt lgkmcnt(2)
	v_add_f32_e32 v20, v20, v22
	v_add_f32_e32 v20, v20, v23
	s_waitcnt lgkmcnt(1)
	v_add_f32_e32 v20, v20, v25
	s_waitcnt lgkmcnt(0)
	v_add_f32_e32 v22, v20, v24
	v_add_u32_e32 v20, s24, v0
	v_ashrrev_i32_e32 v21, 31, v20
	v_lshlrev_b64 v[20:21], 2, v[20:21]
	v_mov_b32_e32 v23, s15
	v_add_co_u32_e32 v20, vcc, s14, v20
	v_addc_co_u32_e32 v21, vcc, v23, v21, vcc
	global_store_dword v[20:21], v22, off
.LBB135_128:                            ;   in Loop: Header=BB135_78 Depth=1
	s_or_b64 exec, exec, s[4:5]
	v_fmac_f32_e32 v30, v90, v2
	v_mov_b32_e32 v2, s9
	v_add_co_u32_e32 v37, vcc, s8, v37
	v_addc_co_u32_e32 v38, vcc, v38, v2, vcc
	v_add_co_u32_e32 v39, vcc, s8, v39
	v_addc_co_u32_e32 v40, vcc, v40, v2, vcc
	;; [unrolled: 2-line block ×8, first 2 shown]
	v_add_co_u32_e32 v51, vcc, s8, v51
	v_fmac_f32_e32 v30, v91, v3
	v_addc_co_u32_e32 v52, vcc, v52, v2, vcc
	v_fmac_f32_e32 v30, v92, v4
	v_add_co_u32_e32 v53, vcc, s8, v53
	v_fmac_f32_e32 v30, v93, v5
	v_addc_co_u32_e32 v54, vcc, v54, v2, vcc
	v_fmac_f32_e32 v30, v94, v6
	;; [unrolled: 4-line block ×7, first 2 shown]
	s_add_i32 s4, s6, 1
	s_add_i32 s24, s24, 64
	;; [unrolled: 1-line block ×3, first 2 shown]
	v_add_co_u32_e32 v65, vcc, s8, v65
	v_fmac_f32_e32 v30, v105, v17
	s_cmp_ge_u32 s5, s7
	v_addc_co_u32_e32 v66, vcc, v66, v2, vcc
	s_waitcnt vmcnt(0)
	s_barrier
	s_cbranch_scc0 .LBB135_74
.LBB135_129:
	s_movk_i32 s2, 0x10c
	v_cmp_gt_i32_e32 vcc, s18, v0
	v_mad_u32_u24 v1, v1, s2, v31
	s_or_b64 s[2:3], s[20:21], vcc
	s_and_b64 s[0:1], s[0:1], s[2:3]
	ds_write_b32 v1, v30
	s_waitcnt lgkmcnt(0)
	s_barrier
	s_and_saveexec_b64 s[2:3], s[0:1]
	s_cbranch_execz .LBB135_4
; %bb.130:
	ds_read2_b32 v[0:1], v31 offset1:67
	ds_read2_b32 v[2:3], v31 offset0:134 offset1:201
	v_lshlrev_b64 v[4:5], 2, v[18:19]
	v_mov_b32_e32 v6, s15
	s_waitcnt lgkmcnt(1)
	v_add_f32_e32 v0, v0, v1
	s_waitcnt lgkmcnt(0)
	v_add_f32_e32 v0, v0, v2
	v_add_f32_e32 v2, v0, v3
	v_add_co_u32_e32 v0, vcc, s14, v4
	v_addc_co_u32_e32 v1, vcc, v6, v5, vcc
	global_store_dword v[0:1], v2, off
	s_endpgm
	.section	.rodata,"a",@progbits
	.p2align	6, 0x0
	.amdhsa_kernel _ZL26rocblas_hemvn_kernel_upperILb0ELi64ELi4ELi33ELi32ELi16ElPKfPKS1_PfEviT6_lT7_lT5_lS6_lS7_lS5_lT8_i
		.amdhsa_group_segment_fixed_size 4800
		.amdhsa_private_segment_fixed_size 0
		.amdhsa_kernarg_size 376
		.amdhsa_user_sgpr_count 6
		.amdhsa_user_sgpr_private_segment_buffer 1
		.amdhsa_user_sgpr_dispatch_ptr 0
		.amdhsa_user_sgpr_queue_ptr 0
		.amdhsa_user_sgpr_kernarg_segment_ptr 1
		.amdhsa_user_sgpr_dispatch_id 0
		.amdhsa_user_sgpr_flat_scratch_init 0
		.amdhsa_user_sgpr_private_segment_size 0
		.amdhsa_uses_dynamic_stack 0
		.amdhsa_system_sgpr_private_segment_wavefront_offset 0
		.amdhsa_system_sgpr_workgroup_id_x 1
		.amdhsa_system_sgpr_workgroup_id_y 0
		.amdhsa_system_sgpr_workgroup_id_z 1
		.amdhsa_system_sgpr_workgroup_info 0
		.amdhsa_system_vgpr_workitem_id 1
		.amdhsa_next_free_vgpr 108
		.amdhsa_next_free_sgpr 44
		.amdhsa_reserve_vcc 1
		.amdhsa_reserve_flat_scratch 0
		.amdhsa_float_round_mode_32 0
		.amdhsa_float_round_mode_16_64 0
		.amdhsa_float_denorm_mode_32 3
		.amdhsa_float_denorm_mode_16_64 3
		.amdhsa_dx10_clamp 1
		.amdhsa_ieee_mode 1
		.amdhsa_fp16_overflow 0
		.amdhsa_exception_fp_ieee_invalid_op 0
		.amdhsa_exception_fp_denorm_src 0
		.amdhsa_exception_fp_ieee_div_zero 0
		.amdhsa_exception_fp_ieee_overflow 0
		.amdhsa_exception_fp_ieee_underflow 0
		.amdhsa_exception_fp_ieee_inexact 0
		.amdhsa_exception_int_div_zero 0
	.end_amdhsa_kernel
	.section	.text._ZL26rocblas_hemvn_kernel_upperILb0ELi64ELi4ELi33ELi32ELi16ElPKfPKS1_PfEviT6_lT7_lT5_lS6_lS7_lS5_lT8_i,"axG",@progbits,_ZL26rocblas_hemvn_kernel_upperILb0ELi64ELi4ELi33ELi32ELi16ElPKfPKS1_PfEviT6_lT7_lT5_lS6_lS7_lS5_lT8_i,comdat
.Lfunc_end135:
	.size	_ZL26rocblas_hemvn_kernel_upperILb0ELi64ELi4ELi33ELi32ELi16ElPKfPKS1_PfEviT6_lT7_lT5_lS6_lS7_lS5_lT8_i, .Lfunc_end135-_ZL26rocblas_hemvn_kernel_upperILb0ELi64ELi4ELi33ELi32ELi16ElPKfPKS1_PfEviT6_lT7_lT5_lS6_lS7_lS5_lT8_i
                                        ; -- End function
	.set _ZL26rocblas_hemvn_kernel_upperILb0ELi64ELi4ELi33ELi32ELi16ElPKfPKS1_PfEviT6_lT7_lT5_lS6_lS7_lS5_lT8_i.num_vgpr, 108
	.set _ZL26rocblas_hemvn_kernel_upperILb0ELi64ELi4ELi33ELi32ELi16ElPKfPKS1_PfEviT6_lT7_lT5_lS6_lS7_lS5_lT8_i.num_agpr, 0
	.set _ZL26rocblas_hemvn_kernel_upperILb0ELi64ELi4ELi33ELi32ELi16ElPKfPKS1_PfEviT6_lT7_lT5_lS6_lS7_lS5_lT8_i.numbered_sgpr, 44
	.set _ZL26rocblas_hemvn_kernel_upperILb0ELi64ELi4ELi33ELi32ELi16ElPKfPKS1_PfEviT6_lT7_lT5_lS6_lS7_lS5_lT8_i.num_named_barrier, 0
	.set _ZL26rocblas_hemvn_kernel_upperILb0ELi64ELi4ELi33ELi32ELi16ElPKfPKS1_PfEviT6_lT7_lT5_lS6_lS7_lS5_lT8_i.private_seg_size, 0
	.set _ZL26rocblas_hemvn_kernel_upperILb0ELi64ELi4ELi33ELi32ELi16ElPKfPKS1_PfEviT6_lT7_lT5_lS6_lS7_lS5_lT8_i.uses_vcc, 1
	.set _ZL26rocblas_hemvn_kernel_upperILb0ELi64ELi4ELi33ELi32ELi16ElPKfPKS1_PfEviT6_lT7_lT5_lS6_lS7_lS5_lT8_i.uses_flat_scratch, 0
	.set _ZL26rocblas_hemvn_kernel_upperILb0ELi64ELi4ELi33ELi32ELi16ElPKfPKS1_PfEviT6_lT7_lT5_lS6_lS7_lS5_lT8_i.has_dyn_sized_stack, 0
	.set _ZL26rocblas_hemvn_kernel_upperILb0ELi64ELi4ELi33ELi32ELi16ElPKfPKS1_PfEviT6_lT7_lT5_lS6_lS7_lS5_lT8_i.has_recursion, 0
	.set _ZL26rocblas_hemvn_kernel_upperILb0ELi64ELi4ELi33ELi32ELi16ElPKfPKS1_PfEviT6_lT7_lT5_lS6_lS7_lS5_lT8_i.has_indirect_call, 0
	.section	.AMDGPU.csdata,"",@progbits
; Kernel info:
; codeLenInByte = 6692
; TotalNumSgprs: 48
; NumVgprs: 108
; ScratchSize: 0
; MemoryBound: 0
; FloatMode: 240
; IeeeMode: 1
; LDSByteSize: 4800 bytes/workgroup (compile time only)
; SGPRBlocks: 5
; VGPRBlocks: 26
; NumSGPRsForWavesPerEU: 48
; NumVGPRsForWavesPerEU: 108
; Occupancy: 2
; WaveLimiterHint : 1
; COMPUTE_PGM_RSRC2:SCRATCH_EN: 0
; COMPUTE_PGM_RSRC2:USER_SGPR: 6
; COMPUTE_PGM_RSRC2:TRAP_HANDLER: 0
; COMPUTE_PGM_RSRC2:TGID_X_EN: 1
; COMPUTE_PGM_RSRC2:TGID_Y_EN: 0
; COMPUTE_PGM_RSRC2:TGID_Z_EN: 1
; COMPUTE_PGM_RSRC2:TIDIG_COMP_CNT: 1
	.section	.text._ZL36rocblas_hemvn_kernel_upper_block_sumILi64ElPKfPKPffEviT1_lS5_lT2_lT0_lPT3_i,"axG",@progbits,_ZL36rocblas_hemvn_kernel_upper_block_sumILi64ElPKfPKPffEviT1_lS5_lT2_lT0_lPT3_i,comdat
	.globl	_ZL36rocblas_hemvn_kernel_upper_block_sumILi64ElPKfPKPffEviT1_lS5_lT2_lT0_lPT3_i ; -- Begin function _ZL36rocblas_hemvn_kernel_upper_block_sumILi64ElPKfPKPffEviT1_lS5_lT2_lT0_lPT3_i
	.p2align	8
	.type	_ZL36rocblas_hemvn_kernel_upper_block_sumILi64ElPKfPKPffEviT1_lS5_lT2_lT0_lPT3_i,@function
_ZL36rocblas_hemvn_kernel_upper_block_sumILi64ElPKfPKPffEviT1_lS5_lT2_lT0_lPT3_i: ; @_ZL36rocblas_hemvn_kernel_upper_block_sumILi64ElPKfPKPffEviT1_lS5_lT2_lT0_lPT3_i
; %bb.0:
	s_load_dwordx8 s[12:19], s[4:5], 0x8
	s_mov_b32 s10, s7
	s_waitcnt lgkmcnt(0)
	s_mul_i32 s0, s15, s7
	s_mul_hi_u32 s1, s14, s7
	s_add_i32 s1, s1, s0
	s_mul_i32 s0, s14, s7
	s_lshl_b64 s[0:1], s[0:1], 2
	s_add_u32 s0, s12, s0
	s_addc_u32 s1, s13, s1
	s_load_dword s7, s[0:1], 0x0
	s_mul_i32 s0, s19, s10
	s_mul_hi_u32 s1, s18, s10
	s_add_i32 s1, s1, s0
	s_mul_i32 s0, s18, s10
	s_lshl_b64 s[0:1], s[0:1], 2
	s_add_u32 s0, s16, s0
	s_addc_u32 s1, s17, s1
	s_load_dword s19, s[0:1], 0x0
	s_waitcnt lgkmcnt(0)
	v_cmp_eq_f32_e64 s[0:1], s7, 0
	v_cmp_eq_f32_e64 s[2:3], s19, 1.0
	s_and_b64 s[0:1], s[0:1], s[2:3]
	s_and_b64 vcc, exec, s[0:1]
	s_cbranch_vccnz .LBB136_19
; %bb.1:
	s_load_dwordx2 s[8:9], s[4:5], 0x28
	s_mov_b32 s11, 0
	s_lshl_b64 s[14:15], s[10:11], 3
	s_load_dword s12, s[4:5], 0x0
	s_load_dwordx4 s[0:3], s[4:5], 0x30
	v_lshl_or_b32 v0, s6, 6, v0
	s_waitcnt lgkmcnt(0)
	s_add_u32 s8, s8, s14
	s_addc_u32 s9, s9, s15
	s_load_dwordx2 s[8:9], s[8:9], 0x0
	s_lshl_b64 s[0:1], s[0:1], 2
	v_cmp_neq_f32_e64 s[14:15], s7, 0
	s_waitcnt lgkmcnt(0)
	s_add_u32 s11, s8, s0
	s_addc_u32 s18, s9, s1
	s_and_b64 vcc, exec, s[14:15]
	v_cmp_gt_i32_e64 s[0:1], s12, v0
	s_cbranch_vccnz .LBB136_6
; %bb.2:
	s_mov_b64 s[14:15], 0
	s_mov_b64 s[8:9], 0
                                        ; implicit-def: $vgpr3
                                        ; implicit-def: $vgpr1_vgpr2
	s_and_saveexec_b64 s[16:17], s[0:1]
	s_cbranch_execz .LBB136_7
; %bb.3:
	v_ashrrev_i32_e32 v1, 31, v0
	v_mul_lo_u32 v4, s3, v0
	v_mul_lo_u32 v5, s2, v1
	v_mad_u64_u32 v[1:2], s[0:1], s2, v0, 0
	v_cmp_eq_f32_e64 s[0:1], s19, 0
	v_mov_b32_e32 v3, 0
	v_add3_u32 v2, v2, v5, v4
	s_and_b64 vcc, exec, s[0:1]
	s_cbranch_vccnz .LBB136_5
; %bb.4:
	v_lshlrev_b64 v[3:4], 2, v[1:2]
	v_mov_b32_e32 v5, s18
	v_add_co_u32_e32 v3, vcc, s11, v3
	v_addc_co_u32_e32 v4, vcc, v5, v4, vcc
	flat_load_dword v3, v[3:4]
	s_waitcnt vmcnt(0) lgkmcnt(0)
	v_mul_f32_e32 v3, s19, v3
.LBB136_5:
	s_mov_b64 s[8:9], exec
	s_or_b64 exec, exec, s[16:17]
	s_and_b64 vcc, exec, s[14:15]
	s_cbranch_vccnz .LBB136_8
	s_branch .LBB136_17
.LBB136_6:
	s_mov_b64 s[8:9], 0
                                        ; implicit-def: $vgpr3
                                        ; implicit-def: $vgpr1_vgpr2
	s_cbranch_execnz .LBB136_8
	s_branch .LBB136_17
.LBB136_7:
	s_or_b64 exec, exec, s[16:17]
	s_and_b64 vcc, exec, s[14:15]
	s_cbranch_vccz .LBB136_17
.LBB136_8:
	v_cmp_gt_i32_e32 vcc, s12, v0
                                        ; implicit-def: $vgpr3
                                        ; implicit-def: $vgpr1_vgpr2
	s_and_saveexec_b64 s[0:1], vcc
	s_cbranch_execz .LBB136_16
; %bb.9:
	v_ashrrev_i32_e32 v1, 31, v0
	s_cmp_lt_i32 s6, 0
	v_mov_b32_e32 v4, 0
	s_cbranch_scc1 .LBB136_12
; %bb.10:
	s_load_dwordx2 s[14:15], s[4:5], 0x48
	s_load_dword s16, s[4:5], 0x58
	s_ashr_i32 s13, s12, 31
	s_mul_hi_u32 s4, s12, s10
	s_mul_i32 s5, s13, s10
	s_add_i32 s4, s4, s5
	s_mul_i32 s10, s12, s10
	s_waitcnt lgkmcnt(0)
	s_mul_i32 s4, s4, s16
	s_mul_hi_u32 s5, s10, s16
	s_add_i32 s5, s5, s4
	s_mul_i32 s4, s10, s16
	s_lshl_b64 s[4:5], s[4:5], 2
	s_add_u32 s4, s14, s4
	v_lshlrev_b64 v[2:3], 2, v[0:1]
	s_addc_u32 s5, s15, s5
	v_mov_b32_e32 v4, s5
	v_add_co_u32_e32 v2, vcc, s4, v2
	s_lshl_b64 s[4:5], s[12:13], 2
	v_addc_co_u32_e32 v3, vcc, v4, v3, vcc
	s_add_i32 s6, s6, 1
	v_mov_b32_e32 v4, 0
	v_mov_b32_e32 v5, s5
.LBB136_11:                             ; =>This Inner Loop Header: Depth=1
	global_load_dword v6, v[2:3], off
	s_add_i32 s6, s6, -1
	v_add_co_u32_e32 v2, vcc, s4, v2
	v_addc_co_u32_e32 v3, vcc, v3, v5, vcc
	s_cmp_eq_u32 s6, 0
	s_waitcnt vmcnt(0)
	v_add_f32_e32 v4, v4, v6
	s_cbranch_scc0 .LBB136_11
.LBB136_12:
	v_mul_lo_u32 v5, s3, v0
	v_mul_lo_u32 v6, s2, v1
	v_cmp_eq_f32_e64 s[4:5], s19, 0
	s_and_b64 vcc, exec, s[4:5]
	s_cbranch_vccz .LBB136_20
; %bb.13:
	v_mad_u64_u32 v[1:2], s[4:5], s2, v0, 0
	v_mul_f32_e32 v3, s7, v4
	v_add3_u32 v2, v2, v6, v5
	s_cbranch_execnz .LBB136_15
.LBB136_14:
	v_mad_u64_u32 v[1:2], s[2:3], s2, v0, 0
	v_mov_b32_e32 v0, s18
	v_add3_u32 v2, v2, v6, v5
	v_lshlrev_b64 v[5:6], 2, v[1:2]
	v_add_co_u32_e32 v5, vcc, s11, v5
	v_addc_co_u32_e32 v6, vcc, v0, v6, vcc
	flat_load_dword v0, v[5:6]
	s_waitcnt vmcnt(0) lgkmcnt(0)
	v_mul_f32_e32 v3, s19, v0
	v_fmac_f32_e32 v3, s7, v4
.LBB136_15:
	s_or_b64 s[8:9], s[8:9], exec
.LBB136_16:
	s_or_b64 exec, exec, s[0:1]
.LBB136_17:
	s_and_saveexec_b64 s[0:1], s[8:9]
	s_cbranch_execz .LBB136_19
; %bb.18:
	v_lshlrev_b64 v[0:1], 2, v[1:2]
	v_mov_b32_e32 v2, s18
	v_add_co_u32_e32 v0, vcc, s11, v0
	v_addc_co_u32_e32 v1, vcc, v2, v1, vcc
	flat_store_dword v[0:1], v3
.LBB136_19:
	s_endpgm
.LBB136_20:
                                        ; implicit-def: $vgpr3
                                        ; implicit-def: $vgpr1_vgpr2
	s_branch .LBB136_14
	.section	.rodata,"a",@progbits
	.p2align	6, 0x0
	.amdhsa_kernel _ZL36rocblas_hemvn_kernel_upper_block_sumILi64ElPKfPKPffEviT1_lS5_lT2_lT0_lPT3_i
		.amdhsa_group_segment_fixed_size 0
		.amdhsa_private_segment_fixed_size 0
		.amdhsa_kernarg_size 344
		.amdhsa_user_sgpr_count 6
		.amdhsa_user_sgpr_private_segment_buffer 1
		.amdhsa_user_sgpr_dispatch_ptr 0
		.amdhsa_user_sgpr_queue_ptr 0
		.amdhsa_user_sgpr_kernarg_segment_ptr 1
		.amdhsa_user_sgpr_dispatch_id 0
		.amdhsa_user_sgpr_flat_scratch_init 0
		.amdhsa_user_sgpr_private_segment_size 0
		.amdhsa_uses_dynamic_stack 0
		.amdhsa_system_sgpr_private_segment_wavefront_offset 0
		.amdhsa_system_sgpr_workgroup_id_x 1
		.amdhsa_system_sgpr_workgroup_id_y 0
		.amdhsa_system_sgpr_workgroup_id_z 1
		.amdhsa_system_sgpr_workgroup_info 0
		.amdhsa_system_vgpr_workitem_id 0
		.amdhsa_next_free_vgpr 7
		.amdhsa_next_free_sgpr 20
		.amdhsa_reserve_vcc 1
		.amdhsa_reserve_flat_scratch 0
		.amdhsa_float_round_mode_32 0
		.amdhsa_float_round_mode_16_64 0
		.amdhsa_float_denorm_mode_32 3
		.amdhsa_float_denorm_mode_16_64 3
		.amdhsa_dx10_clamp 1
		.amdhsa_ieee_mode 1
		.amdhsa_fp16_overflow 0
		.amdhsa_exception_fp_ieee_invalid_op 0
		.amdhsa_exception_fp_denorm_src 0
		.amdhsa_exception_fp_ieee_div_zero 0
		.amdhsa_exception_fp_ieee_overflow 0
		.amdhsa_exception_fp_ieee_underflow 0
		.amdhsa_exception_fp_ieee_inexact 0
		.amdhsa_exception_int_div_zero 0
	.end_amdhsa_kernel
	.section	.text._ZL36rocblas_hemvn_kernel_upper_block_sumILi64ElPKfPKPffEviT1_lS5_lT2_lT0_lPT3_i,"axG",@progbits,_ZL36rocblas_hemvn_kernel_upper_block_sumILi64ElPKfPKPffEviT1_lS5_lT2_lT0_lPT3_i,comdat
.Lfunc_end136:
	.size	_ZL36rocblas_hemvn_kernel_upper_block_sumILi64ElPKfPKPffEviT1_lS5_lT2_lT0_lPT3_i, .Lfunc_end136-_ZL36rocblas_hemvn_kernel_upper_block_sumILi64ElPKfPKPffEviT1_lS5_lT2_lT0_lPT3_i
                                        ; -- End function
	.set _ZL36rocblas_hemvn_kernel_upper_block_sumILi64ElPKfPKPffEviT1_lS5_lT2_lT0_lPT3_i.num_vgpr, 7
	.set _ZL36rocblas_hemvn_kernel_upper_block_sumILi64ElPKfPKPffEviT1_lS5_lT2_lT0_lPT3_i.num_agpr, 0
	.set _ZL36rocblas_hemvn_kernel_upper_block_sumILi64ElPKfPKPffEviT1_lS5_lT2_lT0_lPT3_i.numbered_sgpr, 20
	.set _ZL36rocblas_hemvn_kernel_upper_block_sumILi64ElPKfPKPffEviT1_lS5_lT2_lT0_lPT3_i.num_named_barrier, 0
	.set _ZL36rocblas_hemvn_kernel_upper_block_sumILi64ElPKfPKPffEviT1_lS5_lT2_lT0_lPT3_i.private_seg_size, 0
	.set _ZL36rocblas_hemvn_kernel_upper_block_sumILi64ElPKfPKPffEviT1_lS5_lT2_lT0_lPT3_i.uses_vcc, 1
	.set _ZL36rocblas_hemvn_kernel_upper_block_sumILi64ElPKfPKPffEviT1_lS5_lT2_lT0_lPT3_i.uses_flat_scratch, 0
	.set _ZL36rocblas_hemvn_kernel_upper_block_sumILi64ElPKfPKPffEviT1_lS5_lT2_lT0_lPT3_i.has_dyn_sized_stack, 0
	.set _ZL36rocblas_hemvn_kernel_upper_block_sumILi64ElPKfPKPffEviT1_lS5_lT2_lT0_lPT3_i.has_recursion, 0
	.set _ZL36rocblas_hemvn_kernel_upper_block_sumILi64ElPKfPKPffEviT1_lS5_lT2_lT0_lPT3_i.has_indirect_call, 0
	.section	.AMDGPU.csdata,"",@progbits
; Kernel info:
; codeLenInByte = 704
; TotalNumSgprs: 24
; NumVgprs: 7
; ScratchSize: 0
; MemoryBound: 0
; FloatMode: 240
; IeeeMode: 1
; LDSByteSize: 0 bytes/workgroup (compile time only)
; SGPRBlocks: 2
; VGPRBlocks: 1
; NumSGPRsForWavesPerEU: 24
; NumVGPRsForWavesPerEU: 7
; Occupancy: 10
; WaveLimiterHint : 1
; COMPUTE_PGM_RSRC2:SCRATCH_EN: 0
; COMPUTE_PGM_RSRC2:USER_SGPR: 6
; COMPUTE_PGM_RSRC2:TRAP_HANDLER: 0
; COMPUTE_PGM_RSRC2:TGID_X_EN: 1
; COMPUTE_PGM_RSRC2:TGID_Y_EN: 0
; COMPUTE_PGM_RSRC2:TGID_Z_EN: 1
; COMPUTE_PGM_RSRC2:TIDIG_COMP_CNT: 0
	.section	.text._ZL26rocblas_hemvn_kernel_upperILb0ELi64ELi4ELi33ELi32ELi16EiPKfPKS1_PfEviT6_lT7_lT5_lS6_lS7_lS5_lT8_i,"axG",@progbits,_ZL26rocblas_hemvn_kernel_upperILb0ELi64ELi4ELi33ELi32ELi16EiPKfPKS1_PfEviT6_lT7_lT5_lS6_lS7_lS5_lT8_i,comdat
	.globl	_ZL26rocblas_hemvn_kernel_upperILb0ELi64ELi4ELi33ELi32ELi16EiPKfPKS1_PfEviT6_lT7_lT5_lS6_lS7_lS5_lT8_i ; -- Begin function _ZL26rocblas_hemvn_kernel_upperILb0ELi64ELi4ELi33ELi32ELi16EiPKfPKS1_PfEviT6_lT7_lT5_lS6_lS7_lS5_lT8_i
	.p2align	8
	.type	_ZL26rocblas_hemvn_kernel_upperILb0ELi64ELi4ELi33ELi32ELi16EiPKfPKS1_PfEviT6_lT7_lT5_lS6_lS7_lS5_lT8_i,@function
_ZL26rocblas_hemvn_kernel_upperILb0ELi64ELi4ELi33ELi32ELi16EiPKfPKS1_PfEviT6_lT7_lT5_lS6_lS7_lS5_lT8_i: ; @_ZL26rocblas_hemvn_kernel_upperILb0ELi64ELi4ELi33ELi32ELi16EiPKfPKS1_PfEviT6_lT7_lT5_lS6_lS7_lS5_lT8_i
; %bb.0:
	s_load_dwordx2 s[2:3], s[4:5], 0x84
	s_add_u32 s0, s4, 0x78
	s_mov_b32 s22, s7
	s_addc_u32 s1, s5, 0
	s_waitcnt lgkmcnt(0)
	s_lshr_b32 s7, s2, 16
	s_and_b32 s2, s2, 0xffff
	s_and_b32 s3, s3, 0xffff
	s_mul_i32 s2, s7, s2
	s_mul_i32 s2, s2, s3
	s_cmpk_lg_i32 s2, 0x100
	s_cbranch_scc1 .LBB137_4
; %bb.1:
	s_load_dwordx8 s[8:15], s[4:5], 0x8
	s_load_dwordx4 s[16:19], s[4:5], 0x58
	s_waitcnt lgkmcnt(0)
	s_mul_i32 s3, s11, s22
	s_mul_hi_u32 s7, s10, s22
	s_mul_i32 s2, s10, s22
	s_add_i32 s3, s7, s3
	s_lshl_b64 s[2:3], s[2:3], 2
	s_add_u32 s2, s8, s2
	s_addc_u32 s3, s9, s3
	s_mul_i32 s10, s19, s22
	s_load_dword s7, s[2:3], 0x0
	s_mul_hi_u32 s2, s18, s22
	s_add_i32 s3, s2, s10
	s_mul_i32 s2, s18, s22
	s_lshl_b64 s[2:3], s[2:3], 2
	s_add_u32 s2, s16, s2
	s_addc_u32 s3, s17, s3
	s_load_dword s8, s[2:3], 0x0
	s_waitcnt lgkmcnt(0)
	v_cmp_eq_f32_e64 s[2:3], s7, 0
	v_cmp_eq_f32_e64 s[8:9], s8, 1.0
	s_and_b64 s[8:9], s[2:3], s[8:9]
	s_and_b64 vcc, exec, s[8:9]
	s_cbranch_vccnz .LBB137_4
; %bb.2:
	s_and_b64 vcc, exec, s[2:3]
	s_cbranch_vccz .LBB137_5
; %bb.3:
	s_cbranch_execz .LBB137_6
.LBB137_4:
	s_endpgm
.LBB137_5:
.LBB137_6:
	s_mov_b32 s23, 0
	s_load_dwordx4 s[8:11], s[4:5], 0x38
	s_load_dword s40, s[4:5], 0x48
	s_lshl_b64 s[2:3], s[22:23], 3
	s_add_u32 s12, s12, s2
	s_addc_u32 s13, s13, s3
	s_waitcnt lgkmcnt(0)
	s_add_u32 s8, s8, s2
	s_addc_u32 s9, s9, s3
	s_load_dwordx2 s[16:17], s[8:9], 0x0
	s_load_dwordx2 s[26:27], s[4:5], 0x68
	s_load_dword s23, s[4:5], 0x0
	s_load_dword s7, s[0:1], 0x0
	s_load_dwordx2 s[2:3], s[12:13], 0x0
	s_lshl_b64 s[0:1], s[10:11], 2
	s_waitcnt lgkmcnt(0)
	s_add_u32 s0, s16, s0
	s_addc_u32 s1, s17, s1
	s_lshl_b32 s24, s6, 6
	v_add_u32_e32 v18, s24, v0
	v_mul_lo_u32 v2, s40, v18
	s_ashr_i32 s41, s23, 31
	s_lshr_b32 s9, s41, 26
	s_add_i32 s9, s23, s9
	v_ashrrev_i32_e32 v3, 31, v2
	s_andn2_b32 s9, s9, 63
	v_lshlrev_b64 v[2:3], 2, v[2:3]
	s_add_i32 s8, s7, -1
	s_sub_i32 s33, s23, s9
	s_cmp_eq_u32 s6, s8
	v_mov_b32_e32 v4, s1
	v_add_co_u32_e32 v8, vcc, s0, v2
	s_cselect_b32 s16, s33, 0
	v_addc_co_u32_e32 v9, vcc, v4, v3, vcc
	v_cmp_eq_u32_e64 s[0:1], 0, v1
	s_and_saveexec_b64 s[8:9], s[0:1]
	s_cbranch_execz .LBB137_10
; %bb.7:
	s_cmp_eq_u32 s16, 0
	s_cselect_b64 s[10:11], -1, 0
	v_cmp_gt_i32_e32 vcc, s16, v0
	s_or_b64 s[12:13], s[10:11], vcc
	v_mov_b32_e32 v2, 0
	s_and_saveexec_b64 s[10:11], s[12:13]
	s_cbranch_execz .LBB137_9
; %bb.8:
	flat_load_dword v2, v[8:9]
.LBB137_9:
	s_or_b64 exec, exec, s[10:11]
	v_lshlrev_b32_e32 v3, 2, v0
	s_waitcnt vmcnt(0) lgkmcnt(0)
	ds_write_b32 v3, v2 offset:4544
.LBB137_10:
	s_or_b64 exec, exec, s[8:9]
	s_load_dword s20, s[4:5], 0x28
	s_lshl_b64 s[8:9], s[14:15], 2
	v_lshl_add_u32 v14, v1, 6, v0
	s_add_u32 s8, s2, s8
	v_and_b32_e32 v2, 31, v0
	v_lshrrev_b32_e32 v5, 5, v14
	s_addc_u32 s9, s3, s9
	s_waitcnt lgkmcnt(0)
	v_mad_u64_u32 v[3:4], s[2:3], s20, v5, v[2:3]
	s_ashr_i32 s25, s24, 31
	s_lshl_b64 s[2:3], s[24:25], 2
	v_ashrrev_i32_e32 v4, 31, v3
	v_lshlrev_b64 v[6:7], 2, v[3:4]
	s_add_u32 s2, s8, s2
	s_addc_u32 s3, s9, s3
	v_add_co_u32_e32 v4, vcc, s2, v6
	s_mul_i32 s2, s20, s24
	v_mov_b32_e32 v3, s3
	s_ashr_i32 s3, s2, 31
	s_lshl_b64 s[2:3], s[2:3], 2
	v_addc_co_u32_e32 v10, vcc, v3, v7, vcc
	s_cmp_eq_u32 s16, 0
	v_mov_b32_e32 v11, s3
	v_add_co_u32_e32 v3, vcc, s2, v4
	s_cselect_b64 s[18:19], -1, 0
	s_cmp_lg_u32 s16, 0
	v_addc_co_u32_e32 v4, vcc, v10, v11, vcc
	s_cselect_b64 s[34:35], -1, 0
	s_and_b64 vcc, exec, s[34:35]
	v_cmp_gt_i32_e64 s[2:3], s16, v2
	v_lshlrev_b32_e32 v15, 2, v2
	s_cbranch_vccz .LBB137_20
; %bb.11:
	v_sub_co_u32_e32 v10, vcc, v3, v15
	s_ashr_i32 s17, s16, 31
	v_subbrev_co_u32_e32 v11, vcc, 0, v4, vcc
	s_lshl_b64 s[4:5], s[16:17], 2
	v_mov_b32_e32 v12, s5
	v_add_co_u32_e32 v10, vcc, s4, v10
	v_addc_co_u32_e32 v11, vcc, v11, v12, vcc
	v_add_co_u32_e32 v10, vcc, -4, v10
	v_addc_co_u32_e32 v11, vcc, -1, v11, vcc
	v_mov_b32_e32 v13, 0
	v_cndmask_b32_e64 v11, v11, v4, s[2:3]
	v_cndmask_b32_e64 v10, v10, v3, s[2:3]
	v_cmp_gt_i32_e32 vcc, s16, v5
	v_mov_b32_e32 v16, 0
	s_and_saveexec_b64 s[8:9], vcc
	s_cbranch_execz .LBB137_13
; %bb.12:
	flat_load_dword v16, v[10:11]
.LBB137_13:
	s_or_b64 exec, exec, s[8:9]
	s_movk_i32 s8, 0x84
	v_mad_u32_u24 v17, v5, s8, v15
	s_waitcnt vmcnt(0) lgkmcnt(0)
	ds_write_b32 v17, v16
	v_add_u32_e32 v16, 8, v5
	v_mul_u32_u24_e32 v12, 0x84, v5
	v_cmp_gt_i32_e32 vcc, s16, v16
	s_and_saveexec_b64 s[8:9], vcc
	s_cbranch_execz .LBB137_15
; %bb.14:
	s_lshl_b32 s10, s20, 3
	s_ashr_i32 s11, s10, 31
	s_lshl_b64 s[10:11], s[10:11], 2
	v_mov_b32_e32 v13, s11
	v_add_co_u32_e32 v16, vcc, s10, v10
	v_addc_co_u32_e32 v17, vcc, v11, v13, vcc
	flat_load_dword v13, v[16:17]
.LBB137_15:
	s_or_b64 exec, exec, s[8:9]
	v_add_u32_e32 v12, v12, v15
	s_waitcnt vmcnt(0) lgkmcnt(0)
	ds_write_b32 v12, v13 offset:1056
	v_add_u32_e32 v13, 16, v5
	v_cmp_gt_i32_e32 vcc, s16, v13
	v_mov_b32_e32 v13, 0
	v_mov_b32_e32 v16, 0
	s_and_saveexec_b64 s[8:9], vcc
	s_cbranch_execz .LBB137_17
; %bb.16:
	s_lshl_b32 s10, s20, 4
	s_ashr_i32 s11, s10, 31
	s_lshl_b64 s[10:11], s[10:11], 2
	v_mov_b32_e32 v17, s11
	v_add_co_u32_e32 v16, vcc, s10, v10
	v_addc_co_u32_e32 v17, vcc, v11, v17, vcc
	flat_load_dword v16, v[16:17]
.LBB137_17:
	s_or_b64 exec, exec, s[8:9]
	s_waitcnt vmcnt(0) lgkmcnt(0)
	ds_write_b32 v12, v16 offset:2112
	v_add_u32_e32 v16, 24, v5
	v_cmp_gt_i32_e32 vcc, s16, v16
	s_and_saveexec_b64 s[8:9], vcc
	s_cbranch_execz .LBB137_19
; %bb.18:
	s_mul_i32 s10, s20, 24
	s_ashr_i32 s11, s10, 31
	s_lshl_b64 s[10:11], s[10:11], 2
	v_mov_b32_e32 v13, s11
	v_add_co_u32_e32 v16, vcc, s10, v10
	v_addc_co_u32_e32 v17, vcc, v11, v13, vcc
	flat_load_dword v13, v[16:17]
.LBB137_19:
	s_or_b64 exec, exec, s[8:9]
	v_add_co_u32_e32 v10, vcc, v10, v15
	v_addc_co_u32_e32 v11, vcc, 0, v11, vcc
	s_waitcnt vmcnt(0) lgkmcnt(0)
	ds_write_b32 v12, v13 offset:3168
	v_mov_b32_e32 v12, s5
	v_subrev_co_u32_e32 v10, vcc, s4, v10
	v_subb_co_u32_e32 v11, vcc, v11, v12, vcc
	v_add_co_u32_e32 v10, vcc, 4, v10
	v_addc_co_u32_e32 v11, vcc, 0, v11, vcc
	v_cndmask_b32_e64 v11, v11, v4, s[2:3]
	v_cndmask_b32_e64 v10, v10, v3, s[2:3]
	s_branch .LBB137_22
.LBB137_20:
                                        ; implicit-def: $vgpr10_vgpr11
	s_cbranch_execz .LBB137_22
; %bb.21:
	s_lshl_b32 s2, s20, 3
	s_ashr_i32 s3, s2, 31
	s_lshl_b64 s[2:3], s[2:3], 2
	v_mov_b32_e32 v11, s3
	v_add_co_u32_e32 v10, vcc, s2, v3
	s_ashr_i32 s21, s20, 31
	v_addc_co_u32_e32 v11, vcc, v4, v11, vcc
	s_lshl_b64 s[2:3], s[20:21], 5
	v_mov_b32_e32 v17, s3
	v_add_co_u32_e32 v12, vcc, s2, v10
	v_addc_co_u32_e32 v13, vcc, v11, v17, vcc
	v_add_co_u32_e32 v16, vcc, s2, v12
	v_addc_co_u32_e32 v17, vcc, v13, v17, vcc
	flat_load_dword v19, v[3:4]
	flat_load_dword v20, v[10:11]
	;; [unrolled: 1-line block ×4, first 2 shown]
	v_mul_u32_u24_e32 v10, 0x84, v5
	v_lshl_add_u32 v10, v2, 2, v10
	s_waitcnt vmcnt(0) lgkmcnt(0)
	ds_write_b32 v10, v19
	ds_write_b32 v10, v20 offset:1056
	ds_write_b32 v10, v21 offset:2112
	;; [unrolled: 1-line block ×3, first 2 shown]
	v_mov_b32_e32 v11, v4
	v_mov_b32_e32 v10, v3
.LBB137_22:
	v_lshlrev_b32_e32 v16, 2, v5
	v_lshl_or_b32 v3, v2, 7, v15
	v_cmp_gt_u32_e64 s[4:5], v16, v2
	v_lshl_add_u32 v3, v16, 2, v3
	s_waitcnt lgkmcnt(0)
	s_barrier
	s_and_saveexec_b64 s[2:3], s[4:5]
	s_cbranch_execz .LBB137_24
; %bb.23:
	s_movk_i32 s8, 0x210
	v_mad_u32_u24 v4, v5, s8, v15
	ds_read_b32 v4, v4
	s_waitcnt lgkmcnt(0)
	ds_write_b32 v3, v4
.LBB137_24:
	s_or_b64 exec, exec, s[2:3]
	v_or_b32_e32 v21, 1, v16
	v_cmp_ge_u32_e64 s[14:15], v16, v2
	s_and_saveexec_b64 s[2:3], s[14:15]
	s_cbranch_execz .LBB137_26
; %bb.25:
	s_movk_i32 s8, 0x84
	v_mad_u32_u24 v4, v21, s8, v15
	ds_read_b32 v4, v4
	s_waitcnt lgkmcnt(0)
	ds_write_b32 v3, v4 offset:4
.LBB137_26:
	s_or_b64 exec, exec, s[2:3]
	v_or_b32_e32 v4, 2, v16
	v_cmp_gt_u32_e64 s[8:9], v4, v2
	s_and_saveexec_b64 s[2:3], s[8:9]
	s_cbranch_execz .LBB137_28
; %bb.27:
	s_movk_i32 s10, 0x84
	v_mad_u32_u24 v4, v4, s10, v15
	ds_read_b32 v4, v4
	s_waitcnt lgkmcnt(0)
	ds_write_b32 v3, v4 offset:8
.LBB137_28:
	s_or_b64 exec, exec, s[2:3]
	v_or_b32_e32 v12, 3, v16
	v_cmp_gt_u32_e64 s[10:11], v12, v2
	v_cmp_le_u32_e32 vcc, v12, v2
                                        ; implicit-def: $vgpr4
	s_and_saveexec_b64 s[2:3], vcc
	s_xor_b64 s[2:3], exec, s[2:3]
; %bb.29:
	v_mul_u32_u24_e32 v4, 0x84, v12
                                        ; implicit-def: $vgpr12
                                        ; implicit-def: $vgpr3
; %bb.30:
	s_andn2_saveexec_b64 s[2:3], s[2:3]
	s_cbranch_execz .LBB137_32
; %bb.31:
	s_movk_i32 s12, 0x84
	v_mad_u32_u24 v4, v12, s12, v15
	ds_read_b32 v13, v4
	v_mul_u32_u24_e32 v4, 0x84, v12
	s_waitcnt lgkmcnt(0)
	ds_write_b32 v3, v13 offset:12
.LBB137_32:
	s_or_b64 exec, exec, s[2:3]
	s_movk_i32 s2, 0x210
	v_mad_u32_u24 v3, v5, s2, v15
	s_movk_i32 s2, 0x84
	s_waitcnt lgkmcnt(0)
	s_barrier
	v_lshlrev_b32_e32 v23, 2, v16
	ds_read_b32 v3, v3
	ds_read_b128 v[24:27], v23 offset:4544
	v_mad_u32_u24 v12, v21, s2, v15
	ds_read2_b32 v[12:13], v12 offset1:33
	v_add_u32_e32 v20, v15, v4
	ds_read_b32 v4, v20
	s_waitcnt lgkmcnt(2)
	v_fma_f32 v3, v3, v24, 0
	v_mov_b32_e32 v30, 0
	s_waitcnt lgkmcnt(1)
	v_fmac_f32_e32 v3, v12, v25
	v_fmac_f32_e32 v3, v13, v26
	s_waitcnt lgkmcnt(0)
	v_fmac_f32_e32 v3, v4, v27
	v_mul_u32_u24_e32 v4, 33, v2
	v_lshlrev_b32_e32 v17, 2, v4
	v_lshl_add_u32 v19, v5, 2, v17
	v_cmp_gt_u32_e64 s[2:3], 32, v14
	s_barrier
	ds_write_b32 v19, v3
	s_waitcnt lgkmcnt(0)
	s_barrier
	s_and_saveexec_b64 s[12:13], s[2:3]
	s_cbranch_execz .LBB137_34
; %bb.33:
	ds_read2_b32 v[3:4], v17 offset1:1
	ds_read2_b32 v[12:13], v17 offset0:2 offset1:3
	ds_read2_b32 v[24:25], v17 offset0:4 offset1:5
	ds_read2_b32 v[26:27], v17 offset0:6 offset1:7
	s_waitcnt lgkmcnt(3)
	v_add_f32_e32 v3, v3, v4
	s_waitcnt lgkmcnt(2)
	v_add_f32_e32 v3, v3, v12
	v_add_f32_e32 v3, v3, v13
	s_waitcnt lgkmcnt(1)
	v_add_f32_e32 v3, v3, v24
	v_add_f32_e32 v3, v3, v25
	s_waitcnt lgkmcnt(0)
	v_add_f32_e32 v3, v3, v26
	v_add_f32_e32 v30, v3, v27
.LBB137_34:
	s_or_b64 exec, exec, s[12:13]
	s_lshl_b32 s30, s20, 5
	s_ashr_i32 s31, s30, 31
	s_lshl_b64 s[28:29], s[30:31], 2
	v_mov_b32_e32 v3, s29
	v_add_co_u32_e32 v10, vcc, s28, v10
	v_addc_co_u32_e32 v11, vcc, v11, v3, vcc
	v_add_co_u32_e32 v3, vcc, 0x80, v10
	v_addc_co_u32_e32 v4, vcc, 0, v11, vcc
	s_and_b64 vcc, exec, s[34:35]
	s_barrier
	s_cbranch_vccz .LBB137_44
; %bb.35:
	v_sub_co_u32_e32 v13, vcc, v10, v15
	s_ashr_i32 s17, s16, 31
	v_subbrev_co_u32_e32 v22, vcc, 0, v11, vcc
	s_lshl_b64 s[36:37], s[16:17], 2
	v_mov_b32_e32 v25, s37
	v_add_co_u32_e32 v13, vcc, s36, v13
	v_addc_co_u32_e32 v22, vcc, v22, v25, vcc
	v_or_b32_e32 v12, 32, v2
	v_add_co_u32_e32 v25, vcc, -4, v13
	v_addc_co_u32_e32 v13, vcc, -1, v22, vcc
	v_cmp_gt_i32_e64 s[12:13], s16, v12
	s_sub_i32 s17, s16, 32
	v_mov_b32_e32 v24, 0
	v_cndmask_b32_e64 v13, v13, v4, s[12:13]
	v_cndmask_b32_e64 v12, v25, v3, s[12:13]
	v_cmp_gt_i32_e32 vcc, s17, v5
	v_mov_b32_e32 v25, 0
	s_and_saveexec_b64 s[38:39], vcc
	s_cbranch_execz .LBB137_37
; %bb.36:
	flat_load_dword v25, v[12:13]
.LBB137_37:
	s_or_b64 exec, exec, s[38:39]
	s_movk_i32 s21, 0x84
	v_mad_u32_u24 v26, v5, s21, v15
	s_waitcnt vmcnt(0) lgkmcnt(0)
	ds_write_b32 v26, v25
	v_add_u32_e32 v25, 8, v5
	v_mul_u32_u24_e32 v22, 0x84, v5
	v_cmp_gt_i32_e32 vcc, s17, v25
	s_and_saveexec_b64 s[38:39], vcc
	s_cbranch_execz .LBB137_39
; %bb.38:
	s_lshl_b32 s42, s20, 3
	s_ashr_i32 s43, s42, 31
	s_lshl_b64 s[42:43], s[42:43], 2
	v_mov_b32_e32 v25, s43
	v_add_co_u32_e32 v24, vcc, s42, v12
	v_addc_co_u32_e32 v25, vcc, v13, v25, vcc
	flat_load_dword v24, v[24:25]
.LBB137_39:
	s_or_b64 exec, exec, s[38:39]
	v_add_u32_e32 v22, v22, v15
	s_waitcnt vmcnt(0) lgkmcnt(0)
	ds_write_b32 v22, v24 offset:1056
	v_add_u32_e32 v24, 16, v5
	v_cmp_gt_i32_e32 vcc, s17, v24
	v_mov_b32_e32 v24, 0
	v_mov_b32_e32 v25, 0
	s_and_saveexec_b64 s[38:39], vcc
	s_cbranch_execz .LBB137_41
; %bb.40:
	s_lshl_b32 s42, s20, 4
	s_ashr_i32 s43, s42, 31
	s_lshl_b64 s[42:43], s[42:43], 2
	v_mov_b32_e32 v26, s43
	v_add_co_u32_e32 v25, vcc, s42, v12
	v_addc_co_u32_e32 v26, vcc, v13, v26, vcc
	flat_load_dword v25, v[25:26]
.LBB137_41:
	s_or_b64 exec, exec, s[38:39]
	s_waitcnt vmcnt(0) lgkmcnt(0)
	ds_write_b32 v22, v25 offset:2112
	v_add_u32_e32 v25, 24, v5
	v_cmp_gt_i32_e32 vcc, s17, v25
	s_and_saveexec_b64 s[38:39], vcc
	s_cbranch_execz .LBB137_43
; %bb.42:
	s_mul_i32 s42, s20, 24
	s_ashr_i32 s43, s42, 31
	s_lshl_b64 s[42:43], s[42:43], 2
	v_mov_b32_e32 v25, s43
	v_add_co_u32_e32 v24, vcc, s42, v12
	v_addc_co_u32_e32 v25, vcc, v13, v25, vcc
	flat_load_dword v24, v[24:25]
.LBB137_43:
	s_or_b64 exec, exec, s[38:39]
	v_add_co_u32_e32 v12, vcc, v12, v15
	v_addc_co_u32_e32 v13, vcc, 0, v13, vcc
	s_waitcnt vmcnt(0) lgkmcnt(0)
	ds_write_b32 v22, v24 offset:3168
	v_mov_b32_e32 v22, s37
	v_subrev_co_u32_e32 v12, vcc, s36, v12
	v_subb_co_u32_e32 v13, vcc, v13, v22, vcc
	v_add_co_u32_e32 v12, vcc, 0x84, v12
	v_addc_co_u32_e32 v13, vcc, 0, v13, vcc
	v_cndmask_b32_e64 v13, v13, v4, s[12:13]
	v_cndmask_b32_e64 v12, v12, v3, s[12:13]
	v_mul_u32_u24_e32 v22, 0x210, v5
	s_branch .LBB137_46
.LBB137_44:
                                        ; implicit-def: $vgpr12_vgpr13
	v_mul_u32_u24_e32 v22, 0x210, v5
	s_cbranch_execz .LBB137_46
; %bb.45:
	s_lshl_b32 s12, s20, 3
	s_ashr_i32 s13, s12, 31
	s_lshl_b64 s[12:13], s[12:13], 2
	v_mov_b32_e32 v13, s13
	v_add_co_u32_e32 v12, vcc, s12, v10
	s_ashr_i32 s21, s20, 31
	v_addc_co_u32_e32 v13, vcc, v11, v13, vcc
	s_lshl_b64 s[12:13], s[20:21], 5
	v_mov_b32_e32 v27, s13
	v_add_co_u32_e32 v24, vcc, s12, v12
	v_addc_co_u32_e32 v25, vcc, v13, v27, vcc
	v_add_co_u32_e32 v26, vcc, s12, v24
	v_addc_co_u32_e32 v27, vcc, v25, v27, vcc
	flat_load_dword v28, v[10:11] offset:128
	flat_load_dword v29, v[12:13] offset:128
	;; [unrolled: 1-line block ×4, first 2 shown]
	s_movk_i32 s12, 0x84
	v_mov_b32_e32 v13, v4
	v_mad_u32_u24 v10, v5, s12, v15
	v_mov_b32_e32 v12, v3
	s_waitcnt vmcnt(0) lgkmcnt(0)
	ds_write_b32 v10, v28
	ds_write_b32 v10, v29 offset:1056
	ds_write_b32 v10, v31 offset:2112
	;; [unrolled: 1-line block ×3, first 2 shown]
.LBB137_46:
	v_mul_u32_u24_e32 v4, 0x84, v21
	v_add_u32_e32 v21, v15, v22
	v_lshl_add_u32 v3, v16, 2, v17
	s_waitcnt lgkmcnt(0)
	s_barrier
	s_and_saveexec_b64 s[12:13], s[4:5]
	s_cbranch_execz .LBB137_50
; %bb.47:
	ds_read_b32 v10, v21
	s_waitcnt lgkmcnt(0)
	ds_write_b32 v3, v10
	s_or_b64 exec, exec, s[12:13]
	v_add_u32_e32 v22, v15, v4
	s_and_saveexec_b64 s[4:5], s[14:15]
	s_cbranch_execnz .LBB137_51
.LBB137_48:
	s_or_b64 exec, exec, s[4:5]
	s_and_saveexec_b64 s[4:5], s[8:9]
	s_cbranch_execz .LBB137_52
.LBB137_49:
	ds_read_b32 v4, v22 offset:132
	s_waitcnt lgkmcnt(0)
	ds_write_b32 v3, v4 offset:8
	s_or_b64 exec, exec, s[4:5]
	v_add_u32_e32 v23, 0x11c0, v23
	s_and_saveexec_b64 s[4:5], s[10:11]
	s_cbranch_execnz .LBB137_53
	s_branch .LBB137_54
.LBB137_50:
	s_or_b64 exec, exec, s[12:13]
	v_add_u32_e32 v22, v15, v4
	s_and_saveexec_b64 s[4:5], s[14:15]
	s_cbranch_execz .LBB137_48
.LBB137_51:
	ds_read_b32 v4, v22
	s_waitcnt lgkmcnt(0)
	ds_write_b32 v3, v4 offset:4
	s_or_b64 exec, exec, s[4:5]
	s_and_saveexec_b64 s[4:5], s[8:9]
	s_cbranch_execnz .LBB137_49
.LBB137_52:
	s_or_b64 exec, exec, s[4:5]
	v_add_u32_e32 v23, 0x11c0, v23
	s_and_saveexec_b64 s[4:5], s[10:11]
	s_cbranch_execz .LBB137_54
.LBB137_53:
	ds_read_b32 v4, v20
	s_waitcnt lgkmcnt(0)
	ds_write_b32 v3, v4 offset:12
.LBB137_54:
	s_or_b64 exec, exec, s[4:5]
	s_waitcnt lgkmcnt(0)
	s_barrier
	ds_read_b32 v10, v21
	ds_read_b128 v[24:27], v23 offset:128
	ds_read2_b32 v[3:4], v22 offset1:33
	ds_read_b32 v11, v20
	v_cmp_eq_u32_e64 s[4:5], 1, v5
	s_waitcnt lgkmcnt(0)
	v_fma_f32 v10, v10, v24, 0
	v_fmac_f32_e32 v10, v3, v25
	v_fmac_f32_e32 v10, v4, v26
	;; [unrolled: 1-line block ×3, first 2 shown]
	s_barrier
	ds_write_b32 v19, v10
	s_waitcnt lgkmcnt(0)
	s_barrier
	s_and_saveexec_b64 s[8:9], s[4:5]
	s_cbranch_execz .LBB137_56
; %bb.55:
	ds_read2_b32 v[3:4], v17 offset1:1
	ds_read2_b32 v[10:11], v17 offset0:2 offset1:3
	ds_read2_b32 v[24:25], v17 offset0:4 offset1:5
	;; [unrolled: 1-line block ×3, first 2 shown]
	s_waitcnt lgkmcnt(3)
	v_add_f32_e32 v3, v3, v4
	s_waitcnt lgkmcnt(2)
	v_add_f32_e32 v3, v3, v10
	v_add_f32_e32 v3, v3, v11
	s_waitcnt lgkmcnt(1)
	v_add_f32_e32 v3, v3, v24
	;; [unrolled: 3-line block ×3, first 2 shown]
	v_add_f32_e32 v30, v3, v27
.LBB137_56:
	s_or_b64 exec, exec, s[8:9]
	v_add_co_u32_e32 v3, vcc, 0xffffff80, v12
	v_addc_co_u32_e32 v4, vcc, -1, v13, vcc
	s_and_b64 vcc, exec, s[34:35]
	s_barrier
	s_cbranch_vccz .LBB137_66
; %bb.57:
	v_sub_co_u32_e32 v10, vcc, v3, v15
	s_ashr_i32 s17, s16, 31
	v_subbrev_co_u32_e32 v11, vcc, 0, v4, vcc
	s_lshl_b64 s[10:11], s[16:17], 2
	v_mov_b32_e32 v13, s11
	v_add_co_u32_e32 v10, vcc, s10, v10
	v_addc_co_u32_e32 v11, vcc, v11, v13, vcc
	v_add_co_u32_e32 v10, vcc, -4, v10
	v_addc_co_u32_e32 v11, vcc, -1, v11, vcc
	v_cmp_gt_i32_e32 vcc, s16, v2
	s_sub_i32 s14, s16, 32
	v_mov_b32_e32 v12, 0
	v_cndmask_b32_e32 v11, v11, v4, vcc
	v_cndmask_b32_e32 v10, v10, v3, vcc
	v_cmp_gt_i32_e64 s[8:9], s14, v5
	v_mov_b32_e32 v2, 0
	s_and_saveexec_b64 s[12:13], s[8:9]
	s_cbranch_execz .LBB137_59
; %bb.58:
	flat_load_dword v2, v[10:11]
.LBB137_59:
	s_or_b64 exec, exec, s[12:13]
	s_movk_i32 s8, 0x84
	v_mad_u32_u24 v24, v5, s8, v15
	s_waitcnt vmcnt(0) lgkmcnt(0)
	ds_write_b32 v24, v2
	v_add_u32_e32 v2, 8, v5
	v_mul_u32_u24_e32 v13, 0x84, v5
	v_cmp_gt_i32_e64 s[8:9], s14, v2
	s_and_saveexec_b64 s[12:13], s[8:9]
	s_cbranch_execz .LBB137_61
; %bb.60:
	s_lshl_b32 s8, s20, 3
	s_ashr_i32 s9, s8, 31
	s_lshl_b64 s[8:9], s[8:9], 2
	v_mov_b32_e32 v12, s9
	v_add_co_u32_e64 v24, s[8:9], s8, v10
	v_addc_co_u32_e64 v25, s[8:9], v11, v12, s[8:9]
	flat_load_dword v12, v[24:25]
.LBB137_61:
	s_or_b64 exec, exec, s[12:13]
	v_add_u32_e32 v24, v13, v15
	s_waitcnt vmcnt(0) lgkmcnt(0)
	ds_write_b32 v24, v12 offset:1056
	v_add_u32_e32 v12, 16, v5
	v_cmp_gt_i32_e64 s[8:9], s14, v12
	v_mov_b32_e32 v25, 0
	v_mov_b32_e32 v13, 0
	s_and_saveexec_b64 s[12:13], s[8:9]
	s_cbranch_execz .LBB137_63
; %bb.62:
	s_lshl_b32 s8, s20, 4
	s_ashr_i32 s9, s8, 31
	s_lshl_b64 s[8:9], s[8:9], 2
	v_mov_b32_e32 v13, s9
	v_add_co_u32_e64 v26, s[8:9], s8, v10
	v_addc_co_u32_e64 v27, s[8:9], v11, v13, s[8:9]
	flat_load_dword v13, v[26:27]
.LBB137_63:
	s_or_b64 exec, exec, s[12:13]
	s_waitcnt vmcnt(0) lgkmcnt(0)
	ds_write_b32 v24, v13 offset:2112
	v_add_u32_e32 v13, 24, v5
	v_cmp_gt_i32_e64 s[8:9], s14, v13
	s_and_saveexec_b64 s[12:13], s[8:9]
	s_cbranch_execz .LBB137_65
; %bb.64:
	s_mul_i32 s8, s20, 24
	s_ashr_i32 s9, s8, 31
	s_lshl_b64 s[8:9], s[8:9], 2
	v_mov_b32_e32 v26, s9
	v_add_co_u32_e64 v25, s[8:9], s8, v10
	v_addc_co_u32_e64 v26, s[8:9], v11, v26, s[8:9]
	flat_load_dword v25, v[25:26]
.LBB137_65:
	s_or_b64 exec, exec, s[12:13]
	v_add_co_u32_e64 v10, s[8:9], v10, v15
	v_addc_co_u32_e64 v11, s[8:9], 0, v11, s[8:9]
	s_waitcnt vmcnt(0) lgkmcnt(0)
	ds_write_b32 v24, v25 offset:3168
	v_mov_b32_e32 v24, s11
	v_subrev_co_u32_e64 v10, s[8:9], s10, v10
	v_subb_co_u32_e64 v11, s[8:9], v11, v24, s[8:9]
	v_add_co_u32_e64 v10, s[8:9], 4, v10
	v_addc_co_u32_e64 v11, s[8:9], 0, v11, s[8:9]
	v_cndmask_b32_e32 v11, v11, v4, vcc
	v_cndmask_b32_e32 v10, v10, v3, vcc
	s_branch .LBB137_68
.LBB137_66:
                                        ; implicit-def: $vgpr10_vgpr11
                                        ; implicit-def: $vgpr2
                                        ; implicit-def: $vgpr12
                                        ; implicit-def: $vgpr13
	s_cbranch_execz .LBB137_68
; %bb.67:
	s_lshl_b32 s8, s20, 3
	s_ashr_i32 s9, s8, 31
	s_lshl_b64 s[8:9], s[8:9], 2
	v_mov_b32_e32 v2, s9
	v_add_co_u32_e32 v10, vcc, s8, v3
	s_ashr_i32 s21, s20, 31
	v_addc_co_u32_e32 v11, vcc, v4, v2, vcc
	s_lshl_b64 s[8:9], s[20:21], 5
	v_mov_b32_e32 v2, s9
	v_add_co_u32_e32 v12, vcc, s8, v10
	v_addc_co_u32_e32 v13, vcc, v11, v2, vcc
	v_add_co_u32_e32 v24, vcc, s8, v12
	v_addc_co_u32_e32 v25, vcc, v13, v2, vcc
	flat_load_dword v26, v[3:4]
	flat_load_dword v27, v[10:11]
	flat_load_dword v28, v[12:13]
	flat_load_dword v29, v[24:25]
	s_movk_i32 s8, 0x84
	v_mov_b32_e32 v11, v4
	v_add_u32_e32 v2, 8, v5
	v_add_u32_e32 v12, 16, v5
	;; [unrolled: 1-line block ×3, first 2 shown]
	v_mad_u32_u24 v5, v5, s8, v15
	v_mov_b32_e32 v10, v3
	s_waitcnt vmcnt(0) lgkmcnt(0)
	ds_write_b32 v5, v26
	ds_write_b32 v5, v27 offset:1056
	ds_write_b32 v5, v28 offset:2112
	;; [unrolled: 1-line block ×3, first 2 shown]
.LBB137_68:
	v_add_u32_e32 v3, v17, v16
	s_waitcnt lgkmcnt(0)
	s_barrier
	ds_read_b32 v24, v3
	ds_read_b32 v25, v16 offset:4544
	v_lshlrev_b32_e32 v2, 2, v2
	v_lshlrev_b32_e32 v4, 2, v12
	;; [unrolled: 1-line block ×3, first 2 shown]
	v_add_u32_e32 v3, v17, v2
	v_add_u32_e32 v5, v17, v4
	;; [unrolled: 1-line block ×3, first 2 shown]
	ds_read_b32 v26, v3
	ds_read_b32 v27, v5
	;; [unrolled: 1-line block ×4, first 2 shown]
	ds_read_b32 v21, v12 offset:4544
	ds_read_b32 v29, v4 offset:4544
	;; [unrolled: 1-line block ×3, first 2 shown]
	ds_read2_b32 v[12:13], v22 offset1:33
	ds_read_b128 v[2:5], v23 offset:128
	ds_read_b32 v16, v20
	s_waitcnt lgkmcnt(10)
	v_fma_f32 v20, v24, v25, 0
	s_waitcnt lgkmcnt(3)
	v_fmac_f32_e32 v20, v26, v31
	v_fmac_f32_e32 v20, v27, v29
	;; [unrolled: 1-line block ×3, first 2 shown]
	s_waitcnt lgkmcnt(0)
	s_barrier
	ds_write_b32 v19, v20
	s_waitcnt lgkmcnt(0)
	s_barrier
	s_and_saveexec_b64 s[8:9], s[4:5]
	s_cbranch_execz .LBB137_70
; %bb.69:
	ds_read2_b32 v[20:21], v17 offset1:1
	ds_read2_b32 v[22:23], v17 offset0:2 offset1:3
	ds_read2_b32 v[24:25], v17 offset0:4 offset1:5
	;; [unrolled: 1-line block ×3, first 2 shown]
	s_waitcnt lgkmcnt(3)
	v_add_f32_e32 v20, v30, v20
	v_add_f32_e32 v20, v20, v21
	s_waitcnt lgkmcnt(2)
	v_add_f32_e32 v20, v20, v22
	v_add_f32_e32 v20, v20, v23
	;; [unrolled: 3-line block ×4, first 2 shown]
.LBB137_70:
	s_or_b64 exec, exec, s[8:9]
	v_fma_f32 v2, v15, v2, 0
	v_fmac_f32_e32 v2, v12, v3
	v_fmac_f32_e32 v2, v13, v4
	;; [unrolled: 1-line block ×3, first 2 shown]
	s_barrier
	ds_write_b32 v19, v2
	s_waitcnt lgkmcnt(0)
	s_barrier
	s_and_saveexec_b64 s[4:5], s[2:3]
	s_cbranch_execz .LBB137_72
; %bb.71:
	ds_read2_b32 v[2:3], v17 offset1:1
	ds_read2_b32 v[4:5], v17 offset0:2 offset1:3
	ds_read2_b32 v[12:13], v17 offset0:4 offset1:5
	;; [unrolled: 1-line block ×3, first 2 shown]
	s_waitcnt lgkmcnt(3)
	v_add_f32_e32 v2, v30, v2
	v_add_f32_e32 v2, v2, v3
	s_waitcnt lgkmcnt(2)
	v_add_f32_e32 v2, v2, v4
	v_add_f32_e32 v2, v2, v5
	;; [unrolled: 3-line block ×4, first 2 shown]
.LBB137_72:
	s_or_b64 exec, exec, s[4:5]
	s_mul_hi_u32 s2, s23, s22
	s_mul_i32 s41, s41, s22
	s_add_i32 s2, s2, s41
	s_mul_i32 s4, s23, s22
	s_mul_i32 s2, s2, s7
	s_mul_hi_u32 s3, s4, s7
	s_add_i32 s3, s3, s2
	s_mul_i32 s2, s4, s7
	s_lshl_b64 s[2:3], s[2:3], 2
	s_add_u32 s4, s26, s2
	s_addc_u32 s5, s27, s3
	s_mul_hi_i32 s3, s23, s6
	s_mul_i32 s2, s23, s6
	s_lshl_b64 s[2:3], s[2:3], 2
	s_add_u32 s17, s4, s2
	s_addc_u32 s25, s5, s3
	s_add_i32 s8, s6, 1
	s_cmp_ge_u32 s8, s7
	v_lshlrev_b32_e32 v31, 2, v0
	s_barrier
	s_cbranch_scc1 .LBB137_129
; %bb.73:
	s_mul_i32 s2, s40, s24
	s_ashr_i32 s3, s2, 31
	v_lshlrev_b32_e32 v32, 2, v1
	s_lshl_b64 s[2:3], s[2:3], 2
	v_mad_u64_u32 v[2:3], s[4:5], s20, v32, v[0:1]
	v_subrev_co_u32_e32 v33, vcc, s2, v8
	s_lshl_b32 s26, s40, 6
	s_lshl_b32 s2, s20, 4
	s_ashr_i32 s21, s20, 31
	s_lshl_b32 s12, s20, 1
	s_mul_i32 s14, s20, 3
	s_mul_i32 s40, s40, s8
	v_mov_b32_e32 v4, s3
	s_add_i32 s24, s7, -2
	s_ashr_i32 s3, s2, 31
	s_ashr_i32 s13, s12, 31
	;; [unrolled: 1-line block ×3, first 2 shown]
	s_lshl_b64 s[4:5], s[20:21], 2
	s_lshl_b32 s8, s40, 6
	s_lshl_b64 s[22:23], s[20:21], 3
	s_add_u32 s9, s22, s28
	s_addc_u32 s27, s23, s29
	s_lshl_b64 s[10:11], s[2:3], 4
	s_add_u32 s38, s4, s28
	s_addc_u32 s39, s5, s29
	;; [unrolled: 3-line block ×4, first 2 shown]
	s_lshl_b64 s[34:35], s[2:3], 2
	s_add_u32 s44, s9, s34
	v_subb_co_u32_e32 v34, vcc, v9, v4, vcc
	s_addc_u32 s45, s27, s35
	v_add_co_u32_e32 v4, vcc, s30, v2
	s_add_u32 s30, s30, s2
	v_mov_b32_e32 v5, s31
	s_addc_u32 s31, s31, s3
	v_ashrrev_i32_e32 v3, 31, v2
	s_add_u32 s46, s38, s34
	v_addc_co_u32_e32 v5, vcc, v5, v3, vcc
	s_addc_u32 s47, s39, s35
	v_lshlrev_b64 v[4:5], 2, v[4:5]
	s_add_u32 s34, s28, s34
	s_mul_hi_i32 s36, s20, 12
	s_mul_i32 s37, s20, 12
	s_addc_u32 s35, s29, s35
	v_mov_b32_e32 v8, s36
	v_add_co_u32_e32 v15, vcc, s37, v4
	s_add_u32 s48, s34, s12
	v_addc_co_u32_e32 v16, vcc, v8, v5, vcc
	s_addc_u32 s49, s35, s13
	v_mov_b32_e32 v9, s31
	v_add_co_u32_e32 v8, vcc, s30, v2
	s_add_u32 s50, s34, s14
	v_addc_co_u32_e32 v9, vcc, v9, v3, vcc
	s_addc_u32 s51, s35, s15
	s_lshl_b64 s[30:31], s[2:3], 3
	v_lshlrev_b64 v[8:9], 2, v[8:9]
	s_add_u32 s52, s9, s30
	s_addc_u32 s53, s27, s31
	v_add_co_u32_e32 v17, vcc, s37, v8
	s_add_u32 s37, s37, s30
	v_mov_b32_e32 v12, s36
	s_addc_u32 s36, s36, s31
	s_add_u32 s30, s30, s28
	s_addc_u32 s31, s31, s29
	v_addc_co_u32_e32 v19, vcc, v12, v9, vcc
	v_mov_b32_e32 v12, s36
	s_add_u32 s36, s30, s4
	s_addc_u32 s54, s31, s5
	s_add_u32 s55, s30, s12
	s_addc_u32 s56, s31, s13
	;; [unrolled: 2-line block ×3, first 2 shown]
	s_mul_i32 s59, s20, 0xc0
	s_mul_hi_i32 s60, s2, 12
	s_add_u32 s59, s59, s22
	s_addc_u32 s60, s60, s23
	s_add_u32 s20, s20, s2
	v_mad_u64_u32 v[8:9], s[22:23], s20, 12, v[4:5]
	v_add_co_u32_e32 v20, vcc, s37, v4
	s_addc_u32 s3, s21, s3
	v_addc_co_u32_e32 v21, vcc, v12, v5, vcc
	v_mad_u64_u32 v[12:13], s[20:21], s3, 12, v[9:10]
	v_add_co_u32_e32 v35, vcc, v10, v8
	v_mad_i64_i32 v[8:9], s[2:3], s2, 12, v[4:5]
	v_addc_co_u32_e32 v36, vcc, v11, v12, vcc
	v_mov_b32_e32 v13, s60
	v_add_co_u32_e32 v4, vcc, s59, v4
	v_addc_co_u32_e32 v5, vcc, v13, v5, vcc
	v_mov_b32_e32 v12, s5
	v_add_co_u32_e32 v13, vcc, s4, v8
	;; [unrolled: 3-line block ×4, first 2 shown]
	v_addc_co_u32_e32 v24, vcc, v9, v24, vcc
	v_add_co_u32_e32 v37, vcc, v10, v8
	v_addc_co_u32_e32 v38, vcc, v11, v9, vcc
	v_mov_b32_e32 v8, s29
	v_add_co_u32_e32 v39, vcc, s28, v10
	v_addc_co_u32_e32 v40, vcc, v11, v8, vcc
	v_mov_b32_e32 v8, s27
	v_add_co_u32_e32 v41, vcc, s9, v10
	v_addc_co_u32_e32 v42, vcc, v11, v8, vcc
	v_add_co_u32_e32 v43, vcc, v10, v15
	v_addc_co_u32_e32 v44, vcc, v11, v16, vcc
	v_mov_b32_e32 v8, s39
	v_add_co_u32_e32 v45, vcc, s38, v10
	v_addc_co_u32_e32 v46, vcc, v11, v8, vcc
	v_mov_b32_e32 v8, s41
	;; [unrolled: 3-line block ×4, first 2 shown]
	v_add_co_u32_e32 v51, vcc, s44, v10
	v_addc_co_u32_e32 v52, vcc, v11, v8, vcc
	v_add_co_u32_e32 v53, vcc, v10, v17
	v_addc_co_u32_e32 v54, vcc, v11, v19, vcc
	v_mov_b32_e32 v8, s47
	v_add_co_u32_e32 v55, vcc, s46, v10
	v_addc_co_u32_e32 v56, vcc, v11, v8, vcc
	v_mov_b32_e32 v8, s35
	;; [unrolled: 3-line block ×5, first 2 shown]
	v_add_co_u32_e32 v63, vcc, s52, v10
	v_addc_co_u32_e32 v64, vcc, v11, v8, vcc
	v_add_co_u32_e32 v65, vcc, v10, v20
	v_addc_co_u32_e32 v66, vcc, v11, v21, vcc
	v_mov_b32_e32 v8, s54
	v_add_co_u32_e32 v67, vcc, s36, v10
	v_addc_co_u32_e32 v68, vcc, v11, v8, vcc
	v_mov_b32_e32 v8, s31
	;; [unrolled: 3-line block ×4, first 2 shown]
	v_add_co_u32_e32 v73, vcc, s57, v10
	v_addc_co_u32_e32 v74, vcc, v11, v8, vcc
	v_add_co_u32_e32 v75, vcc, v10, v4
	v_addc_co_u32_e32 v76, vcc, v11, v5, vcc
	;; [unrolled: 2-line block ×4, first 2 shown]
	v_add_co_u32_e32 v81, vcc, v10, v25
	v_lshlrev_b64 v[2:3], 2, v[2:3]
	v_addc_co_u32_e32 v82, vcc, v11, v24, vcc
	v_sub_co_u32_e32 v83, vcc, v2, v6
	v_lshrrev_b32_e32 v2, 2, v14
	v_subb_co_u32_e32 v84, vcc, v3, v7, vcc
	s_movk_i32 s2, 0x10c
	v_and_b32_e32 v2, 0x1ffc, v2
	v_and_b32_e32 v3, 15, v0
	v_mad_u32_u24 v87, v3, s2, v2
	v_and_b32_e32 v2, 48, v0
	v_lshlrev_b32_e32 v2, 2, v2
	v_mad_u32_u24 v88, v3, s2, v2
	v_or_b32_e32 v2, 60, v31
	v_mad_u32_u24 v89, v3, s2, v2
	v_mul_u32_u24_e32 v2, 0x10c, v3
	v_and_b32_e32 v3, 0x7ff0, v14
	v_sub_co_u32_e32 v85, vcc, 0, v6
	v_add_u32_e32 v90, v2, v3
	v_mov_b32_e32 v2, 0x10c0
	s_movk_i32 s4, 0x430
	v_subb_co_u32_e32 v86, vcc, 0, v7, vcc
	v_cmp_gt_u32_e64 s[2:3], 64, v14
	v_lshl_add_u32 v91, v1, 4, v2
	v_add_u32_e32 v92, 0x10c0, v31
	v_add_u32_e32 v93, 0x11c0, v31
	v_mad_u32_u24 v94, v1, s4, v31
	v_or_b32_e32 v95, 1, v32
	v_or_b32_e32 v96, 2, v32
	;; [unrolled: 1-line block ×3, first 2 shown]
	v_add_u32_e32 v98, 16, v32
	v_add_u32_e32 v99, 17, v32
	;; [unrolled: 1-line block ×13, first 2 shown]
	s_cmp_eq_u32 s24, s6
	s_cselect_b32 s20, s33, 0
	s_and_saveexec_b64 s[4:5], s[0:1]
	s_cbranch_execz .LBB137_78
	s_branch .LBB137_75
.LBB137_74:                             ;   in Loop: Header=BB137_78 Depth=1
	s_mov_b32 s6, s4
	s_cmp_eq_u32 s24, s6
	s_cselect_b32 s20, s33, 0
	s_and_saveexec_b64 s[4:5], s[0:1]
	s_cbranch_execz .LBB137_78
.LBB137_75:
	s_cmp_eq_u32 s20, 0
	s_cselect_b64 s[12:13], -1, 0
	v_cmp_gt_i32_e32 vcc, s20, v0
	s_or_b64 s[14:15], s[12:13], vcc
	v_mov_b32_e32 v2, 0
	s_and_saveexec_b64 s[12:13], s[14:15]
	s_cbranch_execz .LBB137_77
; %bb.76:
	s_ashr_i32 s9, s8, 31
	s_lshl_b64 s[14:15], s[8:9], 2
	v_mov_b32_e32 v3, s15
	v_add_co_u32_e32 v2, vcc, s14, v33
	v_addc_co_u32_e32 v3, vcc, v34, v3, vcc
	flat_load_dword v2, v[2:3]
.LBB137_77:
	s_or_b64 exec, exec, s[12:13]
	s_waitcnt vmcnt(0) lgkmcnt(0)
	ds_write_b32 v92, v2
.LBB137_78:                             ; =>This Inner Loop Header: Depth=1
	s_or_b64 exec, exec, s[4:5]
	s_cmp_eq_u32 s20, 0
	v_add_co_u32_e32 v2, vcc, v39, v83
	s_cselect_b64 s[12:13], -1, 0
	s_cmp_lg_u32 s20, 0
	v_addc_co_u32_e32 v3, vcc, v40, v84, vcc
	s_cselect_b64 s[14:15], -1, 0
	s_mov_b64 s[4:5], -1
	s_and_b64 vcc, exec, s[14:15]
	s_waitcnt lgkmcnt(0)
	s_barrier
                                        ; implicit-def: $vgpr113
                                        ; implicit-def: $vgpr112
                                        ; implicit-def: $vgpr111
                                        ; implicit-def: $vgpr110
	s_cbranch_vccz .LBB137_88
; %bb.79:                               ;   in Loop: Header=BB137_78 Depth=1
	v_cmp_gt_i32_e32 vcc, s20, v32
	v_mov_b32_e32 v111, 0
	v_mov_b32_e32 v110, 0
	s_and_saveexec_b64 s[4:5], vcc
	s_cbranch_execz .LBB137_81
; %bb.80:                               ;   in Loop: Header=BB137_78 Depth=1
	flat_load_dword v110, v[2:3]
.LBB137_81:                             ;   in Loop: Header=BB137_78 Depth=1
	s_or_b64 exec, exec, s[4:5]
	v_cmp_gt_i32_e32 vcc, s20, v95
	s_and_saveexec_b64 s[4:5], vcc
	s_cbranch_execz .LBB137_83
; %bb.82:                               ;   in Loop: Header=BB137_78 Depth=1
	v_add_co_u32_e32 v4, vcc, v45, v83
	v_addc_co_u32_e32 v5, vcc, v46, v84, vcc
	flat_load_dword v111, v[4:5]
.LBB137_83:                             ;   in Loop: Header=BB137_78 Depth=1
	s_or_b64 exec, exec, s[4:5]
	v_cmp_gt_i32_e32 vcc, s20, v96
	v_mov_b32_e32 v113, 0
	v_mov_b32_e32 v112, 0
	s_and_saveexec_b64 s[4:5], vcc
	s_cbranch_execz .LBB137_85
; %bb.84:                               ;   in Loop: Header=BB137_78 Depth=1
	v_add_co_u32_e32 v4, vcc, v47, v83
	v_addc_co_u32_e32 v5, vcc, v48, v84, vcc
	flat_load_dword v112, v[4:5]
.LBB137_85:                             ;   in Loop: Header=BB137_78 Depth=1
	s_or_b64 exec, exec, s[4:5]
	v_cmp_gt_i32_e32 vcc, s20, v97
	s_and_saveexec_b64 s[4:5], vcc
	s_cbranch_execz .LBB137_87
; %bb.86:                               ;   in Loop: Header=BB137_78 Depth=1
	v_add_co_u32_e32 v4, vcc, v49, v83
	v_addc_co_u32_e32 v5, vcc, v50, v84, vcc
	flat_load_dword v113, v[4:5]
.LBB137_87:                             ;   in Loop: Header=BB137_78 Depth=1
	s_or_b64 exec, exec, s[4:5]
	s_mov_b64 s[4:5], 0
.LBB137_88:                             ;   in Loop: Header=BB137_78 Depth=1
	s_and_b64 vcc, exec, s[4:5]
	s_cbranch_vccz .LBB137_90
; %bb.89:                               ;   in Loop: Header=BB137_78 Depth=1
	s_waitcnt vmcnt(0) lgkmcnt(0)
	flat_load_dword v110, v[2:3]
	v_add_co_u32_e32 v2, vcc, v45, v83
	v_addc_co_u32_e32 v3, vcc, v46, v84, vcc
	flat_load_dword v111, v[2:3]
	v_add_co_u32_e32 v2, vcc, v41, v83
	v_addc_co_u32_e32 v3, vcc, v42, v84, vcc
	;; [unrolled: 3-line block ×3, first 2 shown]
	flat_load_dword v113, v[2:3]
.LBB137_90:                             ;   in Loop: Header=BB137_78 Depth=1
	ds_read_b32 v6, v93
	ds_read_b128 v[2:5], v91
                                        ; implicit-def: $vgpr117
                                        ; implicit-def: $vgpr116
                                        ; implicit-def: $vgpr115
                                        ; implicit-def: $vgpr114
	s_waitcnt vmcnt(0) lgkmcnt(0)
	v_mul_f32_e32 v7, v110, v6
	v_mul_f32_e32 v8, v111, v6
	;; [unrolled: 1-line block ×4, first 2 shown]
	ds_write2_b32 v94, v7, v8 offset1:67
	ds_write2_b32 v94, v9, v6 offset0:134 offset1:201
	s_waitcnt lgkmcnt(0)
	s_barrier
	ds_read2_b32 v[22:23], v90 offset1:1
	ds_read2_b32 v[20:21], v90 offset0:2 offset1:3
	v_add_co_u32_e32 v6, vcc, v57, v83
	v_addc_co_u32_e32 v7, vcc, v58, v84, vcc
	v_cndmask_b32_e64 v8, 0, 1, s[14:15]
	v_cmp_ne_u32_e64 s[4:5], 1, v8
	s_andn2_b64 vcc, exec, s[14:15]
	s_mov_b64 s[14:15], -1
	s_waitcnt lgkmcnt(0)
	s_barrier
	s_cbranch_vccnz .LBB137_100
; %bb.91:                               ;   in Loop: Header=BB137_78 Depth=1
	v_cmp_gt_i32_e32 vcc, s20, v98
	v_mov_b32_e32 v115, 0
	v_mov_b32_e32 v114, 0
	s_and_saveexec_b64 s[14:15], vcc
	s_cbranch_execz .LBB137_93
; %bb.92:                               ;   in Loop: Header=BB137_78 Depth=1
	flat_load_dword v114, v[6:7]
.LBB137_93:                             ;   in Loop: Header=BB137_78 Depth=1
	s_or_b64 exec, exec, s[14:15]
	v_cmp_gt_i32_e32 vcc, s20, v99
	s_and_saveexec_b64 s[14:15], vcc
	s_cbranch_execz .LBB137_95
; %bb.94:                               ;   in Loop: Header=BB137_78 Depth=1
	v_add_co_u32_e32 v8, vcc, v55, v83
	v_addc_co_u32_e32 v9, vcc, v56, v84, vcc
	flat_load_dword v115, v[8:9]
.LBB137_95:                             ;   in Loop: Header=BB137_78 Depth=1
	s_or_b64 exec, exec, s[14:15]
	v_cmp_gt_i32_e32 vcc, s20, v100
	v_mov_b32_e32 v117, 0
	v_mov_b32_e32 v116, 0
	s_and_saveexec_b64 s[14:15], vcc
	s_cbranch_execz .LBB137_97
; %bb.96:                               ;   in Loop: Header=BB137_78 Depth=1
	v_add_co_u32_e32 v8, vcc, v59, v83
	v_addc_co_u32_e32 v9, vcc, v60, v84, vcc
	flat_load_dword v116, v[8:9]
.LBB137_97:                             ;   in Loop: Header=BB137_78 Depth=1
	s_or_b64 exec, exec, s[14:15]
	v_cmp_gt_i32_e32 vcc, s20, v101
	s_and_saveexec_b64 s[14:15], vcc
	s_cbranch_execz .LBB137_99
; %bb.98:                               ;   in Loop: Header=BB137_78 Depth=1
	v_add_co_u32_e32 v8, vcc, v61, v83
	v_addc_co_u32_e32 v9, vcc, v62, v84, vcc
	flat_load_dword v117, v[8:9]
.LBB137_99:                             ;   in Loop: Header=BB137_78 Depth=1
	s_or_b64 exec, exec, s[14:15]
	s_mov_b64 s[14:15], 0
.LBB137_100:                            ;   in Loop: Header=BB137_78 Depth=1
	s_and_b64 vcc, exec, s[14:15]
	s_cbranch_vccz .LBB137_102
; %bb.101:                              ;   in Loop: Header=BB137_78 Depth=1
	s_waitcnt vmcnt(0) lgkmcnt(0)
	flat_load_dword v114, v[6:7]
	v_add_co_u32_e32 v6, vcc, v55, v83
	v_addc_co_u32_e32 v7, vcc, v56, v84, vcc
	flat_load_dword v115, v[6:7]
	v_add_co_u32_e32 v6, vcc, v51, v83
	v_addc_co_u32_e32 v7, vcc, v52, v84, vcc
	;; [unrolled: 3-line block ×3, first 2 shown]
	flat_load_dword v117, v[6:7]
.LBB137_102:                            ;   in Loop: Header=BB137_78 Depth=1
	ds_read_b32 v10, v93
	ds_read_b128 v[6:9], v91 offset:64
	s_mov_b64 s[14:15], -1
                                        ; implicit-def: $vgpr121
                                        ; implicit-def: $vgpr120
                                        ; implicit-def: $vgpr119
                                        ; implicit-def: $vgpr118
	s_waitcnt vmcnt(0) lgkmcnt(0)
	v_mul_f32_e32 v11, v114, v10
	v_mul_f32_e32 v12, v115, v10
	;; [unrolled: 1-line block ×4, first 2 shown]
	ds_write2_b32 v94, v11, v12 offset1:67
	ds_write2_b32 v94, v13, v10 offset0:134 offset1:201
	s_waitcnt lgkmcnt(0)
	s_barrier
	ds_read2_b32 v[16:17], v90 offset1:1
	ds_read2_b32 v[14:15], v90 offset0:2 offset1:3
	v_add_co_u32_e32 v10, vcc, v69, v83
	v_addc_co_u32_e32 v11, vcc, v70, v84, vcc
	s_and_b64 vcc, exec, s[4:5]
	s_waitcnt lgkmcnt(0)
	s_barrier
	s_cbranch_vccnz .LBB137_112
; %bb.103:                              ;   in Loop: Header=BB137_78 Depth=1
	v_cmp_gt_i32_e32 vcc, s20, v102
	v_mov_b32_e32 v119, 0
	v_mov_b32_e32 v118, 0
	s_and_saveexec_b64 s[14:15], vcc
	s_cbranch_execz .LBB137_105
; %bb.104:                              ;   in Loop: Header=BB137_78 Depth=1
	flat_load_dword v118, v[10:11]
.LBB137_105:                            ;   in Loop: Header=BB137_78 Depth=1
	s_or_b64 exec, exec, s[14:15]
	v_cmp_gt_i32_e32 vcc, s20, v103
	s_and_saveexec_b64 s[14:15], vcc
	s_cbranch_execz .LBB137_107
; %bb.106:                              ;   in Loop: Header=BB137_78 Depth=1
	v_add_co_u32_e32 v12, vcc, v67, v83
	v_addc_co_u32_e32 v13, vcc, v68, v84, vcc
	flat_load_dword v119, v[12:13]
.LBB137_107:                            ;   in Loop: Header=BB137_78 Depth=1
	s_or_b64 exec, exec, s[14:15]
	v_cmp_gt_i32_e32 vcc, s20, v104
	v_mov_b32_e32 v121, 0
	v_mov_b32_e32 v120, 0
	s_and_saveexec_b64 s[14:15], vcc
	s_cbranch_execz .LBB137_109
; %bb.108:                              ;   in Loop: Header=BB137_78 Depth=1
	v_add_co_u32_e32 v12, vcc, v71, v83
	v_addc_co_u32_e32 v13, vcc, v72, v84, vcc
	flat_load_dword v120, v[12:13]
.LBB137_109:                            ;   in Loop: Header=BB137_78 Depth=1
	s_or_b64 exec, exec, s[14:15]
	v_cmp_gt_i32_e32 vcc, s20, v105
	s_and_saveexec_b64 s[14:15], vcc
	s_cbranch_execz .LBB137_111
; %bb.110:                              ;   in Loop: Header=BB137_78 Depth=1
	v_add_co_u32_e32 v12, vcc, v73, v83
	v_addc_co_u32_e32 v13, vcc, v74, v84, vcc
	flat_load_dword v121, v[12:13]
.LBB137_111:                            ;   in Loop: Header=BB137_78 Depth=1
	s_or_b64 exec, exec, s[14:15]
	s_mov_b64 s[14:15], 0
.LBB137_112:                            ;   in Loop: Header=BB137_78 Depth=1
	s_and_b64 vcc, exec, s[14:15]
	s_cbranch_vccz .LBB137_114
; %bb.113:                              ;   in Loop: Header=BB137_78 Depth=1
	s_waitcnt vmcnt(0) lgkmcnt(0)
	flat_load_dword v118, v[10:11]
	v_add_co_u32_e32 v10, vcc, v67, v83
	v_addc_co_u32_e32 v11, vcc, v68, v84, vcc
	flat_load_dword v119, v[10:11]
	v_add_co_u32_e32 v10, vcc, v63, v83
	v_addc_co_u32_e32 v11, vcc, v64, v84, vcc
	flat_load_dword v120, v[10:11]
	v_add_co_u32_e32 v10, vcc, v65, v85
	v_addc_co_u32_e32 v11, vcc, v66, v86, vcc
	flat_load_dword v121, v[10:11]
.LBB137_114:                            ;   in Loop: Header=BB137_78 Depth=1
	ds_read_b32 v24, v93
	ds_read_b128 v[10:13], v91 offset:128
	v_add_co_u32_e32 v28, vcc, v37, v85
	v_addc_co_u32_e32 v29, vcc, v38, v86, vcc
	s_waitcnt vmcnt(0) lgkmcnt(0)
	v_mul_f32_e32 v25, v118, v24
	v_mul_f32_e32 v26, v119, v24
	;; [unrolled: 1-line block ×4, first 2 shown]
	ds_write2_b32 v94, v25, v26 offset1:67
	ds_write2_b32 v94, v27, v24 offset0:134 offset1:201
	s_waitcnt lgkmcnt(0)
	s_barrier
	ds_read2_b32 v[26:27], v90 offset1:1
	ds_read2_b32 v[24:25], v90 offset0:2 offset1:3
	s_and_b64 vcc, exec, s[4:5]
	s_mov_b64 s[4:5], -1
	s_waitcnt lgkmcnt(0)
	s_barrier
                                        ; implicit-def: $vgpr125
                                        ; implicit-def: $vgpr124
                                        ; implicit-def: $vgpr123
                                        ; implicit-def: $vgpr122
	s_cbranch_vccnz .LBB137_124
; %bb.115:                              ;   in Loop: Header=BB137_78 Depth=1
	v_cmp_gt_i32_e32 vcc, s20, v106
	v_mov_b32_e32 v123, 0
	v_mov_b32_e32 v122, 0
	s_and_saveexec_b64 s[4:5], vcc
	s_cbranch_execz .LBB137_117
; %bb.116:                              ;   in Loop: Header=BB137_78 Depth=1
	flat_load_dword v122, v[28:29]
.LBB137_117:                            ;   in Loop: Header=BB137_78 Depth=1
	s_or_b64 exec, exec, s[4:5]
	v_cmp_gt_i32_e32 vcc, s20, v107
	s_and_saveexec_b64 s[4:5], vcc
	s_cbranch_execz .LBB137_119
; %bb.118:                              ;   in Loop: Header=BB137_78 Depth=1
	v_add_co_u32_e32 v123, vcc, v77, v85
	v_addc_co_u32_e32 v124, vcc, v78, v86, vcc
	flat_load_dword v123, v[123:124]
.LBB137_119:                            ;   in Loop: Header=BB137_78 Depth=1
	s_or_b64 exec, exec, s[4:5]
	v_cmp_gt_i32_e32 vcc, s20, v108
	v_mov_b32_e32 v125, 0
	v_mov_b32_e32 v124, 0
	s_and_saveexec_b64 s[4:5], vcc
	s_cbranch_execz .LBB137_121
; %bb.120:                              ;   in Loop: Header=BB137_78 Depth=1
	v_add_co_u32_e32 v126, vcc, v79, v85
	v_addc_co_u32_e32 v127, vcc, v80, v86, vcc
	flat_load_dword v124, v[126:127]
.LBB137_121:                            ;   in Loop: Header=BB137_78 Depth=1
	s_or_b64 exec, exec, s[4:5]
	v_cmp_gt_i32_e32 vcc, s20, v109
	s_and_saveexec_b64 s[4:5], vcc
	s_cbranch_execz .LBB137_123
; %bb.122:                              ;   in Loop: Header=BB137_78 Depth=1
	v_add_co_u32_e32 v125, vcc, v81, v85
	v_addc_co_u32_e32 v126, vcc, v82, v86, vcc
	flat_load_dword v125, v[125:126]
.LBB137_123:                            ;   in Loop: Header=BB137_78 Depth=1
	s_or_b64 exec, exec, s[4:5]
	s_mov_b64 s[4:5], 0
.LBB137_124:                            ;   in Loop: Header=BB137_78 Depth=1
	s_and_b64 vcc, exec, s[4:5]
	s_cbranch_vccz .LBB137_126
; %bb.125:                              ;   in Loop: Header=BB137_78 Depth=1
	s_waitcnt vmcnt(0) lgkmcnt(0)
	flat_load_dword v122, v[28:29]
	v_add_co_u32_e32 v28, vcc, v77, v85
	v_addc_co_u32_e32 v29, vcc, v78, v86, vcc
	flat_load_dword v123, v[28:29]
	v_add_co_u32_e32 v28, vcc, v75, v85
	v_addc_co_u32_e32 v29, vcc, v76, v86, vcc
	;; [unrolled: 3-line block ×3, first 2 shown]
	flat_load_dword v125, v[28:29]
.LBB137_126:                            ;   in Loop: Header=BB137_78 Depth=1
	v_add_f32_e32 v26, 0, v26
	v_add_f32_e32 v26, v26, v27
	;; [unrolled: 1-line block ×4, first 2 shown]
	ds_read_b32 v24, v93
	v_add_f32_e32 v16, 0, v16
	v_add_f32_e32 v16, v16, v17
	;; [unrolled: 1-line block ×4, first 2 shown]
	ds_read_b128 v[14:17], v91 offset:192
	s_waitcnt vmcnt(0) lgkmcnt(0)
	v_mul_f32_e32 v25, v122, v24
	v_mul_f32_e32 v28, v123, v24
	ds_write2_b32 v94, v25, v28 offset1:67
	v_mul_f32_e32 v25, v124, v24
	v_mul_f32_e32 v24, v125, v24
	ds_write2_b32 v94, v25, v24 offset0:134 offset1:201
	s_waitcnt lgkmcnt(0)
	s_barrier
	ds_read2_b32 v[24:25], v90 offset1:1
	v_add_f32_e32 v22, 0, v22
	v_add_f32_e32 v28, v22, v23
	ds_read2_b32 v[22:23], v90 offset0:2 offset1:3
	v_add_f32_e32 v20, v28, v20
	v_add_f32_e32 v20, v20, v21
	s_waitcnt lgkmcnt(1)
	v_add_f32_e32 v21, 0, v24
	v_cmp_gt_i32_e32 vcc, s20, v0
	v_add_f32_e32 v21, v21, v25
	s_or_b64 s[4:5], s[12:13], vcc
	s_waitcnt lgkmcnt(0)
	v_add_f32_e32 v21, v21, v22
	s_and_b64 s[12:13], s[2:3], s[4:5]
	v_add_f32_e32 v21, v21, v23
	s_barrier
	ds_write2_b32 v87, v20, v27 offset1:16
	ds_write2_b32 v87, v26, v21 offset0:32 offset1:48
	s_waitcnt lgkmcnt(0)
	s_barrier
	s_and_saveexec_b64 s[4:5], s[12:13]
	s_cbranch_execz .LBB137_128
; %bb.127:                              ;   in Loop: Header=BB137_78 Depth=1
	ds_read2_b32 v[20:21], v88 offset1:1
	ds_read2_b32 v[22:23], v88 offset0:2 offset1:3
	ds_read2_b32 v[24:25], v88 offset0:4 offset1:5
	;; [unrolled: 1-line block ×4, first 2 shown]
	s_waitcnt lgkmcnt(4)
	v_add_f32_e32 v20, v20, v21
	s_waitcnt lgkmcnt(3)
	v_add_f32_e32 v20, v20, v22
	v_add_f32_e32 v20, v20, v23
	s_waitcnt lgkmcnt(2)
	v_add_f32_e32 v20, v20, v24
	;; [unrolled: 3-line block ×3, first 2 shown]
	v_add_f32_e32 v24, v20, v27
	ds_read2_b32 v[20:21], v88 offset0:10 offset1:11
	ds_read2_b32 v[22:23], v88 offset0:12 offset1:13
	ds_read_b32 v25, v88 offset:56
	s_waitcnt lgkmcnt(3)
	v_add_f32_e32 v24, v24, v28
	v_add_f32_e32 v24, v24, v29
	s_waitcnt lgkmcnt(2)
	v_add_f32_e32 v20, v24, v20
	ds_read_b32 v24, v89
	v_add_f32_e32 v20, v20, v21
	s_waitcnt lgkmcnt(2)
	v_add_f32_e32 v20, v20, v22
	v_add_f32_e32 v20, v20, v23
	s_waitcnt lgkmcnt(1)
	v_add_f32_e32 v20, v20, v25
	s_waitcnt lgkmcnt(0)
	v_add_f32_e32 v22, v20, v24
	v_ashrrev_i32_e32 v20, 31, v19
	v_lshlrev_b64 v[20:21], 2, v[19:20]
	v_mov_b32_e32 v23, s25
	v_add_co_u32_e32 v20, vcc, s17, v20
	v_addc_co_u32_e32 v21, vcc, v23, v21, vcc
	global_store_dword v[20:21], v22, off
.LBB137_128:                            ;   in Loop: Header=BB137_78 Depth=1
	s_or_b64 exec, exec, s[4:5]
	v_fmac_f32_e32 v30, v110, v2
	v_mov_b32_e32 v2, s11
	v_add_co_u32_e32 v41, vcc, s10, v41
	v_addc_co_u32_e32 v42, vcc, v42, v2, vcc
	v_add_co_u32_e32 v43, vcc, s10, v43
	v_addc_co_u32_e32 v44, vcc, v44, v2, vcc
	;; [unrolled: 2-line block ×16, first 2 shown]
	v_add_co_u32_e32 v71, vcc, s10, v71
	v_fmac_f32_e32 v30, v111, v3
	v_addc_co_u32_e32 v72, vcc, v72, v2, vcc
	v_fmac_f32_e32 v30, v112, v4
	v_add_co_u32_e32 v73, vcc, s10, v73
	v_fmac_f32_e32 v30, v113, v5
	v_addc_co_u32_e32 v74, vcc, v74, v2, vcc
	v_fmac_f32_e32 v30, v114, v6
	v_add_co_u32_e32 v75, vcc, s10, v75
	v_fmac_f32_e32 v30, v115, v7
	v_addc_co_u32_e32 v76, vcc, v76, v2, vcc
	v_fmac_f32_e32 v30, v116, v8
	v_add_co_u32_e32 v35, vcc, s10, v35
	v_fmac_f32_e32 v30, v117, v9
	v_addc_co_u32_e32 v36, vcc, v36, v2, vcc
	v_fmac_f32_e32 v30, v118, v10
	v_add_co_u32_e32 v77, vcc, s10, v77
	v_fmac_f32_e32 v30, v119, v11
	v_addc_co_u32_e32 v78, vcc, v78, v2, vcc
	v_fmac_f32_e32 v30, v120, v12
	v_add_co_u32_e32 v37, vcc, s10, v37
	v_fmac_f32_e32 v30, v121, v13
	v_addc_co_u32_e32 v38, vcc, v38, v2, vcc
	v_fmac_f32_e32 v30, v122, v14
	v_add_co_u32_e32 v79, vcc, s10, v79
	v_fmac_f32_e32 v30, v123, v15
	v_addc_co_u32_e32 v80, vcc, v80, v2, vcc
	v_fmac_f32_e32 v30, v124, v16
	s_add_i32 s4, s6, 1
	s_add_i32 s8, s8, s26
	;; [unrolled: 1-line block ×3, first 2 shown]
	v_add_co_u32_e32 v81, vcc, s10, v81
	v_fmac_f32_e32 v30, v125, v17
	v_add_u32_e32 v19, 64, v19
	s_cmp_ge_u32 s5, s7
	v_addc_co_u32_e32 v82, vcc, v82, v2, vcc
	s_waitcnt vmcnt(0)
	s_barrier
	s_cbranch_scc0 .LBB137_74
.LBB137_129:
	s_movk_i32 s2, 0x10c
	v_cmp_gt_i32_e32 vcc, s16, v0
	v_mad_u32_u24 v1, v1, s2, v31
	s_or_b64 s[2:3], s[18:19], vcc
	s_and_b64 s[0:1], s[0:1], s[2:3]
	ds_write_b32 v1, v30
	s_waitcnt lgkmcnt(0)
	s_barrier
	s_and_saveexec_b64 s[2:3], s[0:1]
	s_cbranch_execz .LBB137_4
; %bb.130:
	ds_read2_b32 v[0:1], v31 offset1:67
	ds_read2_b32 v[2:3], v31 offset0:134 offset1:201
	v_ashrrev_i32_e32 v19, 31, v18
	v_lshlrev_b64 v[4:5], 2, v[18:19]
	v_mov_b32_e32 v6, s25
	s_waitcnt lgkmcnt(1)
	v_add_f32_e32 v0, v0, v1
	s_waitcnt lgkmcnt(0)
	v_add_f32_e32 v0, v0, v2
	v_add_f32_e32 v2, v0, v3
	v_add_co_u32_e32 v0, vcc, s17, v4
	v_addc_co_u32_e32 v1, vcc, v6, v5, vcc
	global_store_dword v[0:1], v2, off
	s_endpgm
	.section	.rodata,"a",@progbits
	.p2align	6, 0x0
	.amdhsa_kernel _ZL26rocblas_hemvn_kernel_upperILb0ELi64ELi4ELi33ELi32ELi16EiPKfPKS1_PfEviT6_lT7_lT5_lS6_lS7_lS5_lT8_i
		.amdhsa_group_segment_fixed_size 4800
		.amdhsa_private_segment_fixed_size 0
		.amdhsa_kernarg_size 376
		.amdhsa_user_sgpr_count 6
		.amdhsa_user_sgpr_private_segment_buffer 1
		.amdhsa_user_sgpr_dispatch_ptr 0
		.amdhsa_user_sgpr_queue_ptr 0
		.amdhsa_user_sgpr_kernarg_segment_ptr 1
		.amdhsa_user_sgpr_dispatch_id 0
		.amdhsa_user_sgpr_flat_scratch_init 0
		.amdhsa_user_sgpr_private_segment_size 0
		.amdhsa_uses_dynamic_stack 0
		.amdhsa_system_sgpr_private_segment_wavefront_offset 0
		.amdhsa_system_sgpr_workgroup_id_x 1
		.amdhsa_system_sgpr_workgroup_id_y 0
		.amdhsa_system_sgpr_workgroup_id_z 1
		.amdhsa_system_sgpr_workgroup_info 0
		.amdhsa_system_vgpr_workitem_id 1
		.amdhsa_next_free_vgpr 128
		.amdhsa_next_free_sgpr 61
		.amdhsa_reserve_vcc 1
		.amdhsa_reserve_flat_scratch 0
		.amdhsa_float_round_mode_32 0
		.amdhsa_float_round_mode_16_64 0
		.amdhsa_float_denorm_mode_32 3
		.amdhsa_float_denorm_mode_16_64 3
		.amdhsa_dx10_clamp 1
		.amdhsa_ieee_mode 1
		.amdhsa_fp16_overflow 0
		.amdhsa_exception_fp_ieee_invalid_op 0
		.amdhsa_exception_fp_denorm_src 0
		.amdhsa_exception_fp_ieee_div_zero 0
		.amdhsa_exception_fp_ieee_overflow 0
		.amdhsa_exception_fp_ieee_underflow 0
		.amdhsa_exception_fp_ieee_inexact 0
		.amdhsa_exception_int_div_zero 0
	.end_amdhsa_kernel
	.section	.text._ZL26rocblas_hemvn_kernel_upperILb0ELi64ELi4ELi33ELi32ELi16EiPKfPKS1_PfEviT6_lT7_lT5_lS6_lS7_lS5_lT8_i,"axG",@progbits,_ZL26rocblas_hemvn_kernel_upperILb0ELi64ELi4ELi33ELi32ELi16EiPKfPKS1_PfEviT6_lT7_lT5_lS6_lS7_lS5_lT8_i,comdat
.Lfunc_end137:
	.size	_ZL26rocblas_hemvn_kernel_upperILb0ELi64ELi4ELi33ELi32ELi16EiPKfPKS1_PfEviT6_lT7_lT5_lS6_lS7_lS5_lT8_i, .Lfunc_end137-_ZL26rocblas_hemvn_kernel_upperILb0ELi64ELi4ELi33ELi32ELi16EiPKfPKS1_PfEviT6_lT7_lT5_lS6_lS7_lS5_lT8_i
                                        ; -- End function
	.set _ZL26rocblas_hemvn_kernel_upperILb0ELi64ELi4ELi33ELi32ELi16EiPKfPKS1_PfEviT6_lT7_lT5_lS6_lS7_lS5_lT8_i.num_vgpr, 128
	.set _ZL26rocblas_hemvn_kernel_upperILb0ELi64ELi4ELi33ELi32ELi16EiPKfPKS1_PfEviT6_lT7_lT5_lS6_lS7_lS5_lT8_i.num_agpr, 0
	.set _ZL26rocblas_hemvn_kernel_upperILb0ELi64ELi4ELi33ELi32ELi16EiPKfPKS1_PfEviT6_lT7_lT5_lS6_lS7_lS5_lT8_i.numbered_sgpr, 61
	.set _ZL26rocblas_hemvn_kernel_upperILb0ELi64ELi4ELi33ELi32ELi16EiPKfPKS1_PfEviT6_lT7_lT5_lS6_lS7_lS5_lT8_i.num_named_barrier, 0
	.set _ZL26rocblas_hemvn_kernel_upperILb0ELi64ELi4ELi33ELi32ELi16EiPKfPKS1_PfEviT6_lT7_lT5_lS6_lS7_lS5_lT8_i.private_seg_size, 0
	.set _ZL26rocblas_hemvn_kernel_upperILb0ELi64ELi4ELi33ELi32ELi16EiPKfPKS1_PfEviT6_lT7_lT5_lS6_lS7_lS5_lT8_i.uses_vcc, 1
	.set _ZL26rocblas_hemvn_kernel_upperILb0ELi64ELi4ELi33ELi32ELi16EiPKfPKS1_PfEviT6_lT7_lT5_lS6_lS7_lS5_lT8_i.uses_flat_scratch, 0
	.set _ZL26rocblas_hemvn_kernel_upperILb0ELi64ELi4ELi33ELi32ELi16EiPKfPKS1_PfEviT6_lT7_lT5_lS6_lS7_lS5_lT8_i.has_dyn_sized_stack, 0
	.set _ZL26rocblas_hemvn_kernel_upperILb0ELi64ELi4ELi33ELi32ELi16EiPKfPKS1_PfEviT6_lT7_lT5_lS6_lS7_lS5_lT8_i.has_recursion, 0
	.set _ZL26rocblas_hemvn_kernel_upperILb0ELi64ELi4ELi33ELi32ELi16EiPKfPKS1_PfEviT6_lT7_lT5_lS6_lS7_lS5_lT8_i.has_indirect_call, 0
	.section	.AMDGPU.csdata,"",@progbits
; Kernel info:
; codeLenInByte = 6748
; TotalNumSgprs: 65
; NumVgprs: 128
; ScratchSize: 0
; MemoryBound: 0
; FloatMode: 240
; IeeeMode: 1
; LDSByteSize: 4800 bytes/workgroup (compile time only)
; SGPRBlocks: 8
; VGPRBlocks: 31
; NumSGPRsForWavesPerEU: 65
; NumVGPRsForWavesPerEU: 128
; Occupancy: 2
; WaveLimiterHint : 1
; COMPUTE_PGM_RSRC2:SCRATCH_EN: 0
; COMPUTE_PGM_RSRC2:USER_SGPR: 6
; COMPUTE_PGM_RSRC2:TRAP_HANDLER: 0
; COMPUTE_PGM_RSRC2:TGID_X_EN: 1
; COMPUTE_PGM_RSRC2:TGID_Y_EN: 0
; COMPUTE_PGM_RSRC2:TGID_Z_EN: 1
; COMPUTE_PGM_RSRC2:TIDIG_COMP_CNT: 1
	.section	.text._ZL36rocblas_hemvn_kernel_upper_block_sumILi64EiPKfPKPffEviT1_lS5_lT2_lT0_lPT3_i,"axG",@progbits,_ZL36rocblas_hemvn_kernel_upper_block_sumILi64EiPKfPKPffEviT1_lS5_lT2_lT0_lPT3_i,comdat
	.globl	_ZL36rocblas_hemvn_kernel_upper_block_sumILi64EiPKfPKPffEviT1_lS5_lT2_lT0_lPT3_i ; -- Begin function _ZL36rocblas_hemvn_kernel_upper_block_sumILi64EiPKfPKPffEviT1_lS5_lT2_lT0_lPT3_i
	.p2align	8
	.type	_ZL36rocblas_hemvn_kernel_upper_block_sumILi64EiPKfPKPffEviT1_lS5_lT2_lT0_lPT3_i,@function
_ZL36rocblas_hemvn_kernel_upper_block_sumILi64EiPKfPKPffEviT1_lS5_lT2_lT0_lPT3_i: ; @_ZL36rocblas_hemvn_kernel_upper_block_sumILi64EiPKfPKPffEviT1_lS5_lT2_lT0_lPT3_i
; %bb.0:
	s_load_dwordx8 s[12:19], s[4:5], 0x8
	s_mov_b32 s8, s7
	s_waitcnt lgkmcnt(0)
	s_mul_i32 s0, s15, s7
	s_mul_hi_u32 s1, s14, s7
	s_add_i32 s1, s1, s0
	s_mul_i32 s0, s14, s7
	s_lshl_b64 s[0:1], s[0:1], 2
	s_add_u32 s0, s12, s0
	s_addc_u32 s1, s13, s1
	s_load_dword s7, s[0:1], 0x0
	s_mul_i32 s0, s19, s8
	s_mul_hi_u32 s1, s18, s8
	s_add_i32 s1, s1, s0
	s_mul_i32 s0, s18, s8
	s_lshl_b64 s[0:1], s[0:1], 2
	s_add_u32 s0, s16, s0
	s_addc_u32 s1, s17, s1
	s_load_dword s17, s[0:1], 0x0
	s_waitcnt lgkmcnt(0)
	v_cmp_eq_f32_e64 s[0:1], s7, 0
	v_cmp_eq_f32_e64 s[2:3], s17, 1.0
	s_and_b64 s[0:1], s[0:1], s[2:3]
	s_and_b64 vcc, exec, s[0:1]
	s_cbranch_vccnz .LBB138_19
; %bb.1:
	s_load_dwordx4 s[0:3], s[4:5], 0x28
	s_mov_b32 s9, 0
	s_lshl_b64 s[12:13], s[8:9], 3
	s_load_dword s18, s[4:5], 0x38
	s_load_dword s10, s[4:5], 0x0
	v_lshl_or_b32 v0, s6, 6, v0
	s_waitcnt lgkmcnt(0)
	s_add_u32 s0, s0, s12
	s_addc_u32 s1, s1, s13
	s_load_dwordx2 s[0:1], s[0:1], 0x0
	s_lshl_b64 s[2:3], s[2:3], 2
	v_cmp_neq_f32_e64 s[12:13], s7, 0
	s_waitcnt lgkmcnt(0)
	s_add_u32 s9, s0, s2
	s_addc_u32 s16, s1, s3
	s_and_b64 vcc, exec, s[12:13]
	v_cmp_gt_i32_e64 s[0:1], s10, v0
	s_cbranch_vccnz .LBB138_6
; %bb.2:
	s_mov_b64 s[12:13], 0
	s_mov_b64 s[2:3], 0
                                        ; implicit-def: $vgpr4
                                        ; implicit-def: $vgpr2_vgpr3
	s_and_saveexec_b64 s[14:15], s[0:1]
	s_cbranch_execz .LBB138_7
; %bb.3:
	v_mul_lo_u32 v2, s18, v0
	v_cmp_eq_f32_e64 s[0:1], s17, 0
	v_mov_b32_e32 v4, 0
	s_and_b64 vcc, exec, s[0:1]
	v_ashrrev_i32_e32 v3, 31, v2
	s_cbranch_vccnz .LBB138_5
; %bb.4:
	v_lshlrev_b64 v[4:5], 2, v[2:3]
	v_mov_b32_e32 v1, s16
	v_add_co_u32_e32 v4, vcc, s9, v4
	v_addc_co_u32_e32 v5, vcc, v1, v5, vcc
	flat_load_dword v1, v[4:5]
	s_waitcnt vmcnt(0) lgkmcnt(0)
	v_mul_f32_e32 v4, s17, v1
.LBB138_5:
	s_mov_b64 s[2:3], exec
	s_or_b64 exec, exec, s[14:15]
	s_and_b64 vcc, exec, s[12:13]
	s_cbranch_vccnz .LBB138_8
	s_branch .LBB138_17
.LBB138_6:
	s_mov_b64 s[2:3], 0
                                        ; implicit-def: $vgpr4
                                        ; implicit-def: $vgpr2_vgpr3
	s_cbranch_execnz .LBB138_8
	s_branch .LBB138_17
.LBB138_7:
	s_or_b64 exec, exec, s[14:15]
	s_and_b64 vcc, exec, s[12:13]
	s_cbranch_vccz .LBB138_17
.LBB138_8:
	v_cmp_gt_i32_e32 vcc, s10, v0
                                        ; implicit-def: $vgpr4
                                        ; implicit-def: $vgpr2_vgpr3
	s_and_saveexec_b64 s[0:1], vcc
	s_cbranch_execz .LBB138_16
; %bb.9:
	s_cmp_lt_i32 s6, 0
	v_mov_b32_e32 v1, 0
	s_cbranch_scc1 .LBB138_12
; %bb.10:
	s_load_dwordx2 s[12:13], s[4:5], 0x48
	s_load_dword s14, s[4:5], 0x58
	s_ashr_i32 s11, s10, 31
	s_mul_hi_u32 s4, s10, s8
	s_mul_i32 s5, s11, s8
	s_add_i32 s4, s4, s5
	s_mul_i32 s8, s10, s8
	s_waitcnt lgkmcnt(0)
	s_mul_i32 s4, s4, s14
	s_mul_hi_u32 s5, s8, s14
	s_add_i32 s5, s5, s4
	s_mul_i32 s4, s8, s14
	s_lshl_b64 s[4:5], s[4:5], 2
	v_mov_b32_e32 v1, 0
	s_add_u32 s4, s12, s4
	v_lshlrev_b64 v[2:3], 2, v[0:1]
	s_addc_u32 s5, s13, s5
	v_mov_b32_e32 v4, s5
	v_add_co_u32_e32 v2, vcc, s4, v2
	s_lshl_b64 s[4:5], s[10:11], 2
	v_addc_co_u32_e32 v3, vcc, v4, v3, vcc
	s_add_i32 s6, s6, 1
	v_mov_b32_e32 v4, s5
.LBB138_11:                             ; =>This Inner Loop Header: Depth=1
	global_load_dword v5, v[2:3], off
	s_add_i32 s6, s6, -1
	v_add_co_u32_e32 v2, vcc, s4, v2
	v_addc_co_u32_e32 v3, vcc, v3, v4, vcc
	s_cmp_eq_u32 s6, 0
	s_waitcnt vmcnt(0)
	v_add_f32_e32 v1, v1, v5
	s_cbranch_scc0 .LBB138_11
.LBB138_12:
	v_mul_lo_u32 v2, s18, v0
	v_cmp_eq_f32_e64 s[4:5], s17, 0
	s_and_b64 vcc, exec, s[4:5]
	v_ashrrev_i32_e32 v3, 31, v2
	s_cbranch_vccz .LBB138_20
; %bb.13:
	v_mul_f32_e32 v4, s7, v1
	s_cbranch_execnz .LBB138_15
.LBB138_14:
	v_lshlrev_b64 v[4:5], 2, v[2:3]
	v_mov_b32_e32 v0, s16
	v_add_co_u32_e32 v4, vcc, s9, v4
	v_addc_co_u32_e32 v5, vcc, v0, v5, vcc
	flat_load_dword v0, v[4:5]
	s_waitcnt vmcnt(0) lgkmcnt(0)
	v_mul_f32_e32 v4, s17, v0
	v_fmac_f32_e32 v4, s7, v1
.LBB138_15:
	s_or_b64 s[2:3], s[2:3], exec
.LBB138_16:
	s_or_b64 exec, exec, s[0:1]
.LBB138_17:
	s_and_saveexec_b64 s[0:1], s[2:3]
	s_cbranch_execz .LBB138_19
; %bb.18:
	v_lshlrev_b64 v[0:1], 2, v[2:3]
	v_mov_b32_e32 v2, s16
	v_add_co_u32_e32 v0, vcc, s9, v0
	v_addc_co_u32_e32 v1, vcc, v2, v1, vcc
	flat_store_dword v[0:1], v4
.LBB138_19:
	s_endpgm
.LBB138_20:
                                        ; implicit-def: $vgpr4
	s_branch .LBB138_14
	.section	.rodata,"a",@progbits
	.p2align	6, 0x0
	.amdhsa_kernel _ZL36rocblas_hemvn_kernel_upper_block_sumILi64EiPKfPKPffEviT1_lS5_lT2_lT0_lPT3_i
		.amdhsa_group_segment_fixed_size 0
		.amdhsa_private_segment_fixed_size 0
		.amdhsa_kernarg_size 344
		.amdhsa_user_sgpr_count 6
		.amdhsa_user_sgpr_private_segment_buffer 1
		.amdhsa_user_sgpr_dispatch_ptr 0
		.amdhsa_user_sgpr_queue_ptr 0
		.amdhsa_user_sgpr_kernarg_segment_ptr 1
		.amdhsa_user_sgpr_dispatch_id 0
		.amdhsa_user_sgpr_flat_scratch_init 0
		.amdhsa_user_sgpr_private_segment_size 0
		.amdhsa_uses_dynamic_stack 0
		.amdhsa_system_sgpr_private_segment_wavefront_offset 0
		.amdhsa_system_sgpr_workgroup_id_x 1
		.amdhsa_system_sgpr_workgroup_id_y 0
		.amdhsa_system_sgpr_workgroup_id_z 1
		.amdhsa_system_sgpr_workgroup_info 0
		.amdhsa_system_vgpr_workitem_id 0
		.amdhsa_next_free_vgpr 6
		.amdhsa_next_free_sgpr 20
		.amdhsa_reserve_vcc 1
		.amdhsa_reserve_flat_scratch 0
		.amdhsa_float_round_mode_32 0
		.amdhsa_float_round_mode_16_64 0
		.amdhsa_float_denorm_mode_32 3
		.amdhsa_float_denorm_mode_16_64 3
		.amdhsa_dx10_clamp 1
		.amdhsa_ieee_mode 1
		.amdhsa_fp16_overflow 0
		.amdhsa_exception_fp_ieee_invalid_op 0
		.amdhsa_exception_fp_denorm_src 0
		.amdhsa_exception_fp_ieee_div_zero 0
		.amdhsa_exception_fp_ieee_overflow 0
		.amdhsa_exception_fp_ieee_underflow 0
		.amdhsa_exception_fp_ieee_inexact 0
		.amdhsa_exception_int_div_zero 0
	.end_amdhsa_kernel
	.section	.text._ZL36rocblas_hemvn_kernel_upper_block_sumILi64EiPKfPKPffEviT1_lS5_lT2_lT0_lPT3_i,"axG",@progbits,_ZL36rocblas_hemvn_kernel_upper_block_sumILi64EiPKfPKPffEviT1_lS5_lT2_lT0_lPT3_i,comdat
.Lfunc_end138:
	.size	_ZL36rocblas_hemvn_kernel_upper_block_sumILi64EiPKfPKPffEviT1_lS5_lT2_lT0_lPT3_i, .Lfunc_end138-_ZL36rocblas_hemvn_kernel_upper_block_sumILi64EiPKfPKPffEviT1_lS5_lT2_lT0_lPT3_i
                                        ; -- End function
	.set _ZL36rocblas_hemvn_kernel_upper_block_sumILi64EiPKfPKPffEviT1_lS5_lT2_lT0_lPT3_i.num_vgpr, 6
	.set _ZL36rocblas_hemvn_kernel_upper_block_sumILi64EiPKfPKPffEviT1_lS5_lT2_lT0_lPT3_i.num_agpr, 0
	.set _ZL36rocblas_hemvn_kernel_upper_block_sumILi64EiPKfPKPffEviT1_lS5_lT2_lT0_lPT3_i.numbered_sgpr, 20
	.set _ZL36rocblas_hemvn_kernel_upper_block_sumILi64EiPKfPKPffEviT1_lS5_lT2_lT0_lPT3_i.num_named_barrier, 0
	.set _ZL36rocblas_hemvn_kernel_upper_block_sumILi64EiPKfPKPffEviT1_lS5_lT2_lT0_lPT3_i.private_seg_size, 0
	.set _ZL36rocblas_hemvn_kernel_upper_block_sumILi64EiPKfPKPffEviT1_lS5_lT2_lT0_lPT3_i.uses_vcc, 1
	.set _ZL36rocblas_hemvn_kernel_upper_block_sumILi64EiPKfPKPffEviT1_lS5_lT2_lT0_lPT3_i.uses_flat_scratch, 0
	.set _ZL36rocblas_hemvn_kernel_upper_block_sumILi64EiPKfPKPffEviT1_lS5_lT2_lT0_lPT3_i.has_dyn_sized_stack, 0
	.set _ZL36rocblas_hemvn_kernel_upper_block_sumILi64EiPKfPKPffEviT1_lS5_lT2_lT0_lPT3_i.has_recursion, 0
	.set _ZL36rocblas_hemvn_kernel_upper_block_sumILi64EiPKfPKPffEviT1_lS5_lT2_lT0_lPT3_i.has_indirect_call, 0
	.section	.AMDGPU.csdata,"",@progbits
; Kernel info:
; codeLenInByte = 640
; TotalNumSgprs: 24
; NumVgprs: 6
; ScratchSize: 0
; MemoryBound: 0
; FloatMode: 240
; IeeeMode: 1
; LDSByteSize: 0 bytes/workgroup (compile time only)
; SGPRBlocks: 2
; VGPRBlocks: 1
; NumSGPRsForWavesPerEU: 24
; NumVGPRsForWavesPerEU: 6
; Occupancy: 10
; WaveLimiterHint : 1
; COMPUTE_PGM_RSRC2:SCRATCH_EN: 0
; COMPUTE_PGM_RSRC2:USER_SGPR: 6
; COMPUTE_PGM_RSRC2:TRAP_HANDLER: 0
; COMPUTE_PGM_RSRC2:TGID_X_EN: 1
; COMPUTE_PGM_RSRC2:TGID_Y_EN: 0
; COMPUTE_PGM_RSRC2:TGID_Z_EN: 1
; COMPUTE_PGM_RSRC2:TIDIG_COMP_CNT: 0
	.section	.text._ZL26rocblas_hemvn_kernel_upperILb0ELi64ELi4ELi33ELi32ELi16ElfPKPKfPfEviT6_lT7_lT5_lS6_lS7_lS5_lT8_i,"axG",@progbits,_ZL26rocblas_hemvn_kernel_upperILb0ELi64ELi4ELi33ELi32ELi16ElfPKPKfPfEviT6_lT7_lT5_lS6_lS7_lS5_lT8_i,comdat
	.globl	_ZL26rocblas_hemvn_kernel_upperILb0ELi64ELi4ELi33ELi32ELi16ElfPKPKfPfEviT6_lT7_lT5_lS6_lS7_lS5_lT8_i ; -- Begin function _ZL26rocblas_hemvn_kernel_upperILb0ELi64ELi4ELi33ELi32ELi16ElfPKPKfPfEviT6_lT7_lT5_lS6_lS7_lS5_lT8_i
	.p2align	8
	.type	_ZL26rocblas_hemvn_kernel_upperILb0ELi64ELi4ELi33ELi32ELi16ElfPKPKfPfEviT6_lT7_lT5_lS6_lS7_lS5_lT8_i,@function
_ZL26rocblas_hemvn_kernel_upperILb0ELi64ELi4ELi33ELi32ELi16ElfPKPKfPfEviT6_lT7_lT5_lS6_lS7_lS5_lT8_i: ; @_ZL26rocblas_hemvn_kernel_upperILb0ELi64ELi4ELi33ELi32ELi16ElfPKPKfPfEviT6_lT7_lT5_lS6_lS7_lS5_lT8_i
; %bb.0:
	s_load_dwordx2 s[0:1], s[4:5], 0x7c
	s_add_u32 s10, s4, 0x70
	s_addc_u32 s11, s5, 0
	s_waitcnt lgkmcnt(0)
	s_lshr_b32 s2, s0, 16
	s_and_b32 s0, s0, 0xffff
	s_and_b32 s1, s1, 0xffff
	s_mul_i32 s0, s2, s0
	s_mul_i32 s0, s0, s1
	s_cmpk_lg_i32 s0, 0x100
	s_cbranch_scc1 .LBB139_4
; %bb.1:
	s_load_dwordx2 s[30:31], s[4:5], 0x0
	s_load_dword s2, s[4:5], 0x50
	s_waitcnt lgkmcnt(0)
	v_cmp_eq_f32_e64 s[0:1], s31, 0
	v_cmp_eq_f32_e64 s[2:3], s2, 1.0
	s_and_b64 s[2:3], s[0:1], s[2:3]
	s_and_b64 vcc, exec, s[2:3]
	s_cbranch_vccnz .LBB139_4
; %bb.2:
	s_mov_b32 s28, s7
	s_and_b64 vcc, exec, s[0:1]
	s_cbranch_vccz .LBB139_5
; %bb.3:
	s_cbranch_execz .LBB139_6
.LBB139_4:
	s_endpgm
.LBB139_5:
.LBB139_6:
	s_load_dwordx4 s[0:3], s[4:5], 0x10
	s_load_dwordx2 s[24:25], s[4:5], 0x20
	s_load_dwordx4 s[12:15], s[4:5], 0x30
	s_load_dwordx2 s[18:19], s[4:5], 0x40
	s_mov_b32 s29, 0
	s_lshl_b64 s[8:9], s[28:29], 3
	s_waitcnt lgkmcnt(0)
	s_add_u32 s0, s0, s8
	s_addc_u32 s1, s1, s9
	s_add_u32 s12, s12, s8
	s_addc_u32 s13, s13, s9
	s_load_dwordx2 s[16:17], s[12:13], 0x0
	s_load_dword s7, s[10:11], 0x0
	s_load_dwordx2 s[8:9], s[0:1], 0x0
	s_lshl_b64 s[0:1], s[14:15], 2
	s_waitcnt lgkmcnt(0)
	s_add_u32 s10, s16, s0
	s_addc_u32 s11, s17, s1
	s_lshl_b32 s26, s6, 6
	s_ashr_i32 s31, s30, 31
	s_lshr_b32 s0, s31, 26
	v_add_u32_e32 v18, s26, v0
	s_add_i32 s0, s30, s0
	v_ashrrev_i32_e32 v19, 31, v18
	s_and_b32 s13, s0, 0xffffffc0
	v_mul_lo_u32 v4, s18, v19
	v_mul_lo_u32 v5, s19, v18
	v_mad_u64_u32 v[2:3], s[0:1], s18, v18, 0
	s_add_i32 s12, s7, -1
	s_sub_i32 s29, s30, s13
	v_add3_u32 v3, v3, v4, v5
	v_lshlrev_b64 v[2:3], 2, v[2:3]
	s_cmp_eq_u32 s6, s12
	v_mov_b32_e32 v4, s11
	v_add_co_u32_e32 v8, vcc, s10, v2
	s_cselect_b32 s20, s29, 0
	v_addc_co_u32_e32 v9, vcc, v4, v3, vcc
	v_cmp_eq_u32_e64 s[0:1], 0, v1
	s_and_saveexec_b64 s[10:11], s[0:1]
	s_cbranch_execz .LBB139_10
; %bb.7:
	s_cmp_eq_u32 s20, 0
	s_cselect_b64 s[12:13], -1, 0
	v_cmp_gt_i32_e32 vcc, s20, v0
	s_or_b64 s[14:15], s[12:13], vcc
	v_mov_b32_e32 v2, 0
	s_and_saveexec_b64 s[12:13], s[14:15]
	s_cbranch_execz .LBB139_9
; %bb.8:
	flat_load_dword v2, v[8:9]
.LBB139_9:
	s_or_b64 exec, exec, s[12:13]
	v_lshlrev_b32_e32 v3, 2, v0
	s_waitcnt vmcnt(0) lgkmcnt(0)
	ds_write_b32 v3, v2 offset:4544
.LBB139_10:
	s_or_b64 exec, exec, s[10:11]
	v_lshl_add_u32 v14, v1, 6, v0
	v_and_b32_e32 v2, 31, v0
	v_lshrrev_b32_e32 v15, 5, v14
	v_mov_b32_e32 v3, 0
	v_mad_u64_u32 v[4:5], s[10:11], s24, v15, v[2:3]
	s_lshl_b64 s[2:3], s[2:3], 2
	s_add_u32 s8, s8, s2
	s_addc_u32 s9, s9, s3
	v_mad_u64_u32 v[5:6], s[2:3], s25, v15, v[5:6]
	s_ashr_i32 s27, s26, 31
	s_lshl_b64 s[2:3], s[26:27], 2
	s_add_u32 s2, s8, s2
	v_lshlrev_b64 v[6:7], 2, v[4:5]
	s_addc_u32 s3, s9, s3
	v_mov_b32_e32 v4, s3
	v_add_co_u32_e32 v5, vcc, s2, v6
	s_mul_hi_u32 s2, s24, s26
	s_mul_i32 s3, s24, s27
	s_add_i32 s2, s2, s3
	s_mul_i32 s3, s25, s26
	s_add_i32 s3, s2, s3
	s_mul_i32 s2, s24, s26
	s_lshl_b64 s[2:3], s[2:3], 2
	v_addc_co_u32_e32 v10, vcc, v4, v7, vcc
	s_cmp_eq_u32 s20, 0
	v_mov_b32_e32 v11, s3
	v_add_co_u32_e32 v4, vcc, s2, v5
	s_cselect_b64 s[22:23], -1, 0
	s_cmp_lg_u32 s20, 0
	v_addc_co_u32_e32 v5, vcc, v10, v11, vcc
	s_cselect_b64 s[36:37], -1, 0
	s_and_b64 vcc, exec, s[36:37]
	v_cmp_gt_i32_e64 s[2:3], s20, v2
	v_lshlrev_b32_e32 v16, 2, v2
	s_cbranch_vccz .LBB139_20
; %bb.11:
	v_sub_co_u32_e32 v10, vcc, v4, v16
	s_ashr_i32 s21, s20, 31
	v_subbrev_co_u32_e32 v11, vcc, 0, v5, vcc
	s_lshl_b64 s[8:9], s[20:21], 2
	v_mov_b32_e32 v12, s9
	v_add_co_u32_e32 v10, vcc, s8, v10
	v_addc_co_u32_e32 v11, vcc, v11, v12, vcc
	v_add_co_u32_e32 v10, vcc, -4, v10
	v_addc_co_u32_e32 v11, vcc, -1, v11, vcc
	v_cndmask_b32_e64 v11, v11, v5, s[2:3]
	v_cndmask_b32_e64 v10, v10, v4, s[2:3]
	v_cmp_gt_i32_e32 vcc, s20, v15
	s_and_saveexec_b64 s[10:11], vcc
	s_cbranch_execz .LBB139_13
; %bb.12:
	flat_load_dword v3, v[10:11]
.LBB139_13:
	s_or_b64 exec, exec, s[10:11]
	v_lshlrev_b32_e32 v13, 2, v2
	s_movk_i32 s10, 0x84
	v_mad_u32_u24 v12, v15, s10, v13
	s_waitcnt vmcnt(0) lgkmcnt(0)
	ds_write_b32 v12, v3
	v_add_u32_e32 v3, 8, v15
	v_mul_u32_u24_e32 v17, 0x84, v15
	v_cmp_gt_i32_e32 vcc, s20, v3
	v_mov_b32_e32 v12, 0
	v_mov_b32_e32 v20, 0
	s_and_saveexec_b64 s[10:11], vcc
	s_cbranch_execz .LBB139_15
; %bb.14:
	s_lshl_b64 s[12:13], s[24:25], 5
	v_mov_b32_e32 v3, s13
	v_add_co_u32_e32 v20, vcc, s12, v10
	v_addc_co_u32_e32 v21, vcc, v11, v3, vcc
	flat_load_dword v20, v[20:21]
.LBB139_15:
	s_or_b64 exec, exec, s[10:11]
	v_add_u32_e32 v3, v17, v13
	v_add_u32_e32 v13, 16, v15
	v_cmp_gt_i32_e32 vcc, s20, v13
	s_waitcnt vmcnt(0) lgkmcnt(0)
	ds_write_b32 v3, v20 offset:1056
	s_and_saveexec_b64 s[10:11], vcc
	s_cbranch_execz .LBB139_17
; %bb.16:
	s_lshl_b64 s[12:13], s[24:25], 6
	v_mov_b32_e32 v13, s13
	v_add_co_u32_e32 v12, vcc, s12, v10
	v_addc_co_u32_e32 v13, vcc, v11, v13, vcc
	flat_load_dword v12, v[12:13]
.LBB139_17:
	s_or_b64 exec, exec, s[10:11]
	s_waitcnt vmcnt(0) lgkmcnt(0)
	ds_write_b32 v3, v12 offset:2112
	v_add_u32_e32 v12, 24, v15
	v_cmp_gt_i32_e32 vcc, s20, v12
	v_mov_b32_e32 v12, 0
	s_and_saveexec_b64 s[10:11], vcc
	s_cbranch_execz .LBB139_19
; %bb.18:
	v_mov_b32_e32 v12, 0x60
	v_mad_u64_u32 v[12:13], s[12:13], s24, v12, v[10:11]
	s_mul_i32 s12, s25, 0x60
	v_add_u32_e32 v13, s12, v13
	flat_load_dword v12, v[12:13]
.LBB139_19:
	s_or_b64 exec, exec, s[10:11]
	s_waitcnt vmcnt(0) lgkmcnt(0)
	ds_write_b32 v3, v12 offset:3168
	v_add_co_u32_e32 v3, vcc, v10, v16
	v_addc_co_u32_e32 v10, vcc, 0, v11, vcc
	v_mov_b32_e32 v11, s9
	v_subrev_co_u32_e32 v3, vcc, s8, v3
	v_subb_co_u32_e32 v10, vcc, v10, v11, vcc
	v_add_co_u32_e32 v3, vcc, 4, v3
	v_addc_co_u32_e32 v10, vcc, 0, v10, vcc
	v_cndmask_b32_e64 v11, v10, v5, s[2:3]
	v_cndmask_b32_e64 v10, v3, v4, s[2:3]
	s_branch .LBB139_22
.LBB139_20:
                                        ; implicit-def: $vgpr10_vgpr11
	s_cbranch_execz .LBB139_22
; %bb.21:
	s_lshl_b64 s[2:3], s[24:25], 5
	v_mov_b32_e32 v3, s3
	v_add_co_u32_e32 v10, vcc, s2, v4
	v_addc_co_u32_e32 v11, vcc, v5, v3, vcc
	v_add_co_u32_e32 v12, vcc, s2, v10
	v_addc_co_u32_e32 v13, vcc, v11, v3, vcc
	;; [unrolled: 2-line block ×3, first 2 shown]
	flat_load_dword v3, v[4:5]
	flat_load_dword v17, v[10:11]
	;; [unrolled: 1-line block ×4, first 2 shown]
	v_mul_u32_u24_e32 v10, 0x84, v15
	v_lshl_add_u32 v10, v2, 2, v10
	s_waitcnt vmcnt(0) lgkmcnt(0)
	ds_write_b32 v10, v3
	ds_write_b32 v10, v17 offset:1056
	ds_write_b32 v10, v22 offset:2112
	ds_write_b32 v10, v23 offset:3168
	v_mov_b32_e32 v11, v5
	v_mov_b32_e32 v10, v4
.LBB139_22:
	v_lshlrev_b32_e32 v20, 2, v2
	v_lshlrev_b32_e32 v5, 2, v15
	v_lshl_or_b32 v3, v2, 7, v20
	v_cmp_gt_u32_e64 s[16:17], v5, v2
	v_lshl_add_u32 v3, v5, 2, v3
	s_waitcnt lgkmcnt(0)
	s_barrier
	s_and_saveexec_b64 s[2:3], s[16:17]
	s_cbranch_execz .LBB139_24
; %bb.23:
	s_movk_i32 s8, 0x210
	v_mad_u32_u24 v4, v15, s8, v20
	ds_read_b32 v4, v4
	s_waitcnt lgkmcnt(0)
	ds_write_b32 v3, v4
.LBB139_24:
	s_or_b64 exec, exec, s[2:3]
	v_or_b32_e32 v23, 1, v5
	v_cmp_ge_u32_e64 s[8:9], v5, v2
	s_and_saveexec_b64 s[2:3], s[8:9]
	s_cbranch_execz .LBB139_26
; %bb.25:
	s_movk_i32 s10, 0x84
	v_mad_u32_u24 v4, v23, s10, v20
	ds_read_b32 v4, v4
	s_waitcnt lgkmcnt(0)
	ds_write_b32 v3, v4 offset:4
.LBB139_26:
	s_or_b64 exec, exec, s[2:3]
	v_or_b32_e32 v4, 2, v5
	v_cmp_gt_u32_e64 s[10:11], v4, v2
	s_and_saveexec_b64 s[2:3], s[10:11]
	s_cbranch_execz .LBB139_28
; %bb.27:
	s_movk_i32 s12, 0x84
	v_mad_u32_u24 v4, v4, s12, v20
	ds_read_b32 v4, v4
	s_waitcnt lgkmcnt(0)
	ds_write_b32 v3, v4 offset:8
.LBB139_28:
	s_or_b64 exec, exec, s[2:3]
	v_or_b32_e32 v12, 3, v5
	v_cmp_gt_u32_e64 s[12:13], v12, v2
	v_cmp_le_u32_e32 vcc, v12, v2
                                        ; implicit-def: $vgpr4
	s_and_saveexec_b64 s[2:3], vcc
	s_xor_b64 s[2:3], exec, s[2:3]
; %bb.29:
	v_mul_u32_u24_e32 v4, 0x84, v12
                                        ; implicit-def: $vgpr12
                                        ; implicit-def: $vgpr3
; %bb.30:
	s_andn2_saveexec_b64 s[2:3], s[2:3]
	s_cbranch_execz .LBB139_32
; %bb.31:
	s_movk_i32 s14, 0x84
	v_mad_u32_u24 v4, v12, s14, v20
	ds_read_b32 v13, v4
	v_mul_u32_u24_e32 v4, 0x84, v12
	s_waitcnt lgkmcnt(0)
	ds_write_b32 v3, v13 offset:12
.LBB139_32:
	s_or_b64 exec, exec, s[2:3]
	s_movk_i32 s2, 0x210
	v_mad_u32_u24 v3, v15, s2, v20
	s_movk_i32 s2, 0x84
	s_waitcnt lgkmcnt(0)
	s_barrier
	v_lshlrev_b32_e32 v25, 2, v5
	ds_read_b32 v3, v3
	ds_read_b128 v[26:29], v25 offset:4544
	v_mad_u32_u24 v12, v23, s2, v20
	ds_read2_b32 v[12:13], v12 offset1:33
	v_add_u32_e32 v22, v20, v4
	ds_read_b32 v4, v22
	s_waitcnt lgkmcnt(2)
	v_fma_f32 v3, v3, v26, 0
	v_mov_b32_e32 v30, 0
	s_waitcnt lgkmcnt(1)
	v_fmac_f32_e32 v3, v12, v27
	v_fmac_f32_e32 v3, v13, v28
	s_waitcnt lgkmcnt(0)
	v_fmac_f32_e32 v3, v4, v29
	v_mul_u32_u24_e32 v4, 33, v2
	v_lshlrev_b32_e32 v17, 2, v4
	v_lshl_add_u32 v21, v15, 2, v17
	v_cmp_gt_u32_e64 s[2:3], 32, v14
	s_barrier
	ds_write_b32 v21, v3
	s_waitcnt lgkmcnt(0)
	s_barrier
	s_and_saveexec_b64 s[14:15], s[2:3]
	s_cbranch_execz .LBB139_34
; %bb.33:
	ds_read2_b32 v[3:4], v17 offset1:1
	ds_read2_b32 v[12:13], v17 offset0:2 offset1:3
	ds_read2_b32 v[26:27], v17 offset0:4 offset1:5
	;; [unrolled: 1-line block ×3, first 2 shown]
	s_waitcnt lgkmcnt(3)
	v_add_f32_e32 v3, v3, v4
	s_waitcnt lgkmcnt(2)
	v_add_f32_e32 v3, v3, v12
	v_add_f32_e32 v3, v3, v13
	s_waitcnt lgkmcnt(1)
	v_add_f32_e32 v3, v3, v26
	;; [unrolled: 3-line block ×3, first 2 shown]
	v_add_f32_e32 v30, v3, v29
.LBB139_34:
	s_or_b64 exec, exec, s[14:15]
	s_lshl_b64 s[14:15], s[24:25], 7
	v_mov_b32_e32 v3, s15
	v_add_co_u32_e32 v10, vcc, s14, v10
	v_addc_co_u32_e32 v11, vcc, v11, v3, vcc
	v_add_co_u32_e32 v3, vcc, 0x80, v10
	v_addc_co_u32_e32 v4, vcc, 0, v11, vcc
	s_lshl_b64 s[34:35], s[24:25], 5
	s_and_b64 vcc, exec, s[36:37]
	s_barrier
	s_cbranch_vccz .LBB139_44
; %bb.35:
	v_sub_co_u32_e32 v13, vcc, v10, v16
	s_ashr_i32 s21, s20, 31
	v_subbrev_co_u32_e32 v26, vcc, 0, v11, vcc
	s_lshl_b64 s[38:39], s[20:21], 2
	v_mov_b32_e32 v27, s39
	v_add_co_u32_e32 v13, vcc, s38, v13
	v_addc_co_u32_e32 v26, vcc, v26, v27, vcc
	v_or_b32_e32 v12, 32, v2
	v_add_co_u32_e32 v27, vcc, -4, v13
	v_addc_co_u32_e32 v13, vcc, -1, v26, vcc
	v_cmp_gt_i32_e64 s[14:15], s20, v12
	s_sub_i32 s21, s20, 32
	v_mov_b32_e32 v24, 0
	v_cndmask_b32_e64 v13, v13, v4, s[14:15]
	v_cndmask_b32_e64 v12, v27, v3, s[14:15]
	v_cmp_gt_i32_e32 vcc, s21, v15
	v_mov_b32_e32 v27, 0
	s_and_saveexec_b64 s[40:41], vcc
	s_cbranch_execz .LBB139_37
; %bb.36:
	flat_load_dword v27, v[12:13]
.LBB139_37:
	s_or_b64 exec, exec, s[40:41]
	s_movk_i32 s33, 0x84
	v_mad_u32_u24 v28, v15, s33, v20
	s_waitcnt vmcnt(0) lgkmcnt(0)
	ds_write_b32 v28, v27
	v_add_u32_e32 v27, 8, v15
	v_mul_u32_u24_e32 v26, 0x84, v15
	v_cmp_gt_i32_e32 vcc, s21, v27
	s_and_saveexec_b64 s[40:41], vcc
	s_cbranch_execz .LBB139_39
; %bb.38:
	v_mov_b32_e32 v24, s35
	v_add_co_u32_e32 v27, vcc, s34, v12
	v_addc_co_u32_e32 v28, vcc, v13, v24, vcc
	flat_load_dword v24, v[27:28]
.LBB139_39:
	s_or_b64 exec, exec, s[40:41]
	v_add_u32_e32 v26, v26, v20
	s_waitcnt vmcnt(0) lgkmcnt(0)
	ds_write_b32 v26, v24 offset:1056
	v_add_u32_e32 v24, 16, v15
	v_cmp_gt_i32_e32 vcc, s21, v24
	v_mov_b32_e32 v24, 0
	v_mov_b32_e32 v27, 0
	s_and_saveexec_b64 s[40:41], vcc
	s_cbranch_execz .LBB139_41
; %bb.40:
	s_lshl_b64 s[42:43], s[24:25], 6
	v_mov_b32_e32 v28, s43
	v_add_co_u32_e32 v27, vcc, s42, v12
	v_addc_co_u32_e32 v28, vcc, v13, v28, vcc
	flat_load_dword v27, v[27:28]
.LBB139_41:
	s_or_b64 exec, exec, s[40:41]
	s_waitcnt vmcnt(0) lgkmcnt(0)
	ds_write_b32 v26, v27 offset:2112
	v_add_u32_e32 v27, 24, v15
	v_cmp_gt_i32_e32 vcc, s21, v27
	s_and_saveexec_b64 s[40:41], vcc
	s_cbranch_execz .LBB139_43
; %bb.42:
	v_mov_b32_e32 v24, 0x60
	v_mad_u64_u32 v[27:28], s[42:43], s24, v24, v[12:13]
	s_mul_i32 s21, s25, 0x60
	v_add_u32_e32 v28, s21, v28
	flat_load_dword v24, v[27:28]
.LBB139_43:
	s_or_b64 exec, exec, s[40:41]
	v_add_co_u32_e32 v12, vcc, v12, v16
	v_addc_co_u32_e32 v13, vcc, 0, v13, vcc
	s_waitcnt vmcnt(0) lgkmcnt(0)
	ds_write_b32 v26, v24 offset:3168
	v_mov_b32_e32 v24, s39
	v_subrev_co_u32_e32 v12, vcc, s38, v12
	v_subb_co_u32_e32 v13, vcc, v13, v24, vcc
	v_add_co_u32_e32 v12, vcc, 0x84, v12
	v_addc_co_u32_e32 v13, vcc, 0, v13, vcc
	v_cndmask_b32_e64 v13, v13, v4, s[14:15]
	v_cndmask_b32_e64 v12, v12, v3, s[14:15]
	v_mul_u32_u24_e32 v24, 0x210, v15
	s_branch .LBB139_46
.LBB139_44:
                                        ; implicit-def: $vgpr12_vgpr13
	v_mul_u32_u24_e32 v24, 0x210, v15
	s_cbranch_execz .LBB139_46
; %bb.45:
	v_mov_b32_e32 v29, s35
	v_add_co_u32_e32 v12, vcc, s34, v10
	v_addc_co_u32_e32 v13, vcc, v11, v29, vcc
	v_add_co_u32_e32 v26, vcc, s34, v12
	v_addc_co_u32_e32 v27, vcc, v13, v29, vcc
	;; [unrolled: 2-line block ×3, first 2 shown]
	flat_load_dword v31, v[10:11] offset:128
	flat_load_dword v32, v[12:13] offset:128
	;; [unrolled: 1-line block ×4, first 2 shown]
	s_movk_i32 s14, 0x84
	v_mov_b32_e32 v13, v4
	v_mad_u32_u24 v10, v15, s14, v20
	v_mov_b32_e32 v12, v3
	s_waitcnt vmcnt(0) lgkmcnt(0)
	ds_write_b32 v10, v31
	ds_write_b32 v10, v32 offset:1056
	ds_write_b32 v10, v33 offset:2112
	;; [unrolled: 1-line block ×3, first 2 shown]
.LBB139_46:
	v_mul_u32_u24_e32 v4, 0x84, v23
	v_add_u32_e32 v23, v20, v24
	v_lshl_add_u32 v3, v5, 2, v17
	s_waitcnt lgkmcnt(0)
	s_barrier
	s_and_saveexec_b64 s[14:15], s[16:17]
	s_cbranch_execz .LBB139_50
; %bb.47:
	ds_read_b32 v10, v23
	s_waitcnt lgkmcnt(0)
	ds_write_b32 v3, v10
	s_or_b64 exec, exec, s[14:15]
	v_add_u32_e32 v24, v20, v4
	s_and_saveexec_b64 s[14:15], s[8:9]
	s_cbranch_execnz .LBB139_51
.LBB139_48:
	s_or_b64 exec, exec, s[14:15]
	s_and_saveexec_b64 s[8:9], s[10:11]
	s_cbranch_execz .LBB139_52
.LBB139_49:
	ds_read_b32 v4, v24 offset:132
	s_waitcnt lgkmcnt(0)
	ds_write_b32 v3, v4 offset:8
	s_or_b64 exec, exec, s[8:9]
	v_add_u32_e32 v25, 0x11c0, v25
	s_and_saveexec_b64 s[8:9], s[12:13]
	s_cbranch_execnz .LBB139_53
	s_branch .LBB139_54
.LBB139_50:
	s_or_b64 exec, exec, s[14:15]
	v_add_u32_e32 v24, v20, v4
	s_and_saveexec_b64 s[14:15], s[8:9]
	s_cbranch_execz .LBB139_48
.LBB139_51:
	ds_read_b32 v4, v24
	s_waitcnt lgkmcnt(0)
	ds_write_b32 v3, v4 offset:4
	s_or_b64 exec, exec, s[14:15]
	s_and_saveexec_b64 s[8:9], s[10:11]
	s_cbranch_execnz .LBB139_49
.LBB139_52:
	s_or_b64 exec, exec, s[8:9]
	v_add_u32_e32 v25, 0x11c0, v25
	s_and_saveexec_b64 s[8:9], s[12:13]
	s_cbranch_execz .LBB139_54
.LBB139_53:
	ds_read_b32 v4, v22
	s_waitcnt lgkmcnt(0)
	ds_write_b32 v3, v4 offset:12
.LBB139_54:
	s_or_b64 exec, exec, s[8:9]
	s_waitcnt lgkmcnt(0)
	s_barrier
	ds_read_b32 v10, v23
	ds_read_b128 v[26:29], v25 offset:128
	ds_read2_b32 v[3:4], v24 offset1:33
	ds_read_b32 v11, v22
	v_cmp_eq_u32_e64 s[8:9], 1, v15
	s_waitcnt lgkmcnt(0)
	v_fma_f32 v10, v10, v26, 0
	v_fmac_f32_e32 v10, v3, v27
	v_fmac_f32_e32 v10, v4, v28
	;; [unrolled: 1-line block ×3, first 2 shown]
	s_barrier
	ds_write_b32 v21, v10
	s_waitcnt lgkmcnt(0)
	s_barrier
	s_and_saveexec_b64 s[10:11], s[8:9]
	s_cbranch_execz .LBB139_56
; %bb.55:
	ds_read2_b32 v[3:4], v17 offset1:1
	ds_read2_b32 v[10:11], v17 offset0:2 offset1:3
	ds_read2_b32 v[26:27], v17 offset0:4 offset1:5
	;; [unrolled: 1-line block ×3, first 2 shown]
	s_waitcnt lgkmcnt(3)
	v_add_f32_e32 v3, v3, v4
	s_waitcnt lgkmcnt(2)
	v_add_f32_e32 v3, v3, v10
	v_add_f32_e32 v3, v3, v11
	s_waitcnt lgkmcnt(1)
	v_add_f32_e32 v3, v3, v26
	;; [unrolled: 3-line block ×3, first 2 shown]
	v_add_f32_e32 v30, v3, v29
.LBB139_56:
	s_or_b64 exec, exec, s[10:11]
	v_add_co_u32_e32 v3, vcc, 0xffffff80, v12
	v_addc_co_u32_e32 v4, vcc, -1, v13, vcc
	s_and_b64 vcc, exec, s[36:37]
	s_barrier
	s_cbranch_vccz .LBB139_66
; %bb.57:
	v_sub_co_u32_e32 v10, vcc, v3, v16
	s_ashr_i32 s21, s20, 31
	v_subbrev_co_u32_e32 v11, vcc, 0, v4, vcc
	s_lshl_b64 s[12:13], s[20:21], 2
	v_mov_b32_e32 v13, s13
	v_add_co_u32_e32 v10, vcc, s12, v10
	v_addc_co_u32_e32 v11, vcc, v11, v13, vcc
	v_add_co_u32_e32 v10, vcc, -4, v10
	v_addc_co_u32_e32 v11, vcc, -1, v11, vcc
	v_cmp_gt_i32_e32 vcc, s20, v2
	s_sub_i32 s16, s20, 32
	v_mov_b32_e32 v12, 0
	v_cndmask_b32_e32 v11, v11, v4, vcc
	v_cndmask_b32_e32 v10, v10, v3, vcc
	v_cmp_gt_i32_e64 s[10:11], s16, v15
	v_mov_b32_e32 v2, 0
	s_and_saveexec_b64 s[14:15], s[10:11]
	s_cbranch_execz .LBB139_59
; %bb.58:
	flat_load_dword v2, v[10:11]
.LBB139_59:
	s_or_b64 exec, exec, s[14:15]
	s_movk_i32 s10, 0x84
	v_mad_u32_u24 v26, v15, s10, v20
	s_waitcnt vmcnt(0) lgkmcnt(0)
	ds_write_b32 v26, v2
	v_add_u32_e32 v2, 8, v15
	v_mul_u32_u24_e32 v13, 0x84, v15
	v_cmp_gt_i32_e64 s[10:11], s16, v2
	s_and_saveexec_b64 s[14:15], s[10:11]
	s_cbranch_execz .LBB139_61
; %bb.60:
	v_mov_b32_e32 v12, s35
	v_add_co_u32_e64 v26, s[10:11], s34, v10
	v_addc_co_u32_e64 v27, s[10:11], v11, v12, s[10:11]
	flat_load_dword v12, v[26:27]
.LBB139_61:
	s_or_b64 exec, exec, s[14:15]
	v_add_u32_e32 v26, v13, v20
	s_waitcnt vmcnt(0) lgkmcnt(0)
	ds_write_b32 v26, v12 offset:1056
	v_add_u32_e32 v12, 16, v15
	v_cmp_gt_i32_e64 s[10:11], s16, v12
	v_mov_b32_e32 v27, 0
	v_mov_b32_e32 v13, 0
	s_and_saveexec_b64 s[14:15], s[10:11]
	s_cbranch_execz .LBB139_63
; %bb.62:
	s_lshl_b64 s[10:11], s[24:25], 6
	v_mov_b32_e32 v13, s11
	v_add_co_u32_e64 v28, s[10:11], s10, v10
	v_addc_co_u32_e64 v29, s[10:11], v11, v13, s[10:11]
	flat_load_dword v13, v[28:29]
.LBB139_63:
	s_or_b64 exec, exec, s[14:15]
	s_waitcnt vmcnt(0) lgkmcnt(0)
	ds_write_b32 v26, v13 offset:2112
	v_add_u32_e32 v13, 24, v15
	v_cmp_gt_i32_e64 s[10:11], s16, v13
	s_and_saveexec_b64 s[14:15], s[10:11]
	s_cbranch_execz .LBB139_65
; %bb.64:
	v_mov_b32_e32 v27, 0x60
	v_mad_u64_u32 v[27:28], s[10:11], s24, v27, v[10:11]
	s_mul_i32 s10, s25, 0x60
	v_add_u32_e32 v28, s10, v28
	flat_load_dword v27, v[27:28]
.LBB139_65:
	s_or_b64 exec, exec, s[14:15]
	v_add_co_u32_e64 v10, s[10:11], v10, v16
	v_addc_co_u32_e64 v11, s[10:11], 0, v11, s[10:11]
	v_mov_b32_e32 v16, s13
	v_subrev_co_u32_e64 v10, s[10:11], s12, v10
	v_subb_co_u32_e64 v11, s[10:11], v11, v16, s[10:11]
	v_add_co_u32_e64 v10, s[10:11], 4, v10
	v_addc_co_u32_e64 v11, s[10:11], 0, v11, s[10:11]
	s_waitcnt vmcnt(0) lgkmcnt(0)
	ds_write_b32 v26, v27 offset:3168
	v_cndmask_b32_e32 v11, v11, v4, vcc
	v_cndmask_b32_e32 v10, v10, v3, vcc
	s_branch .LBB139_68
.LBB139_66:
                                        ; implicit-def: $vgpr10_vgpr11
                                        ; implicit-def: $vgpr2
                                        ; implicit-def: $vgpr12
                                        ; implicit-def: $vgpr13
	s_cbranch_execz .LBB139_68
; %bb.67:
	v_mov_b32_e32 v2, s35
	v_add_co_u32_e32 v10, vcc, s34, v3
	v_addc_co_u32_e32 v11, vcc, v4, v2, vcc
	v_add_co_u32_e32 v12, vcc, s34, v10
	v_addc_co_u32_e32 v13, vcc, v11, v2, vcc
	;; [unrolled: 2-line block ×3, first 2 shown]
	flat_load_dword v16, v[3:4]
	flat_load_dword v28, v[10:11]
	;; [unrolled: 1-line block ×4, first 2 shown]
	s_movk_i32 s10, 0x84
	v_mad_u32_u24 v10, v15, s10, v20
	v_add_u32_e32 v2, 8, v15
	v_add_u32_e32 v12, 16, v15
	;; [unrolled: 1-line block ×3, first 2 shown]
	s_waitcnt vmcnt(0) lgkmcnt(0)
	ds_write_b32 v10, v16
	ds_write_b32 v10, v28 offset:1056
	ds_write_b32 v10, v29 offset:2112
	;; [unrolled: 1-line block ×3, first 2 shown]
	v_mov_b32_e32 v11, v4
	v_mov_b32_e32 v10, v3
.LBB139_68:
	v_add_u32_e32 v3, v17, v5
	s_waitcnt lgkmcnt(0)
	s_barrier
	ds_read_b32 v20, v3
	ds_read_b32 v26, v5 offset:4544
	v_lshlrev_b32_e32 v2, 2, v2
	v_lshlrev_b32_e32 v4, 2, v12
	;; [unrolled: 1-line block ×3, first 2 shown]
	v_add_u32_e32 v3, v17, v2
	v_add_u32_e32 v5, v17, v4
	;; [unrolled: 1-line block ×3, first 2 shown]
	ds_read_b32 v27, v3
	ds_read_b32 v28, v5
	;; [unrolled: 1-line block ×4, first 2 shown]
	ds_read_b32 v23, v12 offset:4544
	ds_read_b32 v31, v4 offset:4544
	;; [unrolled: 1-line block ×3, first 2 shown]
	ds_read2_b32 v[12:13], v24 offset1:33
	ds_read_b128 v[2:5], v25 offset:128
	ds_read_b32 v16, v22
	s_waitcnt lgkmcnt(10)
	v_fma_f32 v20, v20, v26, 0
	s_waitcnt lgkmcnt(3)
	v_fmac_f32_e32 v20, v27, v32
	v_fmac_f32_e32 v20, v28, v31
	v_fmac_f32_e32 v20, v29, v23
	s_waitcnt lgkmcnt(0)
	s_barrier
	ds_write_b32 v21, v20
	s_waitcnt lgkmcnt(0)
	s_barrier
	s_and_saveexec_b64 s[10:11], s[8:9]
	s_cbranch_execz .LBB139_70
; %bb.69:
	ds_read2_b32 v[22:23], v17 offset1:1
	ds_read2_b32 v[24:25], v17 offset0:2 offset1:3
	ds_read2_b32 v[26:27], v17 offset0:4 offset1:5
	;; [unrolled: 1-line block ×3, first 2 shown]
	s_waitcnt lgkmcnt(3)
	v_add_f32_e32 v20, v30, v22
	v_add_f32_e32 v20, v20, v23
	s_waitcnt lgkmcnt(2)
	v_add_f32_e32 v20, v20, v24
	v_add_f32_e32 v20, v20, v25
	;; [unrolled: 3-line block ×4, first 2 shown]
.LBB139_70:
	s_or_b64 exec, exec, s[10:11]
	v_fma_f32 v2, v15, v2, 0
	v_fmac_f32_e32 v2, v12, v3
	v_fmac_f32_e32 v2, v13, v4
	;; [unrolled: 1-line block ×3, first 2 shown]
	s_barrier
	ds_write_b32 v21, v2
	s_waitcnt lgkmcnt(0)
	s_barrier
	s_and_saveexec_b64 s[8:9], s[2:3]
	s_cbranch_execz .LBB139_72
; %bb.71:
	ds_read2_b32 v[2:3], v17 offset1:1
	ds_read2_b32 v[4:5], v17 offset0:2 offset1:3
	ds_read2_b32 v[12:13], v17 offset0:4 offset1:5
	;; [unrolled: 1-line block ×3, first 2 shown]
	s_waitcnt lgkmcnt(3)
	v_add_f32_e32 v2, v30, v2
	v_add_f32_e32 v2, v2, v3
	s_waitcnt lgkmcnt(2)
	v_add_f32_e32 v2, v2, v4
	v_add_f32_e32 v2, v2, v5
	;; [unrolled: 3-line block ×4, first 2 shown]
.LBB139_72:
	s_or_b64 exec, exec, s[8:9]
	s_load_dwordx2 s[2:3], s[4:5], 0x60
	s_mul_hi_u32 s4, s30, s28
	s_mul_i32 s31, s31, s28
	s_add_i32 s4, s4, s31
	s_mul_i32 s8, s30, s28
	s_mul_i32 s4, s4, s7
	s_mul_hi_u32 s5, s8, s7
	s_add_i32 s5, s5, s4
	s_mul_i32 s4, s8, s7
	s_lshl_b64 s[4:5], s[4:5], 2
	s_waitcnt lgkmcnt(0)
	s_add_u32 s4, s2, s4
	s_addc_u32 s5, s3, s5
	s_mul_hi_i32 s3, s30, s6
	s_mul_i32 s2, s30, s6
	s_lshl_b64 s[2:3], s[2:3], 2
	s_add_u32 s14, s4, s2
	s_addc_u32 s15, s5, s3
	s_add_i32 s2, s6, 1
	s_cmp_ge_u32 s2, s7
	v_lshlrev_b32_e32 v31, 2, v0
	s_barrier
	s_cbranch_scc1 .LBB139_129
; %bb.73:
	v_lshlrev_b32_e32 v12, 4, v1
	s_mul_i32 s2, s18, s27
	s_mul_hi_u32 s3, s18, s26
	v_add_u32_e32 v5, 0x88, v12
	s_add_i32 s2, s3, s2
	s_mul_i32 s3, s19, s26
	v_mad_u64_u32 v[2:3], s[4:5], s24, v5, 0
	s_add_i32 s3, s2, s3
	s_mul_i32 s2, s18, s26
	s_lshl_b64 s[2:3], s[2:3], 2
	v_mov_b32_e32 v4, s3
	v_subrev_co_u32_e32 v32, vcc, s2, v8
	v_subb_co_u32_e32 v33, vcc, v9, v4, vcc
	v_mad_u64_u32 v[3:4], s[2:3], s25, v5, v[3:4]
	v_add_u32_e32 v8, 0x8c, v12
	v_mad_u64_u32 v[4:5], s[2:3], s24, v8, 0
	v_sub_co_u32_e32 v13, vcc, v2, v6
	v_mov_b32_e32 v2, v5
	v_subb_co_u32_e32 v15, vcc, v3, v7, vcc
	v_mad_u64_u32 v[2:3], s[2:3], s25, v8, v[2:3]
	v_add_u32_e32 v3, 0x84, v12
	v_mad_u64_u32 v[8:9], s[2:3], s24, v3, 0
	v_sub_co_u32_e32 v16, vcc, v4, v6
	v_subb_co_u32_e32 v17, vcc, v2, v7, vcc
	v_mov_b32_e32 v2, v9
	v_mad_u64_u32 v[2:3], s[2:3], s25, v3, v[2:3]
	v_add_u32_e32 v5, 0xc8, v12
	v_mad_u64_u32 v[3:4], s[2:3], s24, v5, 0
	v_sub_co_u32_e32 v20, vcc, v8, v6
	v_subb_co_u32_e32 v21, vcc, v2, v7, vcc
	v_mov_b32_e32 v2, v4
	v_mad_u64_u32 v[4:5], s[2:3], s25, v5, v[2:3]
	v_add_u32_e32 v5, 0xcc, v12
	v_mad_u64_u32 v[8:9], s[2:3], s24, v5, 0
	v_sub_co_u32_e32 v22, vcc, v3, v6
	v_mov_b32_e32 v2, v9
	v_mad_u64_u32 v[2:3], s[2:3], s25, v5, v[2:3]
	v_add_u32_e32 v5, 0xc4, v12
	v_subb_co_u32_e32 v23, vcc, v4, v7, vcc
	v_mad_u64_u32 v[3:4], s[2:3], s24, v5, 0
	v_sub_co_u32_e32 v24, vcc, v8, v6
	v_subb_co_u32_e32 v25, vcc, v2, v7, vcc
	v_mov_b32_e32 v2, v4
	v_mad_u64_u32 v[4:5], s[2:3], s25, v5, v[2:3]
	v_add_u32_e32 v5, 0xc0, v12
	v_mad_u64_u32 v[8:9], s[2:3], s24, v5, 0
	v_sub_co_u32_e32 v26, vcc, v3, v6
	v_mov_b32_e32 v2, v9
	v_mad_u64_u32 v[2:3], s[2:3], s25, v5, v[2:3]
	v_add_u32_e32 v5, 0x108, v12
	v_subb_co_u32_e32 v27, vcc, v4, v7, vcc
	;; [unrolled: 12-line block ×5, first 2 shown]
	v_mad_u64_u32 v[3:4], s[2:3], s24, v5, 0
	v_sub_co_u32_e32 v61, vcc, v8, v6
	v_subb_co_u32_e32 v62, vcc, v2, v7, vcc
	v_mov_b32_e32 v2, v4
	v_mad_u64_u32 v[4:5], s[2:3], s25, v5, v[2:3]
	v_add_u32_e32 v5, 0x140, v12
	v_mad_u64_u32 v[8:9], s[2:3], s24, v5, 0
	v_sub_co_u32_e32 v63, vcc, v3, v6
	v_mov_b32_e32 v2, v9
	v_mad_u64_u32 v[2:3], s[2:3], s25, v5, v[2:3]
	v_subb_co_u32_e32 v64, vcc, v4, v7, vcc
	v_sub_co_u32_e32 v5, vcc, v8, v6
	v_lshlrev_b32_e32 v34, 2, v1
	v_subb_co_u32_e32 v8, vcc, v2, v7, vcc
	v_mad_u64_u32 v[2:3], s[4:5], s24, v34, 0
	s_lshl_b64 s[2:3], s[34:35], 2
	v_mov_b32_e32 v4, s3
	v_add_co_u32_e32 v9, vcc, s2, v10
	v_addc_co_u32_e32 v35, vcc, v11, v4, vcc
	v_mad_u64_u32 v[3:4], s[2:3], s25, v34, v[3:4]
	v_sub_co_u32_e32 v4, vcc, v9, v6
	v_lshlrev_b64 v[2:3], 2, v[2:3]
	v_subb_co_u32_e32 v6, vcc, v35, v7, vcc
	v_add_co_u32_e32 v35, vcc, v4, v2
	v_addc_co_u32_e32 v36, vcc, v6, v3, vcc
	v_add_co_u32_e32 v37, vcc, v10, v13
	v_addc_co_u32_e32 v38, vcc, v11, v15, vcc
	;; [unrolled: 2-line block ×13, first 2 shown]
	v_lshrrev_b32_e32 v2, 2, v14
	v_add_co_u32_e32 v61, vcc, v10, v61
	s_movk_i32 s2, 0x10c
	v_and_b32_e32 v2, 0x1ffc, v2
	v_and_b32_e32 v3, 15, v0
	v_addc_co_u32_e32 v62, vcc, v11, v62, vcc
	v_mad_u32_u24 v67, v3, s2, v2
	v_and_b32_e32 v2, 48, v0
	v_add_co_u32_e32 v63, vcc, v10, v63
	v_lshlrev_b32_e32 v2, 2, v2
	v_addc_co_u32_e32 v64, vcc, v11, v64, vcc
	v_mad_u32_u24 v68, v3, s2, v2
	v_or_b32_e32 v2, 60, v31
	v_add_co_u32_e32 v65, vcc, v10, v5
	v_mad_u32_u24 v69, v3, s2, v2
	v_mul_u32_u24_e32 v2, 0x10c, v3
	v_and_b32_e32 v3, 0x7ff0, v14
	s_movk_i32 s4, 0x430
	v_addc_co_u32_e32 v66, vcc, v11, v8, vcc
	v_cmp_gt_u32_e64 s[2:3], 64, v14
	v_add_u32_e32 v70, v2, v3
	s_add_i32 s16, s7, -2
	v_add_u32_e32 v71, 0x10c0, v12
	s_add_i32 s17, s26, 64
	s_lshl_b64 s[8:9], s[24:25], 8
	v_add_u32_e32 v72, 0x10c0, v31
	v_add_u32_e32 v73, 0x11c0, v31
	v_mad_u32_u24 v74, v1, s4, v31
	v_or_b32_e32 v75, 1, v34
	v_or_b32_e32 v76, 2, v34
	;; [unrolled: 1-line block ×3, first 2 shown]
	v_add_u32_e32 v78, 16, v34
	v_add_u32_e32 v79, 17, v34
	v_add_u32_e32 v80, 18, v34
	v_add_u32_e32 v81, 19, v34
	v_add_u32_e32 v82, 32, v34
	v_add_u32_e32 v83, 33, v34
	v_add_u32_e32 v84, 34, v34
	v_add_u32_e32 v85, 35, v34
	v_add_u32_e32 v86, 48, v34
	v_add_u32_e32 v87, 49, v34
	v_add_u32_e32 v88, 50, v34
	v_add_u32_e32 v89, 51, v34
	s_cmp_eq_u32 s16, s6
	s_cselect_b32 s21, s29, 0
	s_and_saveexec_b64 s[4:5], s[0:1]
	s_cbranch_execz .LBB139_78
	s_branch .LBB139_75
.LBB139_74:                             ;   in Loop: Header=BB139_78 Depth=1
	s_mov_b32 s6, s4
	s_cmp_eq_u32 s16, s6
	s_cselect_b32 s21, s29, 0
	s_and_saveexec_b64 s[4:5], s[0:1]
	s_cbranch_execz .LBB139_78
.LBB139_75:
	s_cmp_eq_u32 s21, 0
	s_cselect_b64 s[10:11], -1, 0
	v_cmp_gt_i32_e32 vcc, s21, v0
	s_or_b64 s[12:13], s[10:11], vcc
	v_mov_b32_e32 v2, 0
	s_and_saveexec_b64 s[10:11], s[12:13]
	s_cbranch_execz .LBB139_77
; %bb.76:
	s_ashr_i32 s12, s17, 31
	s_mul_hi_u32 s13, s18, s17
	s_mul_i32 s12, s18, s12
	s_add_i32 s12, s13, s12
	s_mul_i32 s13, s19, s17
	s_add_i32 s13, s12, s13
	s_mul_i32 s12, s18, s17
	s_lshl_b64 s[12:13], s[12:13], 2
	v_mov_b32_e32 v3, s13
	v_add_co_u32_e32 v2, vcc, s12, v32
	v_addc_co_u32_e32 v3, vcc, v33, v3, vcc
	flat_load_dword v2, v[2:3]
.LBB139_77:
	s_or_b64 exec, exec, s[10:11]
	s_waitcnt vmcnt(0) lgkmcnt(0)
	ds_write_b32 v72, v2
.LBB139_78:                             ; =>This Inner Loop Header: Depth=1
	s_or_b64 exec, exec, s[4:5]
	s_cmp_eq_u32 s21, 0
	v_add_co_u32_e32 v2, vcc, v35, v31
	s_cselect_b64 s[10:11], -1, 0
	s_cmp_lg_u32 s21, 0
	v_addc_co_u32_e32 v3, vcc, 0, v36, vcc
	s_cselect_b64 s[12:13], -1, 0
	s_mov_b64 s[4:5], -1
	s_and_b64 vcc, exec, s[12:13]
	s_waitcnt lgkmcnt(0)
	s_barrier
                                        ; implicit-def: $vgpr93
                                        ; implicit-def: $vgpr92
                                        ; implicit-def: $vgpr91
                                        ; implicit-def: $vgpr90
	s_cbranch_vccz .LBB139_88
; %bb.79:                               ;   in Loop: Header=BB139_78 Depth=1
	v_cmp_gt_i32_e32 vcc, s21, v34
	v_mov_b32_e32 v91, 0
	v_mov_b32_e32 v90, 0
	s_and_saveexec_b64 s[4:5], vcc
	s_cbranch_execz .LBB139_81
; %bb.80:                               ;   in Loop: Header=BB139_78 Depth=1
	flat_load_dword v90, v[2:3]
.LBB139_81:                             ;   in Loop: Header=BB139_78 Depth=1
	s_or_b64 exec, exec, s[4:5]
	v_cmp_gt_i32_e32 vcc, s21, v75
	s_and_saveexec_b64 s[4:5], vcc
	s_cbranch_execz .LBB139_83
; %bb.82:                               ;   in Loop: Header=BB139_78 Depth=1
	v_add_co_u32_e32 v4, vcc, v41, v31
	v_addc_co_u32_e32 v5, vcc, 0, v42, vcc
	flat_load_dword v91, v[4:5]
.LBB139_83:                             ;   in Loop: Header=BB139_78 Depth=1
	s_or_b64 exec, exec, s[4:5]
	v_cmp_gt_i32_e32 vcc, s21, v76
	v_mov_b32_e32 v93, 0
	v_mov_b32_e32 v92, 0
	s_and_saveexec_b64 s[4:5], vcc
	s_cbranch_execz .LBB139_85
; %bb.84:                               ;   in Loop: Header=BB139_78 Depth=1
	v_add_co_u32_e32 v4, vcc, v37, v31
	v_addc_co_u32_e32 v5, vcc, 0, v38, vcc
	flat_load_dword v92, v[4:5]
.LBB139_85:                             ;   in Loop: Header=BB139_78 Depth=1
	s_or_b64 exec, exec, s[4:5]
	v_cmp_gt_i32_e32 vcc, s21, v77
	s_and_saveexec_b64 s[4:5], vcc
	s_cbranch_execz .LBB139_87
; %bb.86:                               ;   in Loop: Header=BB139_78 Depth=1
	v_add_co_u32_e32 v4, vcc, v39, v31
	v_addc_co_u32_e32 v5, vcc, 0, v40, vcc
	flat_load_dword v93, v[4:5]
.LBB139_87:                             ;   in Loop: Header=BB139_78 Depth=1
	s_or_b64 exec, exec, s[4:5]
	s_mov_b64 s[4:5], 0
.LBB139_88:                             ;   in Loop: Header=BB139_78 Depth=1
	s_and_b64 vcc, exec, s[4:5]
	s_cbranch_vccz .LBB139_90
; %bb.89:                               ;   in Loop: Header=BB139_78 Depth=1
	s_waitcnt vmcnt(0) lgkmcnt(0)
	flat_load_dword v90, v[2:3]
	v_add_co_u32_e32 v2, vcc, v41, v31
	v_addc_co_u32_e32 v3, vcc, 0, v42, vcc
	flat_load_dword v91, v[2:3]
	v_add_co_u32_e32 v2, vcc, v37, v31
	v_addc_co_u32_e32 v3, vcc, 0, v38, vcc
	;; [unrolled: 3-line block ×3, first 2 shown]
	flat_load_dword v93, v[2:3]
.LBB139_90:                             ;   in Loop: Header=BB139_78 Depth=1
	ds_read_b32 v6, v73
	ds_read_b128 v[2:5], v71
                                        ; implicit-def: $vgpr97
                                        ; implicit-def: $vgpr96
                                        ; implicit-def: $vgpr95
                                        ; implicit-def: $vgpr94
	s_waitcnt vmcnt(0) lgkmcnt(0)
	v_mul_f32_e32 v7, v90, v6
	v_mul_f32_e32 v8, v91, v6
	;; [unrolled: 1-line block ×4, first 2 shown]
	ds_write2_b32 v74, v7, v8 offset1:67
	ds_write2_b32 v74, v9, v6 offset0:134 offset1:201
	s_waitcnt lgkmcnt(0)
	s_barrier
	ds_read2_b32 v[22:23], v70 offset1:1
	ds_read2_b32 v[20:21], v70 offset0:2 offset1:3
	v_add_co_u32_e32 v6, vcc, v49, v31
	v_addc_co_u32_e32 v7, vcc, 0, v50, vcc
	v_cndmask_b32_e64 v8, 0, 1, s[12:13]
	v_cmp_ne_u32_e64 s[4:5], 1, v8
	s_andn2_b64 vcc, exec, s[12:13]
	s_mov_b64 s[12:13], -1
	s_waitcnt lgkmcnt(0)
	s_barrier
	s_cbranch_vccnz .LBB139_100
; %bb.91:                               ;   in Loop: Header=BB139_78 Depth=1
	v_cmp_gt_i32_e32 vcc, s21, v78
	v_mov_b32_e32 v95, 0
	v_mov_b32_e32 v94, 0
	s_and_saveexec_b64 s[12:13], vcc
	s_cbranch_execz .LBB139_93
; %bb.92:                               ;   in Loop: Header=BB139_78 Depth=1
	flat_load_dword v94, v[6:7]
.LBB139_93:                             ;   in Loop: Header=BB139_78 Depth=1
	s_or_b64 exec, exec, s[12:13]
	v_cmp_gt_i32_e32 vcc, s21, v79
	s_and_saveexec_b64 s[12:13], vcc
	s_cbranch_execz .LBB139_95
; %bb.94:                               ;   in Loop: Header=BB139_78 Depth=1
	v_add_co_u32_e32 v8, vcc, v47, v31
	v_addc_co_u32_e32 v9, vcc, 0, v48, vcc
	flat_load_dword v95, v[8:9]
.LBB139_95:                             ;   in Loop: Header=BB139_78 Depth=1
	s_or_b64 exec, exec, s[12:13]
	v_cmp_gt_i32_e32 vcc, s21, v80
	v_mov_b32_e32 v97, 0
	v_mov_b32_e32 v96, 0
	s_and_saveexec_b64 s[12:13], vcc
	s_cbranch_execz .LBB139_97
; %bb.96:                               ;   in Loop: Header=BB139_78 Depth=1
	v_add_co_u32_e32 v8, vcc, v43, v31
	v_addc_co_u32_e32 v9, vcc, 0, v44, vcc
	flat_load_dword v96, v[8:9]
.LBB139_97:                             ;   in Loop: Header=BB139_78 Depth=1
	s_or_b64 exec, exec, s[12:13]
	v_cmp_gt_i32_e32 vcc, s21, v81
	s_and_saveexec_b64 s[12:13], vcc
	s_cbranch_execz .LBB139_99
; %bb.98:                               ;   in Loop: Header=BB139_78 Depth=1
	v_add_co_u32_e32 v8, vcc, v45, v31
	v_addc_co_u32_e32 v9, vcc, 0, v46, vcc
	flat_load_dword v97, v[8:9]
.LBB139_99:                             ;   in Loop: Header=BB139_78 Depth=1
	s_or_b64 exec, exec, s[12:13]
	s_mov_b64 s[12:13], 0
.LBB139_100:                            ;   in Loop: Header=BB139_78 Depth=1
	s_and_b64 vcc, exec, s[12:13]
	s_cbranch_vccz .LBB139_102
; %bb.101:                              ;   in Loop: Header=BB139_78 Depth=1
	s_waitcnt vmcnt(0) lgkmcnt(0)
	flat_load_dword v94, v[6:7]
	v_add_co_u32_e32 v6, vcc, v47, v31
	v_addc_co_u32_e32 v7, vcc, 0, v48, vcc
	flat_load_dword v95, v[6:7]
	v_add_co_u32_e32 v6, vcc, v43, v31
	v_addc_co_u32_e32 v7, vcc, 0, v44, vcc
	;; [unrolled: 3-line block ×3, first 2 shown]
	flat_load_dword v97, v[6:7]
.LBB139_102:                            ;   in Loop: Header=BB139_78 Depth=1
	ds_read_b32 v10, v73
	ds_read_b128 v[6:9], v71 offset:64
	s_mov_b64 s[12:13], -1
                                        ; implicit-def: $vgpr101
                                        ; implicit-def: $vgpr100
                                        ; implicit-def: $vgpr99
                                        ; implicit-def: $vgpr98
	s_waitcnt vmcnt(0) lgkmcnt(0)
	v_mul_f32_e32 v11, v94, v10
	v_mul_f32_e32 v12, v95, v10
	;; [unrolled: 1-line block ×4, first 2 shown]
	ds_write2_b32 v74, v11, v12 offset1:67
	ds_write2_b32 v74, v13, v10 offset0:134 offset1:201
	s_waitcnt lgkmcnt(0)
	s_barrier
	ds_read2_b32 v[16:17], v70 offset1:1
	ds_read2_b32 v[14:15], v70 offset0:2 offset1:3
	v_add_co_u32_e32 v10, vcc, v57, v31
	v_addc_co_u32_e32 v11, vcc, 0, v58, vcc
	s_and_b64 vcc, exec, s[4:5]
	s_waitcnt lgkmcnt(0)
	s_barrier
	s_cbranch_vccnz .LBB139_112
; %bb.103:                              ;   in Loop: Header=BB139_78 Depth=1
	v_cmp_gt_i32_e32 vcc, s21, v82
	v_mov_b32_e32 v99, 0
	v_mov_b32_e32 v98, 0
	s_and_saveexec_b64 s[12:13], vcc
	s_cbranch_execz .LBB139_105
; %bb.104:                              ;   in Loop: Header=BB139_78 Depth=1
	flat_load_dword v98, v[10:11]
.LBB139_105:                            ;   in Loop: Header=BB139_78 Depth=1
	s_or_b64 exec, exec, s[12:13]
	v_cmp_gt_i32_e32 vcc, s21, v83
	s_and_saveexec_b64 s[12:13], vcc
	s_cbranch_execz .LBB139_107
; %bb.106:                              ;   in Loop: Header=BB139_78 Depth=1
	v_add_co_u32_e32 v12, vcc, v55, v31
	v_addc_co_u32_e32 v13, vcc, 0, v56, vcc
	flat_load_dword v99, v[12:13]
.LBB139_107:                            ;   in Loop: Header=BB139_78 Depth=1
	s_or_b64 exec, exec, s[12:13]
	v_cmp_gt_i32_e32 vcc, s21, v84
	v_mov_b32_e32 v101, 0
	v_mov_b32_e32 v100, 0
	s_and_saveexec_b64 s[12:13], vcc
	s_cbranch_execz .LBB139_109
; %bb.108:                              ;   in Loop: Header=BB139_78 Depth=1
	v_add_co_u32_e32 v12, vcc, v51, v31
	v_addc_co_u32_e32 v13, vcc, 0, v52, vcc
	flat_load_dword v100, v[12:13]
.LBB139_109:                            ;   in Loop: Header=BB139_78 Depth=1
	s_or_b64 exec, exec, s[12:13]
	v_cmp_gt_i32_e32 vcc, s21, v85
	s_and_saveexec_b64 s[12:13], vcc
	s_cbranch_execz .LBB139_111
; %bb.110:                              ;   in Loop: Header=BB139_78 Depth=1
	v_add_co_u32_e32 v12, vcc, v53, v31
	v_addc_co_u32_e32 v13, vcc, 0, v54, vcc
	flat_load_dword v101, v[12:13]
.LBB139_111:                            ;   in Loop: Header=BB139_78 Depth=1
	s_or_b64 exec, exec, s[12:13]
	s_mov_b64 s[12:13], 0
.LBB139_112:                            ;   in Loop: Header=BB139_78 Depth=1
	s_and_b64 vcc, exec, s[12:13]
	s_cbranch_vccz .LBB139_114
; %bb.113:                              ;   in Loop: Header=BB139_78 Depth=1
	s_waitcnt vmcnt(0) lgkmcnt(0)
	flat_load_dword v98, v[10:11]
	v_add_co_u32_e32 v10, vcc, v55, v31
	v_addc_co_u32_e32 v11, vcc, 0, v56, vcc
	flat_load_dword v99, v[10:11]
	v_add_co_u32_e32 v10, vcc, v51, v31
	v_addc_co_u32_e32 v11, vcc, 0, v52, vcc
	;; [unrolled: 3-line block ×3, first 2 shown]
	flat_load_dword v101, v[10:11]
.LBB139_114:                            ;   in Loop: Header=BB139_78 Depth=1
	ds_read_b32 v24, v73
	ds_read_b128 v[10:13], v71 offset:128
	v_add_co_u32_e32 v28, vcc, v65, v31
	v_addc_co_u32_e32 v29, vcc, 0, v66, vcc
	s_waitcnt vmcnt(0) lgkmcnt(0)
	v_mul_f32_e32 v25, v98, v24
	v_mul_f32_e32 v26, v99, v24
	v_mul_f32_e32 v27, v100, v24
	v_mul_f32_e32 v24, v101, v24
	ds_write2_b32 v74, v25, v26 offset1:67
	ds_write2_b32 v74, v27, v24 offset0:134 offset1:201
	s_waitcnt lgkmcnt(0)
	s_barrier
	ds_read2_b32 v[26:27], v70 offset1:1
	ds_read2_b32 v[24:25], v70 offset0:2 offset1:3
	s_and_b64 vcc, exec, s[4:5]
	s_mov_b64 s[4:5], -1
	s_waitcnt lgkmcnt(0)
	s_barrier
                                        ; implicit-def: $vgpr105
                                        ; implicit-def: $vgpr104
                                        ; implicit-def: $vgpr103
                                        ; implicit-def: $vgpr102
	s_cbranch_vccnz .LBB139_124
; %bb.115:                              ;   in Loop: Header=BB139_78 Depth=1
	v_cmp_gt_i32_e32 vcc, s21, v86
	v_mov_b32_e32 v103, 0
	v_mov_b32_e32 v102, 0
	s_and_saveexec_b64 s[4:5], vcc
	s_cbranch_execz .LBB139_117
; %bb.116:                              ;   in Loop: Header=BB139_78 Depth=1
	flat_load_dword v102, v[28:29]
.LBB139_117:                            ;   in Loop: Header=BB139_78 Depth=1
	s_or_b64 exec, exec, s[4:5]
	v_cmp_gt_i32_e32 vcc, s21, v87
	s_and_saveexec_b64 s[4:5], vcc
	s_cbranch_execz .LBB139_119
; %bb.118:                              ;   in Loop: Header=BB139_78 Depth=1
	v_add_co_u32_e32 v103, vcc, v63, v31
	v_addc_co_u32_e32 v104, vcc, 0, v64, vcc
	flat_load_dword v103, v[103:104]
.LBB139_119:                            ;   in Loop: Header=BB139_78 Depth=1
	s_or_b64 exec, exec, s[4:5]
	v_cmp_gt_i32_e32 vcc, s21, v88
	v_mov_b32_e32 v105, 0
	v_mov_b32_e32 v104, 0
	s_and_saveexec_b64 s[4:5], vcc
	s_cbranch_execz .LBB139_121
; %bb.120:                              ;   in Loop: Header=BB139_78 Depth=1
	v_add_co_u32_e32 v106, vcc, v59, v31
	v_addc_co_u32_e32 v107, vcc, 0, v60, vcc
	flat_load_dword v104, v[106:107]
.LBB139_121:                            ;   in Loop: Header=BB139_78 Depth=1
	s_or_b64 exec, exec, s[4:5]
	v_cmp_gt_i32_e32 vcc, s21, v89
	s_and_saveexec_b64 s[4:5], vcc
	s_cbranch_execz .LBB139_123
; %bb.122:                              ;   in Loop: Header=BB139_78 Depth=1
	v_add_co_u32_e32 v105, vcc, v61, v31
	v_addc_co_u32_e32 v106, vcc, 0, v62, vcc
	flat_load_dword v105, v[105:106]
.LBB139_123:                            ;   in Loop: Header=BB139_78 Depth=1
	s_or_b64 exec, exec, s[4:5]
	s_mov_b64 s[4:5], 0
.LBB139_124:                            ;   in Loop: Header=BB139_78 Depth=1
	s_and_b64 vcc, exec, s[4:5]
	s_cbranch_vccz .LBB139_126
; %bb.125:                              ;   in Loop: Header=BB139_78 Depth=1
	s_waitcnt vmcnt(0) lgkmcnt(0)
	flat_load_dword v102, v[28:29]
	v_add_co_u32_e32 v28, vcc, v63, v31
	v_addc_co_u32_e32 v29, vcc, 0, v64, vcc
	flat_load_dword v103, v[28:29]
	v_add_co_u32_e32 v28, vcc, v59, v31
	v_addc_co_u32_e32 v29, vcc, 0, v60, vcc
	;; [unrolled: 3-line block ×3, first 2 shown]
	flat_load_dword v105, v[28:29]
.LBB139_126:                            ;   in Loop: Header=BB139_78 Depth=1
	v_add_f32_e32 v26, 0, v26
	v_add_f32_e32 v26, v26, v27
	;; [unrolled: 1-line block ×4, first 2 shown]
	ds_read_b32 v24, v73
	v_add_f32_e32 v16, 0, v16
	v_add_f32_e32 v16, v16, v17
	;; [unrolled: 1-line block ×4, first 2 shown]
	ds_read_b128 v[14:17], v71 offset:192
	s_waitcnt vmcnt(0) lgkmcnt(0)
	v_mul_f32_e32 v25, v102, v24
	v_mul_f32_e32 v28, v103, v24
	ds_write2_b32 v74, v25, v28 offset1:67
	v_mul_f32_e32 v25, v104, v24
	v_mul_f32_e32 v24, v105, v24
	ds_write2_b32 v74, v25, v24 offset0:134 offset1:201
	s_waitcnt lgkmcnt(0)
	s_barrier
	ds_read2_b32 v[24:25], v70 offset1:1
	v_add_f32_e32 v22, 0, v22
	v_add_f32_e32 v28, v22, v23
	ds_read2_b32 v[22:23], v70 offset0:2 offset1:3
	v_add_f32_e32 v20, v28, v20
	v_add_f32_e32 v20, v20, v21
	s_waitcnt lgkmcnt(1)
	v_add_f32_e32 v21, 0, v24
	v_cmp_gt_i32_e32 vcc, s21, v0
	v_add_f32_e32 v21, v21, v25
	s_or_b64 s[4:5], s[10:11], vcc
	s_waitcnt lgkmcnt(0)
	v_add_f32_e32 v21, v21, v22
	s_and_b64 s[10:11], s[2:3], s[4:5]
	v_add_f32_e32 v21, v21, v23
	s_barrier
	ds_write2_b32 v67, v20, v27 offset1:16
	ds_write2_b32 v67, v26, v21 offset0:32 offset1:48
	s_waitcnt lgkmcnt(0)
	s_barrier
	s_and_saveexec_b64 s[4:5], s[10:11]
	s_cbranch_execz .LBB139_128
; %bb.127:                              ;   in Loop: Header=BB139_78 Depth=1
	ds_read2_b32 v[20:21], v68 offset1:1
	ds_read2_b32 v[22:23], v68 offset0:2 offset1:3
	ds_read2_b32 v[24:25], v68 offset0:4 offset1:5
	;; [unrolled: 1-line block ×4, first 2 shown]
	s_waitcnt lgkmcnt(4)
	v_add_f32_e32 v20, v20, v21
	s_waitcnt lgkmcnt(3)
	v_add_f32_e32 v20, v20, v22
	v_add_f32_e32 v20, v20, v23
	s_waitcnt lgkmcnt(2)
	v_add_f32_e32 v20, v20, v24
	;; [unrolled: 3-line block ×3, first 2 shown]
	v_add_f32_e32 v24, v20, v27
	ds_read2_b32 v[20:21], v68 offset0:10 offset1:11
	ds_read2_b32 v[22:23], v68 offset0:12 offset1:13
	ds_read_b32 v25, v68 offset:56
	s_waitcnt lgkmcnt(3)
	v_add_f32_e32 v24, v24, v28
	v_add_f32_e32 v24, v24, v29
	s_waitcnt lgkmcnt(2)
	v_add_f32_e32 v20, v24, v20
	ds_read_b32 v24, v69
	v_add_f32_e32 v20, v20, v21
	s_waitcnt lgkmcnt(2)
	v_add_f32_e32 v20, v20, v22
	v_add_f32_e32 v20, v20, v23
	s_waitcnt lgkmcnt(1)
	v_add_f32_e32 v20, v20, v25
	s_waitcnt lgkmcnt(0)
	v_add_f32_e32 v22, v20, v24
	v_add_u32_e32 v20, s17, v0
	v_ashrrev_i32_e32 v21, 31, v20
	v_lshlrev_b64 v[20:21], 2, v[20:21]
	v_mov_b32_e32 v23, s15
	v_add_co_u32_e32 v20, vcc, s14, v20
	v_addc_co_u32_e32 v21, vcc, v23, v21, vcc
	global_store_dword v[20:21], v22, off
.LBB139_128:                            ;   in Loop: Header=BB139_78 Depth=1
	s_or_b64 exec, exec, s[4:5]
	v_fmac_f32_e32 v30, v90, v2
	v_mov_b32_e32 v2, s9
	v_add_co_u32_e32 v37, vcc, s8, v37
	v_addc_co_u32_e32 v38, vcc, v38, v2, vcc
	v_add_co_u32_e32 v39, vcc, s8, v39
	v_addc_co_u32_e32 v40, vcc, v40, v2, vcc
	v_add_co_u32_e32 v41, vcc, s8, v41
	v_addc_co_u32_e32 v42, vcc, v42, v2, vcc
	v_add_co_u32_e32 v35, vcc, s8, v35
	v_addc_co_u32_e32 v36, vcc, v36, v2, vcc
	v_add_co_u32_e32 v43, vcc, s8, v43
	v_addc_co_u32_e32 v44, vcc, v44, v2, vcc
	v_add_co_u32_e32 v45, vcc, s8, v45
	v_addc_co_u32_e32 v46, vcc, v46, v2, vcc
	v_add_co_u32_e32 v47, vcc, s8, v47
	v_addc_co_u32_e32 v48, vcc, v48, v2, vcc
	v_add_co_u32_e32 v49, vcc, s8, v49
	v_addc_co_u32_e32 v50, vcc, v50, v2, vcc
	v_add_co_u32_e32 v51, vcc, s8, v51
	v_fmac_f32_e32 v30, v91, v3
	v_addc_co_u32_e32 v52, vcc, v52, v2, vcc
	v_fmac_f32_e32 v30, v92, v4
	v_add_co_u32_e32 v53, vcc, s8, v53
	v_fmac_f32_e32 v30, v93, v5
	v_addc_co_u32_e32 v54, vcc, v54, v2, vcc
	v_fmac_f32_e32 v30, v94, v6
	;; [unrolled: 4-line block ×7, first 2 shown]
	s_add_i32 s4, s6, 1
	s_add_i32 s17, s17, 64
	;; [unrolled: 1-line block ×3, first 2 shown]
	v_add_co_u32_e32 v65, vcc, s8, v65
	v_fmac_f32_e32 v30, v105, v17
	s_cmp_ge_u32 s5, s7
	v_addc_co_u32_e32 v66, vcc, v66, v2, vcc
	s_waitcnt vmcnt(0)
	s_barrier
	s_cbranch_scc0 .LBB139_74
.LBB139_129:
	s_movk_i32 s2, 0x10c
	v_cmp_gt_i32_e32 vcc, s20, v0
	v_mad_u32_u24 v1, v1, s2, v31
	s_or_b64 s[2:3], s[22:23], vcc
	s_and_b64 s[0:1], s[0:1], s[2:3]
	ds_write_b32 v1, v30
	s_waitcnt lgkmcnt(0)
	s_barrier
	s_and_saveexec_b64 s[2:3], s[0:1]
	s_cbranch_execz .LBB139_4
; %bb.130:
	ds_read2_b32 v[0:1], v31 offset1:67
	ds_read2_b32 v[2:3], v31 offset0:134 offset1:201
	v_lshlrev_b64 v[4:5], 2, v[18:19]
	v_mov_b32_e32 v6, s15
	s_waitcnt lgkmcnt(1)
	v_add_f32_e32 v0, v0, v1
	s_waitcnt lgkmcnt(0)
	v_add_f32_e32 v0, v0, v2
	v_add_f32_e32 v2, v0, v3
	v_add_co_u32_e32 v0, vcc, s14, v4
	v_addc_co_u32_e32 v1, vcc, v6, v5, vcc
	global_store_dword v[0:1], v2, off
	s_endpgm
	.section	.rodata,"a",@progbits
	.p2align	6, 0x0
	.amdhsa_kernel _ZL26rocblas_hemvn_kernel_upperILb0ELi64ELi4ELi33ELi32ELi16ElfPKPKfPfEviT6_lT7_lT5_lS6_lS7_lS5_lT8_i
		.amdhsa_group_segment_fixed_size 4800
		.amdhsa_private_segment_fixed_size 0
		.amdhsa_kernarg_size 368
		.amdhsa_user_sgpr_count 6
		.amdhsa_user_sgpr_private_segment_buffer 1
		.amdhsa_user_sgpr_dispatch_ptr 0
		.amdhsa_user_sgpr_queue_ptr 0
		.amdhsa_user_sgpr_kernarg_segment_ptr 1
		.amdhsa_user_sgpr_dispatch_id 0
		.amdhsa_user_sgpr_flat_scratch_init 0
		.amdhsa_user_sgpr_private_segment_size 0
		.amdhsa_uses_dynamic_stack 0
		.amdhsa_system_sgpr_private_segment_wavefront_offset 0
		.amdhsa_system_sgpr_workgroup_id_x 1
		.amdhsa_system_sgpr_workgroup_id_y 0
		.amdhsa_system_sgpr_workgroup_id_z 1
		.amdhsa_system_sgpr_workgroup_info 0
		.amdhsa_system_vgpr_workitem_id 1
		.amdhsa_next_free_vgpr 108
		.amdhsa_next_free_sgpr 44
		.amdhsa_reserve_vcc 1
		.amdhsa_reserve_flat_scratch 0
		.amdhsa_float_round_mode_32 0
		.amdhsa_float_round_mode_16_64 0
		.amdhsa_float_denorm_mode_32 3
		.amdhsa_float_denorm_mode_16_64 3
		.amdhsa_dx10_clamp 1
		.amdhsa_ieee_mode 1
		.amdhsa_fp16_overflow 0
		.amdhsa_exception_fp_ieee_invalid_op 0
		.amdhsa_exception_fp_denorm_src 0
		.amdhsa_exception_fp_ieee_div_zero 0
		.amdhsa_exception_fp_ieee_overflow 0
		.amdhsa_exception_fp_ieee_underflow 0
		.amdhsa_exception_fp_ieee_inexact 0
		.amdhsa_exception_int_div_zero 0
	.end_amdhsa_kernel
	.section	.text._ZL26rocblas_hemvn_kernel_upperILb0ELi64ELi4ELi33ELi32ELi16ElfPKPKfPfEviT6_lT7_lT5_lS6_lS7_lS5_lT8_i,"axG",@progbits,_ZL26rocblas_hemvn_kernel_upperILb0ELi64ELi4ELi33ELi32ELi16ElfPKPKfPfEviT6_lT7_lT5_lS6_lS7_lS5_lT8_i,comdat
.Lfunc_end139:
	.size	_ZL26rocblas_hemvn_kernel_upperILb0ELi64ELi4ELi33ELi32ELi16ElfPKPKfPfEviT6_lT7_lT5_lS6_lS7_lS5_lT8_i, .Lfunc_end139-_ZL26rocblas_hemvn_kernel_upperILb0ELi64ELi4ELi33ELi32ELi16ElfPKPKfPfEviT6_lT7_lT5_lS6_lS7_lS5_lT8_i
                                        ; -- End function
	.set _ZL26rocblas_hemvn_kernel_upperILb0ELi64ELi4ELi33ELi32ELi16ElfPKPKfPfEviT6_lT7_lT5_lS6_lS7_lS5_lT8_i.num_vgpr, 108
	.set _ZL26rocblas_hemvn_kernel_upperILb0ELi64ELi4ELi33ELi32ELi16ElfPKPKfPfEviT6_lT7_lT5_lS6_lS7_lS5_lT8_i.num_agpr, 0
	.set _ZL26rocblas_hemvn_kernel_upperILb0ELi64ELi4ELi33ELi32ELi16ElfPKPKfPfEviT6_lT7_lT5_lS6_lS7_lS5_lT8_i.numbered_sgpr, 44
	.set _ZL26rocblas_hemvn_kernel_upperILb0ELi64ELi4ELi33ELi32ELi16ElfPKPKfPfEviT6_lT7_lT5_lS6_lS7_lS5_lT8_i.num_named_barrier, 0
	.set _ZL26rocblas_hemvn_kernel_upperILb0ELi64ELi4ELi33ELi32ELi16ElfPKPKfPfEviT6_lT7_lT5_lS6_lS7_lS5_lT8_i.private_seg_size, 0
	.set _ZL26rocblas_hemvn_kernel_upperILb0ELi64ELi4ELi33ELi32ELi16ElfPKPKfPfEviT6_lT7_lT5_lS6_lS7_lS5_lT8_i.uses_vcc, 1
	.set _ZL26rocblas_hemvn_kernel_upperILb0ELi64ELi4ELi33ELi32ELi16ElfPKPKfPfEviT6_lT7_lT5_lS6_lS7_lS5_lT8_i.uses_flat_scratch, 0
	.set _ZL26rocblas_hemvn_kernel_upperILb0ELi64ELi4ELi33ELi32ELi16ElfPKPKfPfEviT6_lT7_lT5_lS6_lS7_lS5_lT8_i.has_dyn_sized_stack, 0
	.set _ZL26rocblas_hemvn_kernel_upperILb0ELi64ELi4ELi33ELi32ELi16ElfPKPKfPfEviT6_lT7_lT5_lS6_lS7_lS5_lT8_i.has_recursion, 0
	.set _ZL26rocblas_hemvn_kernel_upperILb0ELi64ELi4ELi33ELi32ELi16ElfPKPKfPfEviT6_lT7_lT5_lS6_lS7_lS5_lT8_i.has_indirect_call, 0
	.section	.AMDGPU.csdata,"",@progbits
; Kernel info:
; codeLenInByte = 6620
; TotalNumSgprs: 48
; NumVgprs: 108
; ScratchSize: 0
; MemoryBound: 0
; FloatMode: 240
; IeeeMode: 1
; LDSByteSize: 4800 bytes/workgroup (compile time only)
; SGPRBlocks: 5
; VGPRBlocks: 26
; NumSGPRsForWavesPerEU: 48
; NumVGPRsForWavesPerEU: 108
; Occupancy: 2
; WaveLimiterHint : 1
; COMPUTE_PGM_RSRC2:SCRATCH_EN: 0
; COMPUTE_PGM_RSRC2:USER_SGPR: 6
; COMPUTE_PGM_RSRC2:TRAP_HANDLER: 0
; COMPUTE_PGM_RSRC2:TGID_X_EN: 1
; COMPUTE_PGM_RSRC2:TGID_Y_EN: 0
; COMPUTE_PGM_RSRC2:TGID_Z_EN: 1
; COMPUTE_PGM_RSRC2:TIDIG_COMP_CNT: 1
	.section	.text._ZL36rocblas_hemvn_kernel_upper_block_sumILi64ElfPKPffEviT1_lS3_lT2_lT0_lPT3_i,"axG",@progbits,_ZL36rocblas_hemvn_kernel_upper_block_sumILi64ElfPKPffEviT1_lS3_lT2_lT0_lPT3_i,comdat
	.globl	_ZL36rocblas_hemvn_kernel_upper_block_sumILi64ElfPKPffEviT1_lS3_lT2_lT0_lPT3_i ; -- Begin function _ZL36rocblas_hemvn_kernel_upper_block_sumILi64ElfPKPffEviT1_lS3_lT2_lT0_lPT3_i
	.p2align	8
	.type	_ZL36rocblas_hemvn_kernel_upper_block_sumILi64ElfPKPffEviT1_lS3_lT2_lT0_lPT3_i,@function
_ZL36rocblas_hemvn_kernel_upper_block_sumILi64ElfPKPffEviT1_lS3_lT2_lT0_lPT3_i: ; @_ZL36rocblas_hemvn_kernel_upper_block_sumILi64ElfPKPffEviT1_lS3_lT2_lT0_lPT3_i
; %bb.0:
	s_load_dwordx2 s[8:9], s[4:5], 0x0
	s_load_dword s18, s[4:5], 0x10
	s_mov_b32 s13, 0
	s_waitcnt lgkmcnt(0)
	v_cmp_eq_f32_e64 s[0:1], s9, 0
	v_cmp_eq_f32_e64 s[2:3], s18, 1.0
	s_and_b64 s[0:1], s[0:1], s[2:3]
	s_and_b64 vcc, exec, s[0:1]
	s_cbranch_vccnz .LBB140_19
; %bb.1:
	s_load_dwordx2 s[10:11], s[4:5], 0x20
	s_load_dwordx4 s[0:3], s[4:5], 0x28
	s_mov_b32 s12, s7
	s_lshl_b64 s[14:15], s[12:13], 3
	v_lshl_or_b32 v0, s6, 6, v0
	s_waitcnt lgkmcnt(0)
	s_add_u32 s10, s10, s14
	s_addc_u32 s11, s11, s15
	s_load_dwordx2 s[10:11], s[10:11], 0x0
	s_lshl_b64 s[0:1], s[0:1], 2
	v_cmp_neq_f32_e64 s[14:15], s9, 0
	s_waitcnt lgkmcnt(0)
	s_add_u32 s7, s10, s0
	s_addc_u32 s13, s11, s1
	s_and_b64 vcc, exec, s[14:15]
	v_cmp_gt_i32_e64 s[0:1], s8, v0
	s_cbranch_vccnz .LBB140_6
; %bb.2:
	s_mov_b64 s[14:15], 0
	s_mov_b64 s[10:11], 0
                                        ; implicit-def: $vgpr3
                                        ; implicit-def: $vgpr1_vgpr2
	s_and_saveexec_b64 s[16:17], s[0:1]
	s_cbranch_execz .LBB140_7
; %bb.3:
	v_ashrrev_i32_e32 v1, 31, v0
	v_mul_lo_u32 v4, s3, v0
	v_mul_lo_u32 v5, s2, v1
	v_mad_u64_u32 v[1:2], s[0:1], s2, v0, 0
	v_cmp_eq_f32_e64 s[0:1], s18, 0
	v_mov_b32_e32 v3, 0
	v_add3_u32 v2, v2, v5, v4
	s_and_b64 vcc, exec, s[0:1]
	s_cbranch_vccnz .LBB140_5
; %bb.4:
	v_lshlrev_b64 v[3:4], 2, v[1:2]
	v_mov_b32_e32 v5, s13
	v_add_co_u32_e32 v3, vcc, s7, v3
	v_addc_co_u32_e32 v4, vcc, v5, v4, vcc
	flat_load_dword v3, v[3:4]
	s_waitcnt vmcnt(0) lgkmcnt(0)
	v_mul_f32_e32 v3, s18, v3
.LBB140_5:
	s_mov_b64 s[10:11], exec
	s_or_b64 exec, exec, s[16:17]
	s_and_b64 vcc, exec, s[14:15]
	s_cbranch_vccnz .LBB140_8
	s_branch .LBB140_17
.LBB140_6:
	s_mov_b64 s[10:11], 0
                                        ; implicit-def: $vgpr3
                                        ; implicit-def: $vgpr1_vgpr2
	s_cbranch_execnz .LBB140_8
	s_branch .LBB140_17
.LBB140_7:
	s_or_b64 exec, exec, s[16:17]
	s_and_b64 vcc, exec, s[14:15]
	s_cbranch_vccz .LBB140_17
.LBB140_8:
	v_cmp_gt_i32_e32 vcc, s8, v0
                                        ; implicit-def: $vgpr3
                                        ; implicit-def: $vgpr1_vgpr2
	s_and_saveexec_b64 s[0:1], vcc
	s_cbranch_execz .LBB140_16
; %bb.9:
	v_ashrrev_i32_e32 v1, 31, v0
	s_cmp_lt_i32 s6, 0
	v_mov_b32_e32 v4, 0
	s_cbranch_scc1 .LBB140_12
; %bb.10:
	s_load_dwordx2 s[16:17], s[4:5], 0x40
	s_load_dword s19, s[4:5], 0x50
	s_ashr_i32 s15, s8, 31
	s_mul_hi_u32 s4, s8, s12
	s_mul_i32 s5, s15, s12
	s_mov_b32 s14, s8
	s_add_i32 s4, s4, s5
	s_mul_i32 s8, s8, s12
	s_waitcnt lgkmcnt(0)
	s_mul_i32 s4, s4, s19
	s_mul_hi_u32 s5, s8, s19
	s_add_i32 s5, s5, s4
	s_mul_i32 s4, s8, s19
	s_lshl_b64 s[4:5], s[4:5], 2
	s_add_u32 s4, s16, s4
	v_lshlrev_b64 v[2:3], 2, v[0:1]
	s_addc_u32 s5, s17, s5
	v_mov_b32_e32 v4, s5
	v_add_co_u32_e32 v2, vcc, s4, v2
	s_lshl_b64 s[4:5], s[14:15], 2
	v_addc_co_u32_e32 v3, vcc, v4, v3, vcc
	s_add_i32 s6, s6, 1
	v_mov_b32_e32 v4, 0
	v_mov_b32_e32 v5, s5
.LBB140_11:                             ; =>This Inner Loop Header: Depth=1
	global_load_dword v6, v[2:3], off
	s_add_i32 s6, s6, -1
	v_add_co_u32_e32 v2, vcc, s4, v2
	v_addc_co_u32_e32 v3, vcc, v3, v5, vcc
	s_cmp_eq_u32 s6, 0
	s_waitcnt vmcnt(0)
	v_add_f32_e32 v4, v4, v6
	s_cbranch_scc0 .LBB140_11
.LBB140_12:
	v_mul_lo_u32 v5, s3, v0
	v_mul_lo_u32 v6, s2, v1
	v_cmp_eq_f32_e64 s[4:5], s18, 0
	s_and_b64 vcc, exec, s[4:5]
	s_cbranch_vccz .LBB140_20
; %bb.13:
	v_mad_u64_u32 v[1:2], s[4:5], s2, v0, 0
	v_mul_f32_e32 v3, s9, v4
	v_add3_u32 v2, v2, v6, v5
	s_cbranch_execnz .LBB140_15
.LBB140_14:
	v_mad_u64_u32 v[1:2], s[2:3], s2, v0, 0
	v_mov_b32_e32 v0, s13
	v_add3_u32 v2, v2, v6, v5
	v_lshlrev_b64 v[5:6], 2, v[1:2]
	v_add_co_u32_e32 v5, vcc, s7, v5
	v_addc_co_u32_e32 v6, vcc, v0, v6, vcc
	flat_load_dword v0, v[5:6]
	s_waitcnt vmcnt(0) lgkmcnt(0)
	v_mul_f32_e32 v3, s18, v0
	v_fmac_f32_e32 v3, s9, v4
.LBB140_15:
	s_or_b64 s[10:11], s[10:11], exec
.LBB140_16:
	s_or_b64 exec, exec, s[0:1]
.LBB140_17:
	s_and_saveexec_b64 s[0:1], s[10:11]
	s_cbranch_execz .LBB140_19
; %bb.18:
	v_lshlrev_b64 v[0:1], 2, v[1:2]
	v_mov_b32_e32 v2, s13
	v_add_co_u32_e32 v0, vcc, s7, v0
	v_addc_co_u32_e32 v1, vcc, v2, v1, vcc
	flat_store_dword v[0:1], v3
.LBB140_19:
	s_endpgm
.LBB140_20:
                                        ; implicit-def: $vgpr3
                                        ; implicit-def: $vgpr1_vgpr2
	s_branch .LBB140_14
	.section	.rodata,"a",@progbits
	.p2align	6, 0x0
	.amdhsa_kernel _ZL36rocblas_hemvn_kernel_upper_block_sumILi64ElfPKPffEviT1_lS3_lT2_lT0_lPT3_i
		.amdhsa_group_segment_fixed_size 0
		.amdhsa_private_segment_fixed_size 0
		.amdhsa_kernarg_size 336
		.amdhsa_user_sgpr_count 6
		.amdhsa_user_sgpr_private_segment_buffer 1
		.amdhsa_user_sgpr_dispatch_ptr 0
		.amdhsa_user_sgpr_queue_ptr 0
		.amdhsa_user_sgpr_kernarg_segment_ptr 1
		.amdhsa_user_sgpr_dispatch_id 0
		.amdhsa_user_sgpr_flat_scratch_init 0
		.amdhsa_user_sgpr_private_segment_size 0
		.amdhsa_uses_dynamic_stack 0
		.amdhsa_system_sgpr_private_segment_wavefront_offset 0
		.amdhsa_system_sgpr_workgroup_id_x 1
		.amdhsa_system_sgpr_workgroup_id_y 0
		.amdhsa_system_sgpr_workgroup_id_z 1
		.amdhsa_system_sgpr_workgroup_info 0
		.amdhsa_system_vgpr_workitem_id 0
		.amdhsa_next_free_vgpr 7
		.amdhsa_next_free_sgpr 20
		.amdhsa_reserve_vcc 1
		.amdhsa_reserve_flat_scratch 0
		.amdhsa_float_round_mode_32 0
		.amdhsa_float_round_mode_16_64 0
		.amdhsa_float_denorm_mode_32 3
		.amdhsa_float_denorm_mode_16_64 3
		.amdhsa_dx10_clamp 1
		.amdhsa_ieee_mode 1
		.amdhsa_fp16_overflow 0
		.amdhsa_exception_fp_ieee_invalid_op 0
		.amdhsa_exception_fp_denorm_src 0
		.amdhsa_exception_fp_ieee_div_zero 0
		.amdhsa_exception_fp_ieee_overflow 0
		.amdhsa_exception_fp_ieee_underflow 0
		.amdhsa_exception_fp_ieee_inexact 0
		.amdhsa_exception_int_div_zero 0
	.end_amdhsa_kernel
	.section	.text._ZL36rocblas_hemvn_kernel_upper_block_sumILi64ElfPKPffEviT1_lS3_lT2_lT0_lPT3_i,"axG",@progbits,_ZL36rocblas_hemvn_kernel_upper_block_sumILi64ElfPKPffEviT1_lS3_lT2_lT0_lPT3_i,comdat
.Lfunc_end140:
	.size	_ZL36rocblas_hemvn_kernel_upper_block_sumILi64ElfPKPffEviT1_lS3_lT2_lT0_lPT3_i, .Lfunc_end140-_ZL36rocblas_hemvn_kernel_upper_block_sumILi64ElfPKPffEviT1_lS3_lT2_lT0_lPT3_i
                                        ; -- End function
	.set _ZL36rocblas_hemvn_kernel_upper_block_sumILi64ElfPKPffEviT1_lS3_lT2_lT0_lPT3_i.num_vgpr, 7
	.set _ZL36rocblas_hemvn_kernel_upper_block_sumILi64ElfPKPffEviT1_lS3_lT2_lT0_lPT3_i.num_agpr, 0
	.set _ZL36rocblas_hemvn_kernel_upper_block_sumILi64ElfPKPffEviT1_lS3_lT2_lT0_lPT3_i.numbered_sgpr, 20
	.set _ZL36rocblas_hemvn_kernel_upper_block_sumILi64ElfPKPffEviT1_lS3_lT2_lT0_lPT3_i.num_named_barrier, 0
	.set _ZL36rocblas_hemvn_kernel_upper_block_sumILi64ElfPKPffEviT1_lS3_lT2_lT0_lPT3_i.private_seg_size, 0
	.set _ZL36rocblas_hemvn_kernel_upper_block_sumILi64ElfPKPffEviT1_lS3_lT2_lT0_lPT3_i.uses_vcc, 1
	.set _ZL36rocblas_hemvn_kernel_upper_block_sumILi64ElfPKPffEviT1_lS3_lT2_lT0_lPT3_i.uses_flat_scratch, 0
	.set _ZL36rocblas_hemvn_kernel_upper_block_sumILi64ElfPKPffEviT1_lS3_lT2_lT0_lPT3_i.has_dyn_sized_stack, 0
	.set _ZL36rocblas_hemvn_kernel_upper_block_sumILi64ElfPKPffEviT1_lS3_lT2_lT0_lPT3_i.has_recursion, 0
	.set _ZL36rocblas_hemvn_kernel_upper_block_sumILi64ElfPKPffEviT1_lS3_lT2_lT0_lPT3_i.has_indirect_call, 0
	.section	.AMDGPU.csdata,"",@progbits
; Kernel info:
; codeLenInByte = 632
; TotalNumSgprs: 24
; NumVgprs: 7
; ScratchSize: 0
; MemoryBound: 0
; FloatMode: 240
; IeeeMode: 1
; LDSByteSize: 0 bytes/workgroup (compile time only)
; SGPRBlocks: 2
; VGPRBlocks: 1
; NumSGPRsForWavesPerEU: 24
; NumVGPRsForWavesPerEU: 7
; Occupancy: 10
; WaveLimiterHint : 1
; COMPUTE_PGM_RSRC2:SCRATCH_EN: 0
; COMPUTE_PGM_RSRC2:USER_SGPR: 6
; COMPUTE_PGM_RSRC2:TRAP_HANDLER: 0
; COMPUTE_PGM_RSRC2:TGID_X_EN: 1
; COMPUTE_PGM_RSRC2:TGID_Y_EN: 0
; COMPUTE_PGM_RSRC2:TGID_Z_EN: 1
; COMPUTE_PGM_RSRC2:TIDIG_COMP_CNT: 0
	.section	.text._ZL26rocblas_hemvn_kernel_upperILb0ELi64ELi4ELi33ELi32ELi16EifPKPKfPfEviT6_lT7_lT5_lS6_lS7_lS5_lT8_i,"axG",@progbits,_ZL26rocblas_hemvn_kernel_upperILb0ELi64ELi4ELi33ELi32ELi16EifPKPKfPfEviT6_lT7_lT5_lS6_lS7_lS5_lT8_i,comdat
	.globl	_ZL26rocblas_hemvn_kernel_upperILb0ELi64ELi4ELi33ELi32ELi16EifPKPKfPfEviT6_lT7_lT5_lS6_lS7_lS5_lT8_i ; -- Begin function _ZL26rocblas_hemvn_kernel_upperILb0ELi64ELi4ELi33ELi32ELi16EifPKPKfPfEviT6_lT7_lT5_lS6_lS7_lS5_lT8_i
	.p2align	8
	.type	_ZL26rocblas_hemvn_kernel_upperILb0ELi64ELi4ELi33ELi32ELi16EifPKPKfPfEviT6_lT7_lT5_lS6_lS7_lS5_lT8_i,@function
_ZL26rocblas_hemvn_kernel_upperILb0ELi64ELi4ELi33ELi32ELi16EifPKPKfPfEviT6_lT7_lT5_lS6_lS7_lS5_lT8_i: ; @_ZL26rocblas_hemvn_kernel_upperILb0ELi64ELi4ELi33ELi32ELi16EifPKPKfPfEviT6_lT7_lT5_lS6_lS7_lS5_lT8_i
; %bb.0:
	s_load_dwordx2 s[0:1], s[4:5], 0x7c
	s_add_u32 s10, s4, 0x70
	s_addc_u32 s11, s5, 0
	s_waitcnt lgkmcnt(0)
	s_lshr_b32 s2, s0, 16
	s_and_b32 s0, s0, 0xffff
	s_and_b32 s1, s1, 0xffff
	s_mul_i32 s0, s2, s0
	s_mul_i32 s0, s0, s1
	s_cmpk_lg_i32 s0, 0x100
	s_cbranch_scc1 .LBB141_4
; %bb.1:
	s_load_dwordx2 s[26:27], s[4:5], 0x0
	s_load_dword s2, s[4:5], 0x50
	s_waitcnt lgkmcnt(0)
	v_cmp_eq_f32_e64 s[0:1], s27, 0
	v_cmp_eq_f32_e64 s[2:3], s2, 1.0
	s_and_b64 s[2:3], s[0:1], s[2:3]
	s_and_b64 vcc, exec, s[2:3]
	s_cbranch_vccnz .LBB141_4
; %bb.2:
	s_mov_b32 s24, s7
	s_and_b64 vcc, exec, s[0:1]
	s_cbranch_vccz .LBB141_5
; %bb.3:
	s_cbranch_execz .LBB141_6
.LBB141_4:
	s_endpgm
.LBB141_5:
.LBB141_6:
	s_load_dwordx4 s[0:3], s[4:5], 0x10
	s_load_dwordx4 s[12:15], s[4:5], 0x30
	s_mov_b32 s25, 0
	s_lshl_b64 s[8:9], s[24:25], 3
	s_waitcnt lgkmcnt(0)
	s_add_u32 s0, s0, s8
	s_addc_u32 s1, s1, s9
	s_add_u32 s12, s12, s8
	s_addc_u32 s13, s13, s9
	s_load_dwordx2 s[16:17], s[12:13], 0x0
	s_load_dword s7, s[10:11], 0x0
	s_load_dword s33, s[4:5], 0x40
	s_load_dwordx2 s[8:9], s[0:1], 0x0
	s_lshl_b64 s[0:1], s[14:15], 2
	s_waitcnt lgkmcnt(0)
	s_add_u32 s0, s16, s0
	s_addc_u32 s1, s17, s1
	s_lshl_b32 s28, s6, 6
	v_add_u32_e32 v18, s28, v0
	v_mul_lo_u32 v2, s33, v18
	s_ashr_i32 s27, s26, 31
	s_lshr_b32 s11, s27, 26
	s_add_i32 s11, s26, s11
	v_ashrrev_i32_e32 v3, 31, v2
	s_andn2_b32 s11, s11, 63
	v_lshlrev_b64 v[2:3], 2, v[2:3]
	s_add_i32 s10, s7, -1
	s_sub_i32 s25, s26, s11
	s_cmp_eq_u32 s6, s10
	v_mov_b32_e32 v4, s1
	v_add_co_u32_e32 v8, vcc, s0, v2
	s_cselect_b32 s18, s25, 0
	v_addc_co_u32_e32 v9, vcc, v4, v3, vcc
	v_cmp_eq_u32_e64 s[0:1], 0, v1
	s_and_saveexec_b64 s[10:11], s[0:1]
	s_cbranch_execz .LBB141_10
; %bb.7:
	s_cmp_eq_u32 s18, 0
	s_cselect_b64 s[12:13], -1, 0
	v_cmp_gt_i32_e32 vcc, s18, v0
	s_or_b64 s[14:15], s[12:13], vcc
	v_mov_b32_e32 v2, 0
	s_and_saveexec_b64 s[12:13], s[14:15]
	s_cbranch_execz .LBB141_9
; %bb.8:
	flat_load_dword v2, v[8:9]
.LBB141_9:
	s_or_b64 exec, exec, s[12:13]
	v_lshlrev_b32_e32 v3, 2, v0
	s_waitcnt vmcnt(0) lgkmcnt(0)
	ds_write_b32 v3, v2 offset:4544
.LBB141_10:
	s_or_b64 exec, exec, s[10:11]
	s_load_dword s22, s[4:5], 0x20
	s_lshl_b64 s[2:3], s[2:3], 2
	v_lshl_add_u32 v14, v1, 6, v0
	s_add_u32 s8, s8, s2
	v_and_b32_e32 v2, 31, v0
	v_lshrrev_b32_e32 v5, 5, v14
	s_addc_u32 s9, s9, s3
	s_waitcnt lgkmcnt(0)
	v_mad_u64_u32 v[3:4], s[2:3], s22, v5, v[2:3]
	s_ashr_i32 s29, s28, 31
	s_lshl_b64 s[2:3], s[28:29], 2
	v_ashrrev_i32_e32 v4, 31, v3
	v_lshlrev_b64 v[6:7], 2, v[3:4]
	s_add_u32 s2, s8, s2
	s_addc_u32 s3, s9, s3
	v_add_co_u32_e32 v4, vcc, s2, v6
	s_mul_i32 s2, s22, s28
	v_mov_b32_e32 v3, s3
	s_ashr_i32 s3, s2, 31
	s_lshl_b64 s[2:3], s[2:3], 2
	v_addc_co_u32_e32 v10, vcc, v3, v7, vcc
	s_cmp_eq_u32 s18, 0
	v_mov_b32_e32 v11, s3
	v_add_co_u32_e32 v3, vcc, s2, v4
	s_cselect_b64 s[20:21], -1, 0
	s_cmp_lg_u32 s18, 0
	v_addc_co_u32_e32 v4, vcc, v10, v11, vcc
	s_cselect_b64 s[36:37], -1, 0
	s_and_b64 vcc, exec, s[36:37]
	v_cmp_gt_i32_e64 s[2:3], s18, v2
	v_lshlrev_b32_e32 v15, 2, v2
	s_cbranch_vccz .LBB141_20
; %bb.11:
	v_sub_co_u32_e32 v10, vcc, v3, v15
	s_ashr_i32 s19, s18, 31
	v_subbrev_co_u32_e32 v11, vcc, 0, v4, vcc
	s_lshl_b64 s[8:9], s[18:19], 2
	v_mov_b32_e32 v12, s9
	v_add_co_u32_e32 v10, vcc, s8, v10
	v_addc_co_u32_e32 v11, vcc, v11, v12, vcc
	v_add_co_u32_e32 v10, vcc, -4, v10
	v_addc_co_u32_e32 v11, vcc, -1, v11, vcc
	v_mov_b32_e32 v13, 0
	v_cndmask_b32_e64 v11, v11, v4, s[2:3]
	v_cndmask_b32_e64 v10, v10, v3, s[2:3]
	v_cmp_gt_i32_e32 vcc, s18, v5
	v_mov_b32_e32 v16, 0
	s_and_saveexec_b64 s[10:11], vcc
	s_cbranch_execz .LBB141_13
; %bb.12:
	flat_load_dword v16, v[10:11]
.LBB141_13:
	s_or_b64 exec, exec, s[10:11]
	s_movk_i32 s10, 0x84
	v_mad_u32_u24 v17, v5, s10, v15
	s_waitcnt vmcnt(0) lgkmcnt(0)
	ds_write_b32 v17, v16
	v_add_u32_e32 v16, 8, v5
	v_mul_u32_u24_e32 v12, 0x84, v5
	v_cmp_gt_i32_e32 vcc, s18, v16
	s_and_saveexec_b64 s[10:11], vcc
	s_cbranch_execz .LBB141_15
; %bb.14:
	s_lshl_b32 s12, s22, 3
	s_ashr_i32 s13, s12, 31
	s_lshl_b64 s[12:13], s[12:13], 2
	v_mov_b32_e32 v13, s13
	v_add_co_u32_e32 v16, vcc, s12, v10
	v_addc_co_u32_e32 v17, vcc, v11, v13, vcc
	flat_load_dword v13, v[16:17]
.LBB141_15:
	s_or_b64 exec, exec, s[10:11]
	v_add_u32_e32 v12, v12, v15
	s_waitcnt vmcnt(0) lgkmcnt(0)
	ds_write_b32 v12, v13 offset:1056
	v_add_u32_e32 v13, 16, v5
	v_cmp_gt_i32_e32 vcc, s18, v13
	v_mov_b32_e32 v13, 0
	v_mov_b32_e32 v16, 0
	s_and_saveexec_b64 s[10:11], vcc
	s_cbranch_execz .LBB141_17
; %bb.16:
	s_lshl_b32 s12, s22, 4
	s_ashr_i32 s13, s12, 31
	s_lshl_b64 s[12:13], s[12:13], 2
	v_mov_b32_e32 v17, s13
	v_add_co_u32_e32 v16, vcc, s12, v10
	v_addc_co_u32_e32 v17, vcc, v11, v17, vcc
	flat_load_dword v16, v[16:17]
.LBB141_17:
	s_or_b64 exec, exec, s[10:11]
	s_waitcnt vmcnt(0) lgkmcnt(0)
	ds_write_b32 v12, v16 offset:2112
	v_add_u32_e32 v16, 24, v5
	v_cmp_gt_i32_e32 vcc, s18, v16
	s_and_saveexec_b64 s[10:11], vcc
	s_cbranch_execz .LBB141_19
; %bb.18:
	s_mul_i32 s12, s22, 24
	s_ashr_i32 s13, s12, 31
	s_lshl_b64 s[12:13], s[12:13], 2
	v_mov_b32_e32 v13, s13
	v_add_co_u32_e32 v16, vcc, s12, v10
	v_addc_co_u32_e32 v17, vcc, v11, v13, vcc
	flat_load_dword v13, v[16:17]
.LBB141_19:
	s_or_b64 exec, exec, s[10:11]
	v_add_co_u32_e32 v10, vcc, v10, v15
	v_addc_co_u32_e32 v11, vcc, 0, v11, vcc
	s_waitcnt vmcnt(0) lgkmcnt(0)
	ds_write_b32 v12, v13 offset:3168
	v_mov_b32_e32 v12, s9
	v_subrev_co_u32_e32 v10, vcc, s8, v10
	v_subb_co_u32_e32 v11, vcc, v11, v12, vcc
	v_add_co_u32_e32 v10, vcc, 4, v10
	v_addc_co_u32_e32 v11, vcc, 0, v11, vcc
	v_cndmask_b32_e64 v11, v11, v4, s[2:3]
	v_cndmask_b32_e64 v10, v10, v3, s[2:3]
	s_branch .LBB141_22
.LBB141_20:
                                        ; implicit-def: $vgpr10_vgpr11
	s_cbranch_execz .LBB141_22
; %bb.21:
	s_lshl_b32 s2, s22, 3
	s_ashr_i32 s3, s2, 31
	s_lshl_b64 s[2:3], s[2:3], 2
	v_mov_b32_e32 v11, s3
	v_add_co_u32_e32 v10, vcc, s2, v3
	s_ashr_i32 s23, s22, 31
	v_addc_co_u32_e32 v11, vcc, v4, v11, vcc
	s_lshl_b64 s[2:3], s[22:23], 5
	v_mov_b32_e32 v17, s3
	v_add_co_u32_e32 v12, vcc, s2, v10
	v_addc_co_u32_e32 v13, vcc, v11, v17, vcc
	v_add_co_u32_e32 v16, vcc, s2, v12
	v_addc_co_u32_e32 v17, vcc, v13, v17, vcc
	flat_load_dword v19, v[3:4]
	flat_load_dword v20, v[10:11]
	;; [unrolled: 1-line block ×4, first 2 shown]
	v_mul_u32_u24_e32 v10, 0x84, v5
	v_lshl_add_u32 v10, v2, 2, v10
	s_waitcnt vmcnt(0) lgkmcnt(0)
	ds_write_b32 v10, v19
	ds_write_b32 v10, v20 offset:1056
	ds_write_b32 v10, v21 offset:2112
	;; [unrolled: 1-line block ×3, first 2 shown]
	v_mov_b32_e32 v11, v4
	v_mov_b32_e32 v10, v3
.LBB141_22:
	v_lshlrev_b32_e32 v16, 2, v5
	v_lshl_or_b32 v3, v2, 7, v15
	v_cmp_gt_u32_e64 s[16:17], v16, v2
	v_lshl_add_u32 v3, v16, 2, v3
	s_waitcnt lgkmcnt(0)
	s_barrier
	s_and_saveexec_b64 s[2:3], s[16:17]
	s_cbranch_execz .LBB141_24
; %bb.23:
	s_movk_i32 s8, 0x210
	v_mad_u32_u24 v4, v5, s8, v15
	ds_read_b32 v4, v4
	s_waitcnt lgkmcnt(0)
	ds_write_b32 v3, v4
.LBB141_24:
	s_or_b64 exec, exec, s[2:3]
	v_or_b32_e32 v21, 1, v16
	v_cmp_ge_u32_e64 s[8:9], v16, v2
	s_and_saveexec_b64 s[2:3], s[8:9]
	s_cbranch_execz .LBB141_26
; %bb.25:
	s_movk_i32 s10, 0x84
	v_mad_u32_u24 v4, v21, s10, v15
	ds_read_b32 v4, v4
	s_waitcnt lgkmcnt(0)
	ds_write_b32 v3, v4 offset:4
.LBB141_26:
	s_or_b64 exec, exec, s[2:3]
	v_or_b32_e32 v4, 2, v16
	v_cmp_gt_u32_e64 s[10:11], v4, v2
	s_and_saveexec_b64 s[2:3], s[10:11]
	s_cbranch_execz .LBB141_28
; %bb.27:
	s_movk_i32 s12, 0x84
	v_mad_u32_u24 v4, v4, s12, v15
	ds_read_b32 v4, v4
	s_waitcnt lgkmcnt(0)
	ds_write_b32 v3, v4 offset:8
.LBB141_28:
	s_or_b64 exec, exec, s[2:3]
	v_or_b32_e32 v12, 3, v16
	v_cmp_gt_u32_e64 s[12:13], v12, v2
	v_cmp_le_u32_e32 vcc, v12, v2
                                        ; implicit-def: $vgpr4
	s_and_saveexec_b64 s[2:3], vcc
	s_xor_b64 s[2:3], exec, s[2:3]
; %bb.29:
	v_mul_u32_u24_e32 v4, 0x84, v12
                                        ; implicit-def: $vgpr12
                                        ; implicit-def: $vgpr3
; %bb.30:
	s_andn2_saveexec_b64 s[2:3], s[2:3]
	s_cbranch_execz .LBB141_32
; %bb.31:
	s_movk_i32 s14, 0x84
	v_mad_u32_u24 v4, v12, s14, v15
	ds_read_b32 v13, v4
	v_mul_u32_u24_e32 v4, 0x84, v12
	s_waitcnt lgkmcnt(0)
	ds_write_b32 v3, v13 offset:12
.LBB141_32:
	s_or_b64 exec, exec, s[2:3]
	s_movk_i32 s2, 0x210
	v_mad_u32_u24 v3, v5, s2, v15
	s_movk_i32 s2, 0x84
	s_waitcnt lgkmcnt(0)
	s_barrier
	v_lshlrev_b32_e32 v23, 2, v16
	ds_read_b32 v3, v3
	ds_read_b128 v[24:27], v23 offset:4544
	v_mad_u32_u24 v12, v21, s2, v15
	ds_read2_b32 v[12:13], v12 offset1:33
	v_add_u32_e32 v20, v15, v4
	ds_read_b32 v4, v20
	s_waitcnt lgkmcnt(2)
	v_fma_f32 v3, v3, v24, 0
	v_mov_b32_e32 v30, 0
	s_waitcnt lgkmcnt(1)
	v_fmac_f32_e32 v3, v12, v25
	v_fmac_f32_e32 v3, v13, v26
	s_waitcnt lgkmcnt(0)
	v_fmac_f32_e32 v3, v4, v27
	v_mul_u32_u24_e32 v4, 33, v2
	v_lshlrev_b32_e32 v17, 2, v4
	v_lshl_add_u32 v19, v5, 2, v17
	v_cmp_gt_u32_e64 s[2:3], 32, v14
	s_barrier
	ds_write_b32 v19, v3
	s_waitcnt lgkmcnt(0)
	s_barrier
	s_and_saveexec_b64 s[14:15], s[2:3]
	s_cbranch_execz .LBB141_34
; %bb.33:
	ds_read2_b32 v[3:4], v17 offset1:1
	ds_read2_b32 v[12:13], v17 offset0:2 offset1:3
	ds_read2_b32 v[24:25], v17 offset0:4 offset1:5
	ds_read2_b32 v[26:27], v17 offset0:6 offset1:7
	s_waitcnt lgkmcnt(3)
	v_add_f32_e32 v3, v3, v4
	s_waitcnt lgkmcnt(2)
	v_add_f32_e32 v3, v3, v12
	v_add_f32_e32 v3, v3, v13
	s_waitcnt lgkmcnt(1)
	v_add_f32_e32 v3, v3, v24
	;; [unrolled: 3-line block ×3, first 2 shown]
	v_add_f32_e32 v30, v3, v27
.LBB141_34:
	s_or_b64 exec, exec, s[14:15]
	s_lshl_b32 s34, s22, 5
	s_ashr_i32 s35, s34, 31
	s_lshl_b64 s[30:31], s[34:35], 2
	v_mov_b32_e32 v3, s31
	v_add_co_u32_e32 v10, vcc, s30, v10
	v_addc_co_u32_e32 v11, vcc, v11, v3, vcc
	v_add_co_u32_e32 v3, vcc, 0x80, v10
	v_addc_co_u32_e32 v4, vcc, 0, v11, vcc
	s_and_b64 vcc, exec, s[36:37]
	s_barrier
	s_cbranch_vccz .LBB141_44
; %bb.35:
	v_sub_co_u32_e32 v13, vcc, v10, v15
	s_ashr_i32 s19, s18, 31
	v_subbrev_co_u32_e32 v22, vcc, 0, v11, vcc
	s_lshl_b64 s[38:39], s[18:19], 2
	v_mov_b32_e32 v25, s39
	v_add_co_u32_e32 v13, vcc, s38, v13
	v_addc_co_u32_e32 v22, vcc, v22, v25, vcc
	v_or_b32_e32 v12, 32, v2
	v_add_co_u32_e32 v25, vcc, -4, v13
	v_addc_co_u32_e32 v13, vcc, -1, v22, vcc
	v_cmp_gt_i32_e64 s[14:15], s18, v12
	s_sub_i32 s19, s18, 32
	v_mov_b32_e32 v24, 0
	v_cndmask_b32_e64 v13, v13, v4, s[14:15]
	v_cndmask_b32_e64 v12, v25, v3, s[14:15]
	v_cmp_gt_i32_e32 vcc, s19, v5
	v_mov_b32_e32 v25, 0
	s_and_saveexec_b64 s[40:41], vcc
	s_cbranch_execz .LBB141_37
; %bb.36:
	flat_load_dword v25, v[12:13]
.LBB141_37:
	s_or_b64 exec, exec, s[40:41]
	s_movk_i32 s23, 0x84
	v_mad_u32_u24 v26, v5, s23, v15
	s_waitcnt vmcnt(0) lgkmcnt(0)
	ds_write_b32 v26, v25
	v_add_u32_e32 v25, 8, v5
	v_mul_u32_u24_e32 v22, 0x84, v5
	v_cmp_gt_i32_e32 vcc, s19, v25
	s_and_saveexec_b64 s[40:41], vcc
	s_cbranch_execz .LBB141_39
; %bb.38:
	s_lshl_b32 s42, s22, 3
	s_ashr_i32 s43, s42, 31
	s_lshl_b64 s[42:43], s[42:43], 2
	v_mov_b32_e32 v25, s43
	v_add_co_u32_e32 v24, vcc, s42, v12
	v_addc_co_u32_e32 v25, vcc, v13, v25, vcc
	flat_load_dword v24, v[24:25]
.LBB141_39:
	s_or_b64 exec, exec, s[40:41]
	v_add_u32_e32 v22, v22, v15
	s_waitcnt vmcnt(0) lgkmcnt(0)
	ds_write_b32 v22, v24 offset:1056
	v_add_u32_e32 v24, 16, v5
	v_cmp_gt_i32_e32 vcc, s19, v24
	v_mov_b32_e32 v24, 0
	v_mov_b32_e32 v25, 0
	s_and_saveexec_b64 s[40:41], vcc
	s_cbranch_execz .LBB141_41
; %bb.40:
	s_lshl_b32 s42, s22, 4
	s_ashr_i32 s43, s42, 31
	s_lshl_b64 s[42:43], s[42:43], 2
	v_mov_b32_e32 v26, s43
	v_add_co_u32_e32 v25, vcc, s42, v12
	v_addc_co_u32_e32 v26, vcc, v13, v26, vcc
	flat_load_dword v25, v[25:26]
.LBB141_41:
	s_or_b64 exec, exec, s[40:41]
	s_waitcnt vmcnt(0) lgkmcnt(0)
	ds_write_b32 v22, v25 offset:2112
	v_add_u32_e32 v25, 24, v5
	v_cmp_gt_i32_e32 vcc, s19, v25
	s_and_saveexec_b64 s[40:41], vcc
	s_cbranch_execz .LBB141_43
; %bb.42:
	s_mul_i32 s42, s22, 24
	s_ashr_i32 s43, s42, 31
	s_lshl_b64 s[42:43], s[42:43], 2
	v_mov_b32_e32 v25, s43
	v_add_co_u32_e32 v24, vcc, s42, v12
	v_addc_co_u32_e32 v25, vcc, v13, v25, vcc
	flat_load_dword v24, v[24:25]
.LBB141_43:
	s_or_b64 exec, exec, s[40:41]
	v_add_co_u32_e32 v12, vcc, v12, v15
	v_addc_co_u32_e32 v13, vcc, 0, v13, vcc
	s_waitcnt vmcnt(0) lgkmcnt(0)
	ds_write_b32 v22, v24 offset:3168
	v_mov_b32_e32 v22, s39
	v_subrev_co_u32_e32 v12, vcc, s38, v12
	v_subb_co_u32_e32 v13, vcc, v13, v22, vcc
	v_add_co_u32_e32 v12, vcc, 0x84, v12
	v_addc_co_u32_e32 v13, vcc, 0, v13, vcc
	v_cndmask_b32_e64 v13, v13, v4, s[14:15]
	v_cndmask_b32_e64 v12, v12, v3, s[14:15]
	v_mul_u32_u24_e32 v22, 0x210, v5
	s_branch .LBB141_46
.LBB141_44:
                                        ; implicit-def: $vgpr12_vgpr13
	v_mul_u32_u24_e32 v22, 0x210, v5
	s_cbranch_execz .LBB141_46
; %bb.45:
	s_lshl_b32 s14, s22, 3
	s_ashr_i32 s15, s14, 31
	s_lshl_b64 s[14:15], s[14:15], 2
	v_mov_b32_e32 v13, s15
	v_add_co_u32_e32 v12, vcc, s14, v10
	s_ashr_i32 s23, s22, 31
	v_addc_co_u32_e32 v13, vcc, v11, v13, vcc
	s_lshl_b64 s[14:15], s[22:23], 5
	v_mov_b32_e32 v27, s15
	v_add_co_u32_e32 v24, vcc, s14, v12
	v_addc_co_u32_e32 v25, vcc, v13, v27, vcc
	v_add_co_u32_e32 v26, vcc, s14, v24
	v_addc_co_u32_e32 v27, vcc, v25, v27, vcc
	flat_load_dword v28, v[10:11] offset:128
	flat_load_dword v29, v[12:13] offset:128
	;; [unrolled: 1-line block ×4, first 2 shown]
	s_movk_i32 s14, 0x84
	v_mov_b32_e32 v13, v4
	v_mad_u32_u24 v10, v5, s14, v15
	v_mov_b32_e32 v12, v3
	s_waitcnt vmcnt(0) lgkmcnt(0)
	ds_write_b32 v10, v28
	ds_write_b32 v10, v29 offset:1056
	ds_write_b32 v10, v31 offset:2112
	;; [unrolled: 1-line block ×3, first 2 shown]
.LBB141_46:
	v_mul_u32_u24_e32 v4, 0x84, v21
	v_add_u32_e32 v21, v15, v22
	v_lshl_add_u32 v3, v16, 2, v17
	s_waitcnt lgkmcnt(0)
	s_barrier
	s_and_saveexec_b64 s[14:15], s[16:17]
	s_cbranch_execz .LBB141_50
; %bb.47:
	ds_read_b32 v10, v21
	s_waitcnt lgkmcnt(0)
	ds_write_b32 v3, v10
	s_or_b64 exec, exec, s[14:15]
	v_add_u32_e32 v22, v15, v4
	s_and_saveexec_b64 s[14:15], s[8:9]
	s_cbranch_execnz .LBB141_51
.LBB141_48:
	s_or_b64 exec, exec, s[14:15]
	s_and_saveexec_b64 s[8:9], s[10:11]
	s_cbranch_execz .LBB141_52
.LBB141_49:
	ds_read_b32 v4, v22 offset:132
	s_waitcnt lgkmcnt(0)
	ds_write_b32 v3, v4 offset:8
	s_or_b64 exec, exec, s[8:9]
	v_add_u32_e32 v23, 0x11c0, v23
	s_and_saveexec_b64 s[8:9], s[12:13]
	s_cbranch_execnz .LBB141_53
	s_branch .LBB141_54
.LBB141_50:
	s_or_b64 exec, exec, s[14:15]
	v_add_u32_e32 v22, v15, v4
	s_and_saveexec_b64 s[14:15], s[8:9]
	s_cbranch_execz .LBB141_48
.LBB141_51:
	ds_read_b32 v4, v22
	s_waitcnt lgkmcnt(0)
	ds_write_b32 v3, v4 offset:4
	s_or_b64 exec, exec, s[14:15]
	s_and_saveexec_b64 s[8:9], s[10:11]
	s_cbranch_execnz .LBB141_49
.LBB141_52:
	s_or_b64 exec, exec, s[8:9]
	v_add_u32_e32 v23, 0x11c0, v23
	s_and_saveexec_b64 s[8:9], s[12:13]
	s_cbranch_execz .LBB141_54
.LBB141_53:
	ds_read_b32 v4, v20
	s_waitcnt lgkmcnt(0)
	ds_write_b32 v3, v4 offset:12
.LBB141_54:
	s_or_b64 exec, exec, s[8:9]
	s_waitcnt lgkmcnt(0)
	s_barrier
	ds_read_b32 v10, v21
	ds_read_b128 v[24:27], v23 offset:128
	ds_read2_b32 v[3:4], v22 offset1:33
	ds_read_b32 v11, v20
	v_cmp_eq_u32_e64 s[8:9], 1, v5
	s_waitcnt lgkmcnt(0)
	v_fma_f32 v10, v10, v24, 0
	v_fmac_f32_e32 v10, v3, v25
	v_fmac_f32_e32 v10, v4, v26
	v_fmac_f32_e32 v10, v11, v27
	s_barrier
	ds_write_b32 v19, v10
	s_waitcnt lgkmcnt(0)
	s_barrier
	s_and_saveexec_b64 s[10:11], s[8:9]
	s_cbranch_execz .LBB141_56
; %bb.55:
	ds_read2_b32 v[3:4], v17 offset1:1
	ds_read2_b32 v[10:11], v17 offset0:2 offset1:3
	ds_read2_b32 v[24:25], v17 offset0:4 offset1:5
	;; [unrolled: 1-line block ×3, first 2 shown]
	s_waitcnt lgkmcnt(3)
	v_add_f32_e32 v3, v3, v4
	s_waitcnt lgkmcnt(2)
	v_add_f32_e32 v3, v3, v10
	v_add_f32_e32 v3, v3, v11
	s_waitcnt lgkmcnt(1)
	v_add_f32_e32 v3, v3, v24
	;; [unrolled: 3-line block ×3, first 2 shown]
	v_add_f32_e32 v30, v3, v27
.LBB141_56:
	s_or_b64 exec, exec, s[10:11]
	v_add_co_u32_e32 v3, vcc, 0xffffff80, v12
	v_addc_co_u32_e32 v4, vcc, -1, v13, vcc
	s_and_b64 vcc, exec, s[36:37]
	s_barrier
	s_cbranch_vccz .LBB141_66
; %bb.57:
	v_sub_co_u32_e32 v10, vcc, v3, v15
	s_ashr_i32 s19, s18, 31
	v_subbrev_co_u32_e32 v11, vcc, 0, v4, vcc
	s_lshl_b64 s[12:13], s[18:19], 2
	v_mov_b32_e32 v13, s13
	v_add_co_u32_e32 v10, vcc, s12, v10
	v_addc_co_u32_e32 v11, vcc, v11, v13, vcc
	v_add_co_u32_e32 v10, vcc, -4, v10
	v_addc_co_u32_e32 v11, vcc, -1, v11, vcc
	v_cmp_gt_i32_e32 vcc, s18, v2
	s_sub_i32 s16, s18, 32
	v_mov_b32_e32 v12, 0
	v_cndmask_b32_e32 v11, v11, v4, vcc
	v_cndmask_b32_e32 v10, v10, v3, vcc
	v_cmp_gt_i32_e64 s[10:11], s16, v5
	v_mov_b32_e32 v2, 0
	s_and_saveexec_b64 s[14:15], s[10:11]
	s_cbranch_execz .LBB141_59
; %bb.58:
	flat_load_dword v2, v[10:11]
.LBB141_59:
	s_or_b64 exec, exec, s[14:15]
	s_movk_i32 s10, 0x84
	v_mad_u32_u24 v24, v5, s10, v15
	s_waitcnt vmcnt(0) lgkmcnt(0)
	ds_write_b32 v24, v2
	v_add_u32_e32 v2, 8, v5
	v_mul_u32_u24_e32 v13, 0x84, v5
	v_cmp_gt_i32_e64 s[10:11], s16, v2
	s_and_saveexec_b64 s[14:15], s[10:11]
	s_cbranch_execz .LBB141_61
; %bb.60:
	s_lshl_b32 s10, s22, 3
	s_ashr_i32 s11, s10, 31
	s_lshl_b64 s[10:11], s[10:11], 2
	v_mov_b32_e32 v12, s11
	v_add_co_u32_e64 v24, s[10:11], s10, v10
	v_addc_co_u32_e64 v25, s[10:11], v11, v12, s[10:11]
	flat_load_dword v12, v[24:25]
.LBB141_61:
	s_or_b64 exec, exec, s[14:15]
	v_add_u32_e32 v24, v13, v15
	s_waitcnt vmcnt(0) lgkmcnt(0)
	ds_write_b32 v24, v12 offset:1056
	v_add_u32_e32 v12, 16, v5
	v_cmp_gt_i32_e64 s[10:11], s16, v12
	v_mov_b32_e32 v25, 0
	v_mov_b32_e32 v13, 0
	s_and_saveexec_b64 s[14:15], s[10:11]
	s_cbranch_execz .LBB141_63
; %bb.62:
	s_lshl_b32 s10, s22, 4
	s_ashr_i32 s11, s10, 31
	s_lshl_b64 s[10:11], s[10:11], 2
	v_mov_b32_e32 v13, s11
	v_add_co_u32_e64 v26, s[10:11], s10, v10
	v_addc_co_u32_e64 v27, s[10:11], v11, v13, s[10:11]
	flat_load_dword v13, v[26:27]
.LBB141_63:
	s_or_b64 exec, exec, s[14:15]
	s_waitcnt vmcnt(0) lgkmcnt(0)
	ds_write_b32 v24, v13 offset:2112
	v_add_u32_e32 v13, 24, v5
	v_cmp_gt_i32_e64 s[10:11], s16, v13
	s_and_saveexec_b64 s[14:15], s[10:11]
	s_cbranch_execz .LBB141_65
; %bb.64:
	s_mul_i32 s10, s22, 24
	s_ashr_i32 s11, s10, 31
	s_lshl_b64 s[10:11], s[10:11], 2
	v_mov_b32_e32 v26, s11
	v_add_co_u32_e64 v25, s[10:11], s10, v10
	v_addc_co_u32_e64 v26, s[10:11], v11, v26, s[10:11]
	flat_load_dword v25, v[25:26]
.LBB141_65:
	s_or_b64 exec, exec, s[14:15]
	v_add_co_u32_e64 v10, s[10:11], v10, v15
	v_addc_co_u32_e64 v11, s[10:11], 0, v11, s[10:11]
	s_waitcnt vmcnt(0) lgkmcnt(0)
	ds_write_b32 v24, v25 offset:3168
	v_mov_b32_e32 v24, s13
	v_subrev_co_u32_e64 v10, s[10:11], s12, v10
	v_subb_co_u32_e64 v11, s[10:11], v11, v24, s[10:11]
	v_add_co_u32_e64 v10, s[10:11], 4, v10
	v_addc_co_u32_e64 v11, s[10:11], 0, v11, s[10:11]
	v_cndmask_b32_e32 v11, v11, v4, vcc
	v_cndmask_b32_e32 v10, v10, v3, vcc
	s_branch .LBB141_68
.LBB141_66:
                                        ; implicit-def: $vgpr10_vgpr11
                                        ; implicit-def: $vgpr2
                                        ; implicit-def: $vgpr12
                                        ; implicit-def: $vgpr13
	s_cbranch_execz .LBB141_68
; %bb.67:
	s_lshl_b32 s10, s22, 3
	s_ashr_i32 s11, s10, 31
	s_lshl_b64 s[10:11], s[10:11], 2
	v_mov_b32_e32 v2, s11
	v_add_co_u32_e32 v10, vcc, s10, v3
	s_ashr_i32 s23, s22, 31
	v_addc_co_u32_e32 v11, vcc, v4, v2, vcc
	s_lshl_b64 s[10:11], s[22:23], 5
	v_mov_b32_e32 v2, s11
	v_add_co_u32_e32 v12, vcc, s10, v10
	v_addc_co_u32_e32 v13, vcc, v11, v2, vcc
	v_add_co_u32_e32 v24, vcc, s10, v12
	v_addc_co_u32_e32 v25, vcc, v13, v2, vcc
	flat_load_dword v26, v[3:4]
	flat_load_dword v27, v[10:11]
	;; [unrolled: 1-line block ×4, first 2 shown]
	s_movk_i32 s10, 0x84
	v_mov_b32_e32 v11, v4
	v_add_u32_e32 v2, 8, v5
	v_add_u32_e32 v12, 16, v5
	;; [unrolled: 1-line block ×3, first 2 shown]
	v_mad_u32_u24 v5, v5, s10, v15
	v_mov_b32_e32 v10, v3
	s_waitcnt vmcnt(0) lgkmcnt(0)
	ds_write_b32 v5, v26
	ds_write_b32 v5, v27 offset:1056
	ds_write_b32 v5, v28 offset:2112
	;; [unrolled: 1-line block ×3, first 2 shown]
.LBB141_68:
	v_add_u32_e32 v3, v17, v16
	s_waitcnt lgkmcnt(0)
	s_barrier
	ds_read_b32 v24, v3
	ds_read_b32 v25, v16 offset:4544
	v_lshlrev_b32_e32 v2, 2, v2
	v_lshlrev_b32_e32 v4, 2, v12
	;; [unrolled: 1-line block ×3, first 2 shown]
	v_add_u32_e32 v3, v17, v2
	v_add_u32_e32 v5, v17, v4
	;; [unrolled: 1-line block ×3, first 2 shown]
	ds_read_b32 v26, v3
	ds_read_b32 v27, v5
	;; [unrolled: 1-line block ×4, first 2 shown]
	ds_read_b32 v21, v12 offset:4544
	ds_read_b32 v29, v4 offset:4544
	;; [unrolled: 1-line block ×3, first 2 shown]
	ds_read2_b32 v[12:13], v22 offset1:33
	ds_read_b128 v[2:5], v23 offset:128
	ds_read_b32 v16, v20
	s_waitcnt lgkmcnt(10)
	v_fma_f32 v20, v24, v25, 0
	s_waitcnt lgkmcnt(3)
	v_fmac_f32_e32 v20, v26, v31
	v_fmac_f32_e32 v20, v27, v29
	;; [unrolled: 1-line block ×3, first 2 shown]
	s_waitcnt lgkmcnt(0)
	s_barrier
	ds_write_b32 v19, v20
	s_waitcnt lgkmcnt(0)
	s_barrier
	s_and_saveexec_b64 s[10:11], s[8:9]
	s_cbranch_execz .LBB141_70
; %bb.69:
	ds_read2_b32 v[20:21], v17 offset1:1
	ds_read2_b32 v[22:23], v17 offset0:2 offset1:3
	ds_read2_b32 v[24:25], v17 offset0:4 offset1:5
	;; [unrolled: 1-line block ×3, first 2 shown]
	s_waitcnt lgkmcnt(3)
	v_add_f32_e32 v20, v30, v20
	v_add_f32_e32 v20, v20, v21
	s_waitcnt lgkmcnt(2)
	v_add_f32_e32 v20, v20, v22
	v_add_f32_e32 v20, v20, v23
	;; [unrolled: 3-line block ×4, first 2 shown]
.LBB141_70:
	s_or_b64 exec, exec, s[10:11]
	v_fma_f32 v2, v15, v2, 0
	v_fmac_f32_e32 v2, v12, v3
	v_fmac_f32_e32 v2, v13, v4
	;; [unrolled: 1-line block ×3, first 2 shown]
	s_barrier
	ds_write_b32 v19, v2
	s_waitcnt lgkmcnt(0)
	s_barrier
	s_and_saveexec_b64 s[8:9], s[2:3]
	s_cbranch_execz .LBB141_72
; %bb.71:
	ds_read2_b32 v[2:3], v17 offset1:1
	ds_read2_b32 v[4:5], v17 offset0:2 offset1:3
	ds_read2_b32 v[12:13], v17 offset0:4 offset1:5
	;; [unrolled: 1-line block ×3, first 2 shown]
	s_waitcnt lgkmcnt(3)
	v_add_f32_e32 v2, v30, v2
	v_add_f32_e32 v2, v2, v3
	s_waitcnt lgkmcnt(2)
	v_add_f32_e32 v2, v2, v4
	v_add_f32_e32 v2, v2, v5
	;; [unrolled: 3-line block ×4, first 2 shown]
.LBB141_72:
	s_or_b64 exec, exec, s[8:9]
	s_load_dwordx2 s[2:3], s[4:5], 0x60
	s_mul_hi_u32 s4, s26, s24
	s_mul_i32 s27, s27, s24
	s_add_i32 s4, s4, s27
	s_mul_i32 s8, s26, s24
	s_mul_i32 s4, s4, s7
	s_mul_hi_u32 s5, s8, s7
	s_add_i32 s5, s5, s4
	s_mul_i32 s4, s8, s7
	s_lshl_b64 s[4:5], s[4:5], 2
	s_waitcnt lgkmcnt(0)
	s_add_u32 s4, s2, s4
	s_addc_u32 s5, s3, s5
	s_mul_hi_i32 s3, s26, s6
	s_mul_i32 s2, s26, s6
	s_lshl_b64 s[2:3], s[2:3], 2
	s_add_u32 s19, s4, s2
	s_addc_u32 s24, s5, s3
	s_add_i32 s8, s6, 1
	s_cmp_ge_u32 s8, s7
	v_lshlrev_b32_e32 v31, 2, v0
	s_barrier
	s_cbranch_scc1 .LBB141_129
; %bb.73:
	s_mul_i32 s2, s33, s28
	s_ashr_i32 s3, s2, 31
	v_lshlrev_b32_e32 v32, 2, v1
	s_lshl_b64 s[2:3], s[2:3], 2
	v_mad_u64_u32 v[2:3], s[4:5], s22, v32, v[0:1]
	v_subrev_co_u32_e32 v33, vcc, s2, v8
	s_lshl_b32 s27, s33, 6
	s_lshl_b32 s2, s22, 4
	s_ashr_i32 s23, s22, 31
	s_lshl_b32 s12, s22, 1
	s_mul_i32 s14, s22, 3
	s_mul_i32 s33, s33, s8
	v_mov_b32_e32 v4, s3
	s_add_i32 s26, s7, -2
	s_ashr_i32 s3, s2, 31
	s_ashr_i32 s13, s12, 31
	;; [unrolled: 1-line block ×3, first 2 shown]
	s_lshl_b64 s[4:5], s[22:23], 2
	s_lshl_b32 s8, s33, 6
	s_lshl_b64 s[16:17], s[22:23], 3
	s_add_u32 s9, s16, s30
	s_addc_u32 s28, s17, s31
	s_lshl_b64 s[10:11], s[2:3], 4
	s_add_u32 s38, s4, s30
	s_addc_u32 s39, s5, s31
	;; [unrolled: 3-line block ×4, first 2 shown]
	s_lshl_b64 s[36:37], s[2:3], 2
	s_add_u32 s44, s9, s36
	v_subb_co_u32_e32 v34, vcc, v9, v4, vcc
	s_addc_u32 s45, s28, s37
	v_add_co_u32_e32 v4, vcc, s34, v2
	s_add_u32 s34, s34, s2
	v_mov_b32_e32 v5, s35
	s_addc_u32 s35, s35, s3
	v_ashrrev_i32_e32 v3, 31, v2
	s_add_u32 s46, s38, s36
	v_addc_co_u32_e32 v5, vcc, v5, v3, vcc
	s_addc_u32 s47, s39, s37
	v_lshlrev_b64 v[4:5], 2, v[4:5]
	s_add_u32 s36, s30, s36
	s_mul_hi_i32 s29, s22, 12
	s_mul_i32 s33, s22, 12
	s_addc_u32 s37, s31, s37
	v_mov_b32_e32 v8, s29
	v_add_co_u32_e32 v15, vcc, s33, v4
	s_add_u32 s48, s36, s12
	v_addc_co_u32_e32 v16, vcc, v8, v5, vcc
	s_addc_u32 s49, s37, s13
	v_mov_b32_e32 v9, s35
	v_add_co_u32_e32 v8, vcc, s34, v2
	s_add_u32 s50, s36, s14
	v_addc_co_u32_e32 v9, vcc, v9, v3, vcc
	s_addc_u32 s51, s37, s15
	s_lshl_b64 s[34:35], s[2:3], 3
	v_lshlrev_b64 v[8:9], 2, v[8:9]
	s_add_u32 s52, s9, s34
	s_addc_u32 s53, s28, s35
	v_add_co_u32_e32 v17, vcc, s33, v8
	s_add_u32 s33, s33, s34
	v_mov_b32_e32 v12, s29
	s_addc_u32 s29, s29, s35
	v_addc_co_u32_e32 v19, vcc, v12, v9, vcc
	v_mov_b32_e32 v12, s29
	s_add_u32 s29, s34, s30
	s_addc_u32 s34, s35, s31
	s_add_u32 s35, s29, s4
	s_addc_u32 s54, s34, s5
	;; [unrolled: 2-line block ×4, first 2 shown]
	s_mul_i32 s59, s22, 0xc0
	s_mul_hi_i32 s60, s2, 12
	s_add_u32 s59, s59, s16
	s_addc_u32 s60, s60, s17
	s_add_u32 s16, s22, s2
	v_mad_u64_u32 v[8:9], s[16:17], s16, 12, v[4:5]
	v_add_co_u32_e32 v20, vcc, s33, v4
	s_addc_u32 s3, s23, s3
	v_addc_co_u32_e32 v21, vcc, v12, v5, vcc
	v_mad_u64_u32 v[12:13], s[16:17], s3, 12, v[9:10]
	v_add_co_u32_e32 v35, vcc, v10, v8
	v_mad_i64_i32 v[8:9], s[2:3], s2, 12, v[4:5]
	v_addc_co_u32_e32 v36, vcc, v11, v12, vcc
	v_mov_b32_e32 v13, s60
	v_add_co_u32_e32 v4, vcc, s59, v4
	v_addc_co_u32_e32 v5, vcc, v13, v5, vcc
	v_mov_b32_e32 v12, s5
	v_add_co_u32_e32 v13, vcc, s4, v8
	;; [unrolled: 3-line block ×4, first 2 shown]
	v_addc_co_u32_e32 v24, vcc, v9, v24, vcc
	v_add_co_u32_e32 v37, vcc, v10, v8
	v_addc_co_u32_e32 v38, vcc, v11, v9, vcc
	v_mov_b32_e32 v8, s31
	v_add_co_u32_e32 v39, vcc, s30, v10
	v_addc_co_u32_e32 v40, vcc, v11, v8, vcc
	v_mov_b32_e32 v8, s28
	v_add_co_u32_e32 v41, vcc, s9, v10
	v_addc_co_u32_e32 v42, vcc, v11, v8, vcc
	v_add_co_u32_e32 v43, vcc, v10, v15
	v_addc_co_u32_e32 v44, vcc, v11, v16, vcc
	v_mov_b32_e32 v8, s39
	v_add_co_u32_e32 v45, vcc, s38, v10
	v_addc_co_u32_e32 v46, vcc, v11, v8, vcc
	v_mov_b32_e32 v8, s41
	;; [unrolled: 3-line block ×4, first 2 shown]
	v_add_co_u32_e32 v51, vcc, s44, v10
	v_addc_co_u32_e32 v52, vcc, v11, v8, vcc
	v_add_co_u32_e32 v53, vcc, v10, v17
	v_addc_co_u32_e32 v54, vcc, v11, v19, vcc
	v_mov_b32_e32 v8, s47
	v_add_co_u32_e32 v55, vcc, s46, v10
	v_addc_co_u32_e32 v56, vcc, v11, v8, vcc
	v_mov_b32_e32 v8, s37
	;; [unrolled: 3-line block ×5, first 2 shown]
	v_add_co_u32_e32 v63, vcc, s52, v10
	v_addc_co_u32_e32 v64, vcc, v11, v8, vcc
	v_add_co_u32_e32 v65, vcc, v10, v20
	v_addc_co_u32_e32 v66, vcc, v11, v21, vcc
	v_mov_b32_e32 v8, s54
	v_add_co_u32_e32 v67, vcc, s35, v10
	v_addc_co_u32_e32 v68, vcc, v11, v8, vcc
	v_mov_b32_e32 v8, s34
	;; [unrolled: 3-line block ×4, first 2 shown]
	v_add_co_u32_e32 v73, vcc, s57, v10
	v_addc_co_u32_e32 v74, vcc, v11, v8, vcc
	v_add_co_u32_e32 v75, vcc, v10, v4
	v_addc_co_u32_e32 v76, vcc, v11, v5, vcc
	v_add_co_u32_e32 v77, vcc, v10, v13
	v_addc_co_u32_e32 v78, vcc, v11, v12, vcc
	v_add_co_u32_e32 v79, vcc, v10, v23
	v_addc_co_u32_e32 v80, vcc, v11, v22, vcc
	v_add_co_u32_e32 v81, vcc, v10, v25
	v_lshlrev_b64 v[2:3], 2, v[2:3]
	v_addc_co_u32_e32 v82, vcc, v11, v24, vcc
	v_sub_co_u32_e32 v83, vcc, v2, v6
	v_lshrrev_b32_e32 v2, 2, v14
	v_subb_co_u32_e32 v84, vcc, v3, v7, vcc
	s_movk_i32 s2, 0x10c
	v_and_b32_e32 v2, 0x1ffc, v2
	v_and_b32_e32 v3, 15, v0
	v_mad_u32_u24 v87, v3, s2, v2
	v_and_b32_e32 v2, 48, v0
	v_lshlrev_b32_e32 v2, 2, v2
	v_mad_u32_u24 v88, v3, s2, v2
	v_or_b32_e32 v2, 60, v31
	v_mad_u32_u24 v89, v3, s2, v2
	v_mul_u32_u24_e32 v2, 0x10c, v3
	v_and_b32_e32 v3, 0x7ff0, v14
	v_sub_co_u32_e32 v85, vcc, 0, v6
	v_add_u32_e32 v90, v2, v3
	v_mov_b32_e32 v2, 0x10c0
	s_movk_i32 s4, 0x430
	v_subb_co_u32_e32 v86, vcc, 0, v7, vcc
	v_cmp_gt_u32_e64 s[2:3], 64, v14
	v_lshl_add_u32 v91, v1, 4, v2
	v_add_u32_e32 v92, 0x10c0, v31
	v_add_u32_e32 v93, 0x11c0, v31
	v_mad_u32_u24 v94, v1, s4, v31
	v_or_b32_e32 v95, 1, v32
	v_or_b32_e32 v96, 2, v32
	;; [unrolled: 1-line block ×3, first 2 shown]
	v_add_u32_e32 v98, 16, v32
	v_add_u32_e32 v99, 17, v32
	;; [unrolled: 1-line block ×13, first 2 shown]
	s_cmp_eq_u32 s26, s6
	s_cselect_b32 s16, s25, 0
	s_and_saveexec_b64 s[4:5], s[0:1]
	s_cbranch_execz .LBB141_78
	s_branch .LBB141_75
.LBB141_74:                             ;   in Loop: Header=BB141_78 Depth=1
	s_mov_b32 s6, s4
	s_cmp_eq_u32 s26, s6
	s_cselect_b32 s16, s25, 0
	s_and_saveexec_b64 s[4:5], s[0:1]
	s_cbranch_execz .LBB141_78
.LBB141_75:
	s_cmp_eq_u32 s16, 0
	s_cselect_b64 s[12:13], -1, 0
	v_cmp_gt_i32_e32 vcc, s16, v0
	s_or_b64 s[14:15], s[12:13], vcc
	v_mov_b32_e32 v2, 0
	s_and_saveexec_b64 s[12:13], s[14:15]
	s_cbranch_execz .LBB141_77
; %bb.76:
	s_ashr_i32 s9, s8, 31
	s_lshl_b64 s[14:15], s[8:9], 2
	v_mov_b32_e32 v3, s15
	v_add_co_u32_e32 v2, vcc, s14, v33
	v_addc_co_u32_e32 v3, vcc, v34, v3, vcc
	flat_load_dword v2, v[2:3]
.LBB141_77:
	s_or_b64 exec, exec, s[12:13]
	s_waitcnt vmcnt(0) lgkmcnt(0)
	ds_write_b32 v92, v2
.LBB141_78:                             ; =>This Inner Loop Header: Depth=1
	s_or_b64 exec, exec, s[4:5]
	s_cmp_eq_u32 s16, 0
	v_add_co_u32_e32 v2, vcc, v39, v83
	s_cselect_b64 s[12:13], -1, 0
	s_cmp_lg_u32 s16, 0
	v_addc_co_u32_e32 v3, vcc, v40, v84, vcc
	s_cselect_b64 s[14:15], -1, 0
	s_mov_b64 s[4:5], -1
	s_and_b64 vcc, exec, s[14:15]
	s_waitcnt lgkmcnt(0)
	s_barrier
                                        ; implicit-def: $vgpr113
                                        ; implicit-def: $vgpr112
                                        ; implicit-def: $vgpr111
                                        ; implicit-def: $vgpr110
	s_cbranch_vccz .LBB141_88
; %bb.79:                               ;   in Loop: Header=BB141_78 Depth=1
	v_cmp_gt_i32_e32 vcc, s16, v32
	v_mov_b32_e32 v111, 0
	v_mov_b32_e32 v110, 0
	s_and_saveexec_b64 s[4:5], vcc
	s_cbranch_execz .LBB141_81
; %bb.80:                               ;   in Loop: Header=BB141_78 Depth=1
	flat_load_dword v110, v[2:3]
.LBB141_81:                             ;   in Loop: Header=BB141_78 Depth=1
	s_or_b64 exec, exec, s[4:5]
	v_cmp_gt_i32_e32 vcc, s16, v95
	s_and_saveexec_b64 s[4:5], vcc
	s_cbranch_execz .LBB141_83
; %bb.82:                               ;   in Loop: Header=BB141_78 Depth=1
	v_add_co_u32_e32 v4, vcc, v45, v83
	v_addc_co_u32_e32 v5, vcc, v46, v84, vcc
	flat_load_dword v111, v[4:5]
.LBB141_83:                             ;   in Loop: Header=BB141_78 Depth=1
	s_or_b64 exec, exec, s[4:5]
	v_cmp_gt_i32_e32 vcc, s16, v96
	v_mov_b32_e32 v113, 0
	v_mov_b32_e32 v112, 0
	s_and_saveexec_b64 s[4:5], vcc
	s_cbranch_execz .LBB141_85
; %bb.84:                               ;   in Loop: Header=BB141_78 Depth=1
	v_add_co_u32_e32 v4, vcc, v47, v83
	v_addc_co_u32_e32 v5, vcc, v48, v84, vcc
	flat_load_dword v112, v[4:5]
.LBB141_85:                             ;   in Loop: Header=BB141_78 Depth=1
	s_or_b64 exec, exec, s[4:5]
	v_cmp_gt_i32_e32 vcc, s16, v97
	s_and_saveexec_b64 s[4:5], vcc
	s_cbranch_execz .LBB141_87
; %bb.86:                               ;   in Loop: Header=BB141_78 Depth=1
	v_add_co_u32_e32 v4, vcc, v49, v83
	v_addc_co_u32_e32 v5, vcc, v50, v84, vcc
	flat_load_dword v113, v[4:5]
.LBB141_87:                             ;   in Loop: Header=BB141_78 Depth=1
	s_or_b64 exec, exec, s[4:5]
	s_mov_b64 s[4:5], 0
.LBB141_88:                             ;   in Loop: Header=BB141_78 Depth=1
	s_and_b64 vcc, exec, s[4:5]
	s_cbranch_vccz .LBB141_90
; %bb.89:                               ;   in Loop: Header=BB141_78 Depth=1
	s_waitcnt vmcnt(0) lgkmcnt(0)
	flat_load_dword v110, v[2:3]
	v_add_co_u32_e32 v2, vcc, v45, v83
	v_addc_co_u32_e32 v3, vcc, v46, v84, vcc
	flat_load_dword v111, v[2:3]
	v_add_co_u32_e32 v2, vcc, v41, v83
	v_addc_co_u32_e32 v3, vcc, v42, v84, vcc
	;; [unrolled: 3-line block ×3, first 2 shown]
	flat_load_dword v113, v[2:3]
.LBB141_90:                             ;   in Loop: Header=BB141_78 Depth=1
	ds_read_b32 v6, v93
	ds_read_b128 v[2:5], v91
                                        ; implicit-def: $vgpr117
                                        ; implicit-def: $vgpr116
                                        ; implicit-def: $vgpr115
                                        ; implicit-def: $vgpr114
	s_waitcnt vmcnt(0) lgkmcnt(0)
	v_mul_f32_e32 v7, v110, v6
	v_mul_f32_e32 v8, v111, v6
	;; [unrolled: 1-line block ×4, first 2 shown]
	ds_write2_b32 v94, v7, v8 offset1:67
	ds_write2_b32 v94, v9, v6 offset0:134 offset1:201
	s_waitcnt lgkmcnt(0)
	s_barrier
	ds_read2_b32 v[22:23], v90 offset1:1
	ds_read2_b32 v[20:21], v90 offset0:2 offset1:3
	v_add_co_u32_e32 v6, vcc, v57, v83
	v_addc_co_u32_e32 v7, vcc, v58, v84, vcc
	v_cndmask_b32_e64 v8, 0, 1, s[14:15]
	v_cmp_ne_u32_e64 s[4:5], 1, v8
	s_andn2_b64 vcc, exec, s[14:15]
	s_mov_b64 s[14:15], -1
	s_waitcnt lgkmcnt(0)
	s_barrier
	s_cbranch_vccnz .LBB141_100
; %bb.91:                               ;   in Loop: Header=BB141_78 Depth=1
	v_cmp_gt_i32_e32 vcc, s16, v98
	v_mov_b32_e32 v115, 0
	v_mov_b32_e32 v114, 0
	s_and_saveexec_b64 s[14:15], vcc
	s_cbranch_execz .LBB141_93
; %bb.92:                               ;   in Loop: Header=BB141_78 Depth=1
	flat_load_dword v114, v[6:7]
.LBB141_93:                             ;   in Loop: Header=BB141_78 Depth=1
	s_or_b64 exec, exec, s[14:15]
	v_cmp_gt_i32_e32 vcc, s16, v99
	s_and_saveexec_b64 s[14:15], vcc
	s_cbranch_execz .LBB141_95
; %bb.94:                               ;   in Loop: Header=BB141_78 Depth=1
	v_add_co_u32_e32 v8, vcc, v55, v83
	v_addc_co_u32_e32 v9, vcc, v56, v84, vcc
	flat_load_dword v115, v[8:9]
.LBB141_95:                             ;   in Loop: Header=BB141_78 Depth=1
	s_or_b64 exec, exec, s[14:15]
	v_cmp_gt_i32_e32 vcc, s16, v100
	v_mov_b32_e32 v117, 0
	v_mov_b32_e32 v116, 0
	s_and_saveexec_b64 s[14:15], vcc
	s_cbranch_execz .LBB141_97
; %bb.96:                               ;   in Loop: Header=BB141_78 Depth=1
	v_add_co_u32_e32 v8, vcc, v59, v83
	v_addc_co_u32_e32 v9, vcc, v60, v84, vcc
	flat_load_dword v116, v[8:9]
.LBB141_97:                             ;   in Loop: Header=BB141_78 Depth=1
	s_or_b64 exec, exec, s[14:15]
	v_cmp_gt_i32_e32 vcc, s16, v101
	s_and_saveexec_b64 s[14:15], vcc
	s_cbranch_execz .LBB141_99
; %bb.98:                               ;   in Loop: Header=BB141_78 Depth=1
	v_add_co_u32_e32 v8, vcc, v61, v83
	v_addc_co_u32_e32 v9, vcc, v62, v84, vcc
	flat_load_dword v117, v[8:9]
.LBB141_99:                             ;   in Loop: Header=BB141_78 Depth=1
	s_or_b64 exec, exec, s[14:15]
	s_mov_b64 s[14:15], 0
.LBB141_100:                            ;   in Loop: Header=BB141_78 Depth=1
	s_and_b64 vcc, exec, s[14:15]
	s_cbranch_vccz .LBB141_102
; %bb.101:                              ;   in Loop: Header=BB141_78 Depth=1
	s_waitcnt vmcnt(0) lgkmcnt(0)
	flat_load_dword v114, v[6:7]
	v_add_co_u32_e32 v6, vcc, v55, v83
	v_addc_co_u32_e32 v7, vcc, v56, v84, vcc
	flat_load_dword v115, v[6:7]
	v_add_co_u32_e32 v6, vcc, v51, v83
	v_addc_co_u32_e32 v7, vcc, v52, v84, vcc
	;; [unrolled: 3-line block ×3, first 2 shown]
	flat_load_dword v117, v[6:7]
.LBB141_102:                            ;   in Loop: Header=BB141_78 Depth=1
	ds_read_b32 v10, v93
	ds_read_b128 v[6:9], v91 offset:64
	s_mov_b64 s[14:15], -1
                                        ; implicit-def: $vgpr121
                                        ; implicit-def: $vgpr120
                                        ; implicit-def: $vgpr119
                                        ; implicit-def: $vgpr118
	s_waitcnt vmcnt(0) lgkmcnt(0)
	v_mul_f32_e32 v11, v114, v10
	v_mul_f32_e32 v12, v115, v10
	;; [unrolled: 1-line block ×4, first 2 shown]
	ds_write2_b32 v94, v11, v12 offset1:67
	ds_write2_b32 v94, v13, v10 offset0:134 offset1:201
	s_waitcnt lgkmcnt(0)
	s_barrier
	ds_read2_b32 v[16:17], v90 offset1:1
	ds_read2_b32 v[14:15], v90 offset0:2 offset1:3
	v_add_co_u32_e32 v10, vcc, v69, v83
	v_addc_co_u32_e32 v11, vcc, v70, v84, vcc
	s_and_b64 vcc, exec, s[4:5]
	s_waitcnt lgkmcnt(0)
	s_barrier
	s_cbranch_vccnz .LBB141_112
; %bb.103:                              ;   in Loop: Header=BB141_78 Depth=1
	v_cmp_gt_i32_e32 vcc, s16, v102
	v_mov_b32_e32 v119, 0
	v_mov_b32_e32 v118, 0
	s_and_saveexec_b64 s[14:15], vcc
	s_cbranch_execz .LBB141_105
; %bb.104:                              ;   in Loop: Header=BB141_78 Depth=1
	flat_load_dword v118, v[10:11]
.LBB141_105:                            ;   in Loop: Header=BB141_78 Depth=1
	s_or_b64 exec, exec, s[14:15]
	v_cmp_gt_i32_e32 vcc, s16, v103
	s_and_saveexec_b64 s[14:15], vcc
	s_cbranch_execz .LBB141_107
; %bb.106:                              ;   in Loop: Header=BB141_78 Depth=1
	v_add_co_u32_e32 v12, vcc, v67, v83
	v_addc_co_u32_e32 v13, vcc, v68, v84, vcc
	flat_load_dword v119, v[12:13]
.LBB141_107:                            ;   in Loop: Header=BB141_78 Depth=1
	s_or_b64 exec, exec, s[14:15]
	v_cmp_gt_i32_e32 vcc, s16, v104
	v_mov_b32_e32 v121, 0
	v_mov_b32_e32 v120, 0
	s_and_saveexec_b64 s[14:15], vcc
	s_cbranch_execz .LBB141_109
; %bb.108:                              ;   in Loop: Header=BB141_78 Depth=1
	v_add_co_u32_e32 v12, vcc, v71, v83
	v_addc_co_u32_e32 v13, vcc, v72, v84, vcc
	flat_load_dword v120, v[12:13]
.LBB141_109:                            ;   in Loop: Header=BB141_78 Depth=1
	s_or_b64 exec, exec, s[14:15]
	v_cmp_gt_i32_e32 vcc, s16, v105
	s_and_saveexec_b64 s[14:15], vcc
	s_cbranch_execz .LBB141_111
; %bb.110:                              ;   in Loop: Header=BB141_78 Depth=1
	v_add_co_u32_e32 v12, vcc, v73, v83
	v_addc_co_u32_e32 v13, vcc, v74, v84, vcc
	flat_load_dword v121, v[12:13]
.LBB141_111:                            ;   in Loop: Header=BB141_78 Depth=1
	s_or_b64 exec, exec, s[14:15]
	s_mov_b64 s[14:15], 0
.LBB141_112:                            ;   in Loop: Header=BB141_78 Depth=1
	s_and_b64 vcc, exec, s[14:15]
	s_cbranch_vccz .LBB141_114
; %bb.113:                              ;   in Loop: Header=BB141_78 Depth=1
	s_waitcnt vmcnt(0) lgkmcnt(0)
	flat_load_dword v118, v[10:11]
	v_add_co_u32_e32 v10, vcc, v67, v83
	v_addc_co_u32_e32 v11, vcc, v68, v84, vcc
	flat_load_dword v119, v[10:11]
	v_add_co_u32_e32 v10, vcc, v63, v83
	v_addc_co_u32_e32 v11, vcc, v64, v84, vcc
	;; [unrolled: 3-line block ×3, first 2 shown]
	flat_load_dword v121, v[10:11]
.LBB141_114:                            ;   in Loop: Header=BB141_78 Depth=1
	ds_read_b32 v24, v93
	ds_read_b128 v[10:13], v91 offset:128
	v_add_co_u32_e32 v28, vcc, v37, v85
	v_addc_co_u32_e32 v29, vcc, v38, v86, vcc
	s_waitcnt vmcnt(0) lgkmcnt(0)
	v_mul_f32_e32 v25, v118, v24
	v_mul_f32_e32 v26, v119, v24
	;; [unrolled: 1-line block ×4, first 2 shown]
	ds_write2_b32 v94, v25, v26 offset1:67
	ds_write2_b32 v94, v27, v24 offset0:134 offset1:201
	s_waitcnt lgkmcnt(0)
	s_barrier
	ds_read2_b32 v[26:27], v90 offset1:1
	ds_read2_b32 v[24:25], v90 offset0:2 offset1:3
	s_and_b64 vcc, exec, s[4:5]
	s_mov_b64 s[4:5], -1
	s_waitcnt lgkmcnt(0)
	s_barrier
                                        ; implicit-def: $vgpr125
                                        ; implicit-def: $vgpr124
                                        ; implicit-def: $vgpr123
                                        ; implicit-def: $vgpr122
	s_cbranch_vccnz .LBB141_124
; %bb.115:                              ;   in Loop: Header=BB141_78 Depth=1
	v_cmp_gt_i32_e32 vcc, s16, v106
	v_mov_b32_e32 v123, 0
	v_mov_b32_e32 v122, 0
	s_and_saveexec_b64 s[4:5], vcc
	s_cbranch_execz .LBB141_117
; %bb.116:                              ;   in Loop: Header=BB141_78 Depth=1
	flat_load_dword v122, v[28:29]
.LBB141_117:                            ;   in Loop: Header=BB141_78 Depth=1
	s_or_b64 exec, exec, s[4:5]
	v_cmp_gt_i32_e32 vcc, s16, v107
	s_and_saveexec_b64 s[4:5], vcc
	s_cbranch_execz .LBB141_119
; %bb.118:                              ;   in Loop: Header=BB141_78 Depth=1
	v_add_co_u32_e32 v123, vcc, v77, v85
	v_addc_co_u32_e32 v124, vcc, v78, v86, vcc
	flat_load_dword v123, v[123:124]
.LBB141_119:                            ;   in Loop: Header=BB141_78 Depth=1
	s_or_b64 exec, exec, s[4:5]
	v_cmp_gt_i32_e32 vcc, s16, v108
	v_mov_b32_e32 v125, 0
	v_mov_b32_e32 v124, 0
	s_and_saveexec_b64 s[4:5], vcc
	s_cbranch_execz .LBB141_121
; %bb.120:                              ;   in Loop: Header=BB141_78 Depth=1
	v_add_co_u32_e32 v126, vcc, v79, v85
	v_addc_co_u32_e32 v127, vcc, v80, v86, vcc
	flat_load_dword v124, v[126:127]
.LBB141_121:                            ;   in Loop: Header=BB141_78 Depth=1
	s_or_b64 exec, exec, s[4:5]
	v_cmp_gt_i32_e32 vcc, s16, v109
	s_and_saveexec_b64 s[4:5], vcc
	s_cbranch_execz .LBB141_123
; %bb.122:                              ;   in Loop: Header=BB141_78 Depth=1
	v_add_co_u32_e32 v125, vcc, v81, v85
	v_addc_co_u32_e32 v126, vcc, v82, v86, vcc
	flat_load_dword v125, v[125:126]
.LBB141_123:                            ;   in Loop: Header=BB141_78 Depth=1
	s_or_b64 exec, exec, s[4:5]
	s_mov_b64 s[4:5], 0
.LBB141_124:                            ;   in Loop: Header=BB141_78 Depth=1
	s_and_b64 vcc, exec, s[4:5]
	s_cbranch_vccz .LBB141_126
; %bb.125:                              ;   in Loop: Header=BB141_78 Depth=1
	s_waitcnt vmcnt(0) lgkmcnt(0)
	flat_load_dword v122, v[28:29]
	v_add_co_u32_e32 v28, vcc, v77, v85
	v_addc_co_u32_e32 v29, vcc, v78, v86, vcc
	flat_load_dword v123, v[28:29]
	v_add_co_u32_e32 v28, vcc, v75, v85
	v_addc_co_u32_e32 v29, vcc, v76, v86, vcc
	;; [unrolled: 3-line block ×3, first 2 shown]
	flat_load_dword v125, v[28:29]
.LBB141_126:                            ;   in Loop: Header=BB141_78 Depth=1
	v_add_f32_e32 v26, 0, v26
	v_add_f32_e32 v26, v26, v27
	;; [unrolled: 1-line block ×4, first 2 shown]
	ds_read_b32 v24, v93
	v_add_f32_e32 v16, 0, v16
	v_add_f32_e32 v16, v16, v17
	;; [unrolled: 1-line block ×4, first 2 shown]
	ds_read_b128 v[14:17], v91 offset:192
	s_waitcnt vmcnt(0) lgkmcnt(0)
	v_mul_f32_e32 v25, v122, v24
	v_mul_f32_e32 v28, v123, v24
	ds_write2_b32 v94, v25, v28 offset1:67
	v_mul_f32_e32 v25, v124, v24
	v_mul_f32_e32 v24, v125, v24
	ds_write2_b32 v94, v25, v24 offset0:134 offset1:201
	s_waitcnt lgkmcnt(0)
	s_barrier
	ds_read2_b32 v[24:25], v90 offset1:1
	v_add_f32_e32 v22, 0, v22
	v_add_f32_e32 v28, v22, v23
	ds_read2_b32 v[22:23], v90 offset0:2 offset1:3
	v_add_f32_e32 v20, v28, v20
	v_add_f32_e32 v20, v20, v21
	s_waitcnt lgkmcnt(1)
	v_add_f32_e32 v21, 0, v24
	v_cmp_gt_i32_e32 vcc, s16, v0
	v_add_f32_e32 v21, v21, v25
	s_or_b64 s[4:5], s[12:13], vcc
	s_waitcnt lgkmcnt(0)
	v_add_f32_e32 v21, v21, v22
	s_and_b64 s[12:13], s[2:3], s[4:5]
	v_add_f32_e32 v21, v21, v23
	s_barrier
	ds_write2_b32 v87, v20, v27 offset1:16
	ds_write2_b32 v87, v26, v21 offset0:32 offset1:48
	s_waitcnt lgkmcnt(0)
	s_barrier
	s_and_saveexec_b64 s[4:5], s[12:13]
	s_cbranch_execz .LBB141_128
; %bb.127:                              ;   in Loop: Header=BB141_78 Depth=1
	ds_read2_b32 v[20:21], v88 offset1:1
	ds_read2_b32 v[22:23], v88 offset0:2 offset1:3
	ds_read2_b32 v[24:25], v88 offset0:4 offset1:5
	;; [unrolled: 1-line block ×4, first 2 shown]
	s_waitcnt lgkmcnt(4)
	v_add_f32_e32 v20, v20, v21
	s_waitcnt lgkmcnt(3)
	v_add_f32_e32 v20, v20, v22
	v_add_f32_e32 v20, v20, v23
	s_waitcnt lgkmcnt(2)
	v_add_f32_e32 v20, v20, v24
	;; [unrolled: 3-line block ×3, first 2 shown]
	v_add_f32_e32 v24, v20, v27
	ds_read2_b32 v[20:21], v88 offset0:10 offset1:11
	ds_read2_b32 v[22:23], v88 offset0:12 offset1:13
	ds_read_b32 v25, v88 offset:56
	s_waitcnt lgkmcnt(3)
	v_add_f32_e32 v24, v24, v28
	v_add_f32_e32 v24, v24, v29
	s_waitcnt lgkmcnt(2)
	v_add_f32_e32 v20, v24, v20
	ds_read_b32 v24, v89
	v_add_f32_e32 v20, v20, v21
	s_waitcnt lgkmcnt(2)
	v_add_f32_e32 v20, v20, v22
	v_add_f32_e32 v20, v20, v23
	s_waitcnt lgkmcnt(1)
	v_add_f32_e32 v20, v20, v25
	s_waitcnt lgkmcnt(0)
	v_add_f32_e32 v22, v20, v24
	v_ashrrev_i32_e32 v20, 31, v19
	v_lshlrev_b64 v[20:21], 2, v[19:20]
	v_mov_b32_e32 v23, s24
	v_add_co_u32_e32 v20, vcc, s19, v20
	v_addc_co_u32_e32 v21, vcc, v23, v21, vcc
	global_store_dword v[20:21], v22, off
.LBB141_128:                            ;   in Loop: Header=BB141_78 Depth=1
	s_or_b64 exec, exec, s[4:5]
	v_fmac_f32_e32 v30, v110, v2
	v_mov_b32_e32 v2, s11
	v_add_co_u32_e32 v41, vcc, s10, v41
	v_addc_co_u32_e32 v42, vcc, v42, v2, vcc
	v_add_co_u32_e32 v43, vcc, s10, v43
	v_addc_co_u32_e32 v44, vcc, v44, v2, vcc
	;; [unrolled: 2-line block ×16, first 2 shown]
	v_add_co_u32_e32 v71, vcc, s10, v71
	v_fmac_f32_e32 v30, v111, v3
	v_addc_co_u32_e32 v72, vcc, v72, v2, vcc
	v_fmac_f32_e32 v30, v112, v4
	v_add_co_u32_e32 v73, vcc, s10, v73
	v_fmac_f32_e32 v30, v113, v5
	v_addc_co_u32_e32 v74, vcc, v74, v2, vcc
	v_fmac_f32_e32 v30, v114, v6
	;; [unrolled: 4-line block ×7, first 2 shown]
	s_add_i32 s4, s6, 1
	s_add_i32 s8, s8, s27
	;; [unrolled: 1-line block ×3, first 2 shown]
	v_add_co_u32_e32 v81, vcc, s10, v81
	v_fmac_f32_e32 v30, v125, v17
	v_add_u32_e32 v19, 64, v19
	s_cmp_ge_u32 s5, s7
	v_addc_co_u32_e32 v82, vcc, v82, v2, vcc
	s_waitcnt vmcnt(0)
	s_barrier
	s_cbranch_scc0 .LBB141_74
.LBB141_129:
	s_movk_i32 s2, 0x10c
	v_cmp_gt_i32_e32 vcc, s18, v0
	v_mad_u32_u24 v1, v1, s2, v31
	s_or_b64 s[2:3], s[20:21], vcc
	s_and_b64 s[0:1], s[0:1], s[2:3]
	ds_write_b32 v1, v30
	s_waitcnt lgkmcnt(0)
	s_barrier
	s_and_saveexec_b64 s[2:3], s[0:1]
	s_cbranch_execz .LBB141_4
; %bb.130:
	ds_read2_b32 v[0:1], v31 offset1:67
	ds_read2_b32 v[2:3], v31 offset0:134 offset1:201
	v_ashrrev_i32_e32 v19, 31, v18
	v_lshlrev_b64 v[4:5], 2, v[18:19]
	v_mov_b32_e32 v6, s24
	s_waitcnt lgkmcnt(1)
	v_add_f32_e32 v0, v0, v1
	s_waitcnt lgkmcnt(0)
	v_add_f32_e32 v0, v0, v2
	v_add_f32_e32 v2, v0, v3
	v_add_co_u32_e32 v0, vcc, s19, v4
	v_addc_co_u32_e32 v1, vcc, v6, v5, vcc
	global_store_dword v[0:1], v2, off
	s_endpgm
	.section	.rodata,"a",@progbits
	.p2align	6, 0x0
	.amdhsa_kernel _ZL26rocblas_hemvn_kernel_upperILb0ELi64ELi4ELi33ELi32ELi16EifPKPKfPfEviT6_lT7_lT5_lS6_lS7_lS5_lT8_i
		.amdhsa_group_segment_fixed_size 4800
		.amdhsa_private_segment_fixed_size 0
		.amdhsa_kernarg_size 368
		.amdhsa_user_sgpr_count 6
		.amdhsa_user_sgpr_private_segment_buffer 1
		.amdhsa_user_sgpr_dispatch_ptr 0
		.amdhsa_user_sgpr_queue_ptr 0
		.amdhsa_user_sgpr_kernarg_segment_ptr 1
		.amdhsa_user_sgpr_dispatch_id 0
		.amdhsa_user_sgpr_flat_scratch_init 0
		.amdhsa_user_sgpr_private_segment_size 0
		.amdhsa_uses_dynamic_stack 0
		.amdhsa_system_sgpr_private_segment_wavefront_offset 0
		.amdhsa_system_sgpr_workgroup_id_x 1
		.amdhsa_system_sgpr_workgroup_id_y 0
		.amdhsa_system_sgpr_workgroup_id_z 1
		.amdhsa_system_sgpr_workgroup_info 0
		.amdhsa_system_vgpr_workitem_id 1
		.amdhsa_next_free_vgpr 128
		.amdhsa_next_free_sgpr 61
		.amdhsa_reserve_vcc 1
		.amdhsa_reserve_flat_scratch 0
		.amdhsa_float_round_mode_32 0
		.amdhsa_float_round_mode_16_64 0
		.amdhsa_float_denorm_mode_32 3
		.amdhsa_float_denorm_mode_16_64 3
		.amdhsa_dx10_clamp 1
		.amdhsa_ieee_mode 1
		.amdhsa_fp16_overflow 0
		.amdhsa_exception_fp_ieee_invalid_op 0
		.amdhsa_exception_fp_denorm_src 0
		.amdhsa_exception_fp_ieee_div_zero 0
		.amdhsa_exception_fp_ieee_overflow 0
		.amdhsa_exception_fp_ieee_underflow 0
		.amdhsa_exception_fp_ieee_inexact 0
		.amdhsa_exception_int_div_zero 0
	.end_amdhsa_kernel
	.section	.text._ZL26rocblas_hemvn_kernel_upperILb0ELi64ELi4ELi33ELi32ELi16EifPKPKfPfEviT6_lT7_lT5_lS6_lS7_lS5_lT8_i,"axG",@progbits,_ZL26rocblas_hemvn_kernel_upperILb0ELi64ELi4ELi33ELi32ELi16EifPKPKfPfEviT6_lT7_lT5_lS6_lS7_lS5_lT8_i,comdat
.Lfunc_end141:
	.size	_ZL26rocblas_hemvn_kernel_upperILb0ELi64ELi4ELi33ELi32ELi16EifPKPKfPfEviT6_lT7_lT5_lS6_lS7_lS5_lT8_i, .Lfunc_end141-_ZL26rocblas_hemvn_kernel_upperILb0ELi64ELi4ELi33ELi32ELi16EifPKPKfPfEviT6_lT7_lT5_lS6_lS7_lS5_lT8_i
                                        ; -- End function
	.set _ZL26rocblas_hemvn_kernel_upperILb0ELi64ELi4ELi33ELi32ELi16EifPKPKfPfEviT6_lT7_lT5_lS6_lS7_lS5_lT8_i.num_vgpr, 128
	.set _ZL26rocblas_hemvn_kernel_upperILb0ELi64ELi4ELi33ELi32ELi16EifPKPKfPfEviT6_lT7_lT5_lS6_lS7_lS5_lT8_i.num_agpr, 0
	.set _ZL26rocblas_hemvn_kernel_upperILb0ELi64ELi4ELi33ELi32ELi16EifPKPKfPfEviT6_lT7_lT5_lS6_lS7_lS5_lT8_i.numbered_sgpr, 61
	.set _ZL26rocblas_hemvn_kernel_upperILb0ELi64ELi4ELi33ELi32ELi16EifPKPKfPfEviT6_lT7_lT5_lS6_lS7_lS5_lT8_i.num_named_barrier, 0
	.set _ZL26rocblas_hemvn_kernel_upperILb0ELi64ELi4ELi33ELi32ELi16EifPKPKfPfEviT6_lT7_lT5_lS6_lS7_lS5_lT8_i.private_seg_size, 0
	.set _ZL26rocblas_hemvn_kernel_upperILb0ELi64ELi4ELi33ELi32ELi16EifPKPKfPfEviT6_lT7_lT5_lS6_lS7_lS5_lT8_i.uses_vcc, 1
	.set _ZL26rocblas_hemvn_kernel_upperILb0ELi64ELi4ELi33ELi32ELi16EifPKPKfPfEviT6_lT7_lT5_lS6_lS7_lS5_lT8_i.uses_flat_scratch, 0
	.set _ZL26rocblas_hemvn_kernel_upperILb0ELi64ELi4ELi33ELi32ELi16EifPKPKfPfEviT6_lT7_lT5_lS6_lS7_lS5_lT8_i.has_dyn_sized_stack, 0
	.set _ZL26rocblas_hemvn_kernel_upperILb0ELi64ELi4ELi33ELi32ELi16EifPKPKfPfEviT6_lT7_lT5_lS6_lS7_lS5_lT8_i.has_recursion, 0
	.set _ZL26rocblas_hemvn_kernel_upperILb0ELi64ELi4ELi33ELi32ELi16EifPKPKfPfEviT6_lT7_lT5_lS6_lS7_lS5_lT8_i.has_indirect_call, 0
	.section	.AMDGPU.csdata,"",@progbits
; Kernel info:
; codeLenInByte = 6676
; TotalNumSgprs: 65
; NumVgprs: 128
; ScratchSize: 0
; MemoryBound: 0
; FloatMode: 240
; IeeeMode: 1
; LDSByteSize: 4800 bytes/workgroup (compile time only)
; SGPRBlocks: 8
; VGPRBlocks: 31
; NumSGPRsForWavesPerEU: 65
; NumVGPRsForWavesPerEU: 128
; Occupancy: 2
; WaveLimiterHint : 1
; COMPUTE_PGM_RSRC2:SCRATCH_EN: 0
; COMPUTE_PGM_RSRC2:USER_SGPR: 6
; COMPUTE_PGM_RSRC2:TRAP_HANDLER: 0
; COMPUTE_PGM_RSRC2:TGID_X_EN: 1
; COMPUTE_PGM_RSRC2:TGID_Y_EN: 0
; COMPUTE_PGM_RSRC2:TGID_Z_EN: 1
; COMPUTE_PGM_RSRC2:TIDIG_COMP_CNT: 1
	.section	.text._ZL36rocblas_hemvn_kernel_upper_block_sumILi64EifPKPffEviT1_lS3_lT2_lT0_lPT3_i,"axG",@progbits,_ZL36rocblas_hemvn_kernel_upper_block_sumILi64EifPKPffEviT1_lS3_lT2_lT0_lPT3_i,comdat
	.globl	_ZL36rocblas_hemvn_kernel_upper_block_sumILi64EifPKPffEviT1_lS3_lT2_lT0_lPT3_i ; -- Begin function _ZL36rocblas_hemvn_kernel_upper_block_sumILi64EifPKPffEviT1_lS3_lT2_lT0_lPT3_i
	.p2align	8
	.type	_ZL36rocblas_hemvn_kernel_upper_block_sumILi64EifPKPffEviT1_lS3_lT2_lT0_lPT3_i,@function
_ZL36rocblas_hemvn_kernel_upper_block_sumILi64EifPKPffEviT1_lS3_lT2_lT0_lPT3_i: ; @_ZL36rocblas_hemvn_kernel_upper_block_sumILi64EifPKPffEviT1_lS3_lT2_lT0_lPT3_i
; %bb.0:
	s_load_dwordx2 s[2:3], s[4:5], 0x0
	s_load_dword s16, s[4:5], 0x10
	s_mov_b32 s11, 0
	s_waitcnt lgkmcnt(0)
	v_cmp_eq_f32_e64 s[0:1], s3, 0
	v_cmp_eq_f32_e64 s[8:9], s16, 1.0
	s_and_b64 s[0:1], s[0:1], s[8:9]
	s_and_b64 vcc, exec, s[0:1]
	s_cbranch_vccnz .LBB142_19
; %bb.1:
	s_load_dwordx4 s[12:15], s[4:5], 0x20
	s_load_dword s17, s[4:5], 0x30
	s_mov_b32 s10, s7
	s_lshl_b64 s[0:1], s[10:11], 3
	v_lshl_or_b32 v0, s6, 6, v0
	s_waitcnt lgkmcnt(0)
	s_add_u32 s0, s12, s0
	s_addc_u32 s1, s13, s1
	s_load_dwordx2 s[0:1], s[0:1], 0x0
	s_lshl_b64 s[12:13], s[14:15], 2
	v_cmp_neq_f32_e64 s[8:9], s3, 0
	s_waitcnt lgkmcnt(0)
	s_add_u32 s7, s0, s12
	s_addc_u32 s11, s1, s13
	s_and_b64 vcc, exec, s[8:9]
	v_cmp_gt_i32_e64 s[0:1], s2, v0
	s_cbranch_vccnz .LBB142_6
; %bb.2:
	s_mov_b64 s[12:13], 0
	s_mov_b64 s[8:9], 0
                                        ; implicit-def: $vgpr4
                                        ; implicit-def: $vgpr2_vgpr3
	s_and_saveexec_b64 s[14:15], s[0:1]
	s_cbranch_execz .LBB142_7
; %bb.3:
	v_mul_lo_u32 v2, s17, v0
	v_cmp_eq_f32_e64 s[0:1], s16, 0
	v_mov_b32_e32 v4, 0
	s_and_b64 vcc, exec, s[0:1]
	v_ashrrev_i32_e32 v3, 31, v2
	s_cbranch_vccnz .LBB142_5
; %bb.4:
	v_lshlrev_b64 v[4:5], 2, v[2:3]
	v_mov_b32_e32 v1, s11
	v_add_co_u32_e32 v4, vcc, s7, v4
	v_addc_co_u32_e32 v5, vcc, v1, v5, vcc
	flat_load_dword v1, v[4:5]
	s_waitcnt vmcnt(0) lgkmcnt(0)
	v_mul_f32_e32 v4, s16, v1
.LBB142_5:
	s_mov_b64 s[8:9], exec
	s_or_b64 exec, exec, s[14:15]
	s_and_b64 vcc, exec, s[12:13]
	s_cbranch_vccnz .LBB142_8
	s_branch .LBB142_17
.LBB142_6:
	s_mov_b64 s[8:9], 0
                                        ; implicit-def: $vgpr4
                                        ; implicit-def: $vgpr2_vgpr3
	s_cbranch_execnz .LBB142_8
	s_branch .LBB142_17
.LBB142_7:
	s_or_b64 exec, exec, s[14:15]
	s_and_b64 vcc, exec, s[12:13]
	s_cbranch_vccz .LBB142_17
.LBB142_8:
	v_cmp_gt_i32_e32 vcc, s2, v0
                                        ; implicit-def: $vgpr4
                                        ; implicit-def: $vgpr2_vgpr3
	s_and_saveexec_b64 s[0:1], vcc
	s_cbranch_execz .LBB142_16
; %bb.9:
	s_cmp_lt_i32 s6, 0
	v_mov_b32_e32 v1, 0
	s_cbranch_scc1 .LBB142_12
; %bb.10:
	s_load_dwordx2 s[14:15], s[4:5], 0x40
	s_load_dword s18, s[4:5], 0x50
	s_ashr_i32 s13, s2, 31
	s_mul_hi_u32 s4, s2, s10
	s_mul_i32 s5, s13, s10
	s_mov_b32 s12, s2
	s_add_i32 s4, s4, s5
	s_mul_i32 s2, s2, s10
	s_waitcnt lgkmcnt(0)
	s_mul_i32 s4, s4, s18
	s_mul_hi_u32 s5, s2, s18
	s_add_i32 s5, s5, s4
	s_mul_i32 s4, s2, s18
	s_lshl_b64 s[4:5], s[4:5], 2
	v_mov_b32_e32 v1, 0
	s_add_u32 s2, s14, s4
	v_lshlrev_b64 v[2:3], 2, v[0:1]
	s_addc_u32 s4, s15, s5
	v_mov_b32_e32 v4, s4
	v_add_co_u32_e32 v2, vcc, s2, v2
	s_lshl_b64 s[4:5], s[12:13], 2
	v_addc_co_u32_e32 v3, vcc, v4, v3, vcc
	s_add_i32 s2, s6, 1
	v_mov_b32_e32 v4, s5
.LBB142_11:                             ; =>This Inner Loop Header: Depth=1
	global_load_dword v5, v[2:3], off
	s_add_i32 s2, s2, -1
	v_add_co_u32_e32 v2, vcc, s4, v2
	v_addc_co_u32_e32 v3, vcc, v3, v4, vcc
	s_cmp_eq_u32 s2, 0
	s_waitcnt vmcnt(0)
	v_add_f32_e32 v1, v1, v5
	s_cbranch_scc0 .LBB142_11
.LBB142_12:
	v_mul_lo_u32 v2, s17, v0
	v_cmp_eq_f32_e64 s[4:5], s16, 0
	s_and_b64 vcc, exec, s[4:5]
	v_ashrrev_i32_e32 v3, 31, v2
	s_cbranch_vccz .LBB142_20
; %bb.13:
	v_mul_f32_e32 v4, s3, v1
	s_cbranch_execnz .LBB142_15
.LBB142_14:
	v_lshlrev_b64 v[4:5], 2, v[2:3]
	v_mov_b32_e32 v0, s11
	v_add_co_u32_e32 v4, vcc, s7, v4
	v_addc_co_u32_e32 v5, vcc, v0, v5, vcc
	flat_load_dword v0, v[4:5]
	s_waitcnt vmcnt(0) lgkmcnt(0)
	v_mul_f32_e32 v4, s16, v0
	v_fmac_f32_e32 v4, s3, v1
.LBB142_15:
	s_or_b64 s[8:9], s[8:9], exec
.LBB142_16:
	s_or_b64 exec, exec, s[0:1]
.LBB142_17:
	s_and_saveexec_b64 s[0:1], s[8:9]
	s_cbranch_execz .LBB142_19
; %bb.18:
	v_lshlrev_b64 v[0:1], 2, v[2:3]
	v_mov_b32_e32 v2, s11
	v_add_co_u32_e32 v0, vcc, s7, v0
	v_addc_co_u32_e32 v1, vcc, v2, v1, vcc
	flat_store_dword v[0:1], v4
.LBB142_19:
	s_endpgm
.LBB142_20:
                                        ; implicit-def: $vgpr4
	s_branch .LBB142_14
	.section	.rodata,"a",@progbits
	.p2align	6, 0x0
	.amdhsa_kernel _ZL36rocblas_hemvn_kernel_upper_block_sumILi64EifPKPffEviT1_lS3_lT2_lT0_lPT3_i
		.amdhsa_group_segment_fixed_size 0
		.amdhsa_private_segment_fixed_size 0
		.amdhsa_kernarg_size 336
		.amdhsa_user_sgpr_count 6
		.amdhsa_user_sgpr_private_segment_buffer 1
		.amdhsa_user_sgpr_dispatch_ptr 0
		.amdhsa_user_sgpr_queue_ptr 0
		.amdhsa_user_sgpr_kernarg_segment_ptr 1
		.amdhsa_user_sgpr_dispatch_id 0
		.amdhsa_user_sgpr_flat_scratch_init 0
		.amdhsa_user_sgpr_private_segment_size 0
		.amdhsa_uses_dynamic_stack 0
		.amdhsa_system_sgpr_private_segment_wavefront_offset 0
		.amdhsa_system_sgpr_workgroup_id_x 1
		.amdhsa_system_sgpr_workgroup_id_y 0
		.amdhsa_system_sgpr_workgroup_id_z 1
		.amdhsa_system_sgpr_workgroup_info 0
		.amdhsa_system_vgpr_workitem_id 0
		.amdhsa_next_free_vgpr 6
		.amdhsa_next_free_sgpr 19
		.amdhsa_reserve_vcc 1
		.amdhsa_reserve_flat_scratch 0
		.amdhsa_float_round_mode_32 0
		.amdhsa_float_round_mode_16_64 0
		.amdhsa_float_denorm_mode_32 3
		.amdhsa_float_denorm_mode_16_64 3
		.amdhsa_dx10_clamp 1
		.amdhsa_ieee_mode 1
		.amdhsa_fp16_overflow 0
		.amdhsa_exception_fp_ieee_invalid_op 0
		.amdhsa_exception_fp_denorm_src 0
		.amdhsa_exception_fp_ieee_div_zero 0
		.amdhsa_exception_fp_ieee_overflow 0
		.amdhsa_exception_fp_ieee_underflow 0
		.amdhsa_exception_fp_ieee_inexact 0
		.amdhsa_exception_int_div_zero 0
	.end_amdhsa_kernel
	.section	.text._ZL36rocblas_hemvn_kernel_upper_block_sumILi64EifPKPffEviT1_lS3_lT2_lT0_lPT3_i,"axG",@progbits,_ZL36rocblas_hemvn_kernel_upper_block_sumILi64EifPKPffEviT1_lS3_lT2_lT0_lPT3_i,comdat
.Lfunc_end142:
	.size	_ZL36rocblas_hemvn_kernel_upper_block_sumILi64EifPKPffEviT1_lS3_lT2_lT0_lPT3_i, .Lfunc_end142-_ZL36rocblas_hemvn_kernel_upper_block_sumILi64EifPKPffEviT1_lS3_lT2_lT0_lPT3_i
                                        ; -- End function
	.set _ZL36rocblas_hemvn_kernel_upper_block_sumILi64EifPKPffEviT1_lS3_lT2_lT0_lPT3_i.num_vgpr, 6
	.set _ZL36rocblas_hemvn_kernel_upper_block_sumILi64EifPKPffEviT1_lS3_lT2_lT0_lPT3_i.num_agpr, 0
	.set _ZL36rocblas_hemvn_kernel_upper_block_sumILi64EifPKPffEviT1_lS3_lT2_lT0_lPT3_i.numbered_sgpr, 19
	.set _ZL36rocblas_hemvn_kernel_upper_block_sumILi64EifPKPffEviT1_lS3_lT2_lT0_lPT3_i.num_named_barrier, 0
	.set _ZL36rocblas_hemvn_kernel_upper_block_sumILi64EifPKPffEviT1_lS3_lT2_lT0_lPT3_i.private_seg_size, 0
	.set _ZL36rocblas_hemvn_kernel_upper_block_sumILi64EifPKPffEviT1_lS3_lT2_lT0_lPT3_i.uses_vcc, 1
	.set _ZL36rocblas_hemvn_kernel_upper_block_sumILi64EifPKPffEviT1_lS3_lT2_lT0_lPT3_i.uses_flat_scratch, 0
	.set _ZL36rocblas_hemvn_kernel_upper_block_sumILi64EifPKPffEviT1_lS3_lT2_lT0_lPT3_i.has_dyn_sized_stack, 0
	.set _ZL36rocblas_hemvn_kernel_upper_block_sumILi64EifPKPffEviT1_lS3_lT2_lT0_lPT3_i.has_recursion, 0
	.set _ZL36rocblas_hemvn_kernel_upper_block_sumILi64EifPKPffEviT1_lS3_lT2_lT0_lPT3_i.has_indirect_call, 0
	.section	.AMDGPU.csdata,"",@progbits
; Kernel info:
; codeLenInByte = 568
; TotalNumSgprs: 23
; NumVgprs: 6
; ScratchSize: 0
; MemoryBound: 0
; FloatMode: 240
; IeeeMode: 1
; LDSByteSize: 0 bytes/workgroup (compile time only)
; SGPRBlocks: 2
; VGPRBlocks: 1
; NumSGPRsForWavesPerEU: 23
; NumVGPRsForWavesPerEU: 6
; Occupancy: 10
; WaveLimiterHint : 1
; COMPUTE_PGM_RSRC2:SCRATCH_EN: 0
; COMPUTE_PGM_RSRC2:USER_SGPR: 6
; COMPUTE_PGM_RSRC2:TRAP_HANDLER: 0
; COMPUTE_PGM_RSRC2:TGID_X_EN: 1
; COMPUTE_PGM_RSRC2:TGID_Y_EN: 0
; COMPUTE_PGM_RSRC2:TGID_Z_EN: 1
; COMPUTE_PGM_RSRC2:TIDIG_COMP_CNT: 0
	.section	.text._ZL50rocblas_symv_kernel_lower_double_buffered_diagonalILi32ELi4E24rocblas_internal_val_ptrIfEPKPKfPKPfEvbiT1_lT2_lllSA_lllS9_lT3_llli,"axG",@progbits,_ZL50rocblas_symv_kernel_lower_double_buffered_diagonalILi32ELi4E24rocblas_internal_val_ptrIfEPKPKfPKPfEvbiT1_lT2_lllSA_lllS9_lT3_llli,comdat
	.globl	_ZL50rocblas_symv_kernel_lower_double_buffered_diagonalILi32ELi4E24rocblas_internal_val_ptrIfEPKPKfPKPfEvbiT1_lT2_lllSA_lllS9_lT3_llli ; -- Begin function _ZL50rocblas_symv_kernel_lower_double_buffered_diagonalILi32ELi4E24rocblas_internal_val_ptrIfEPKPKfPKPfEvbiT1_lT2_lllSA_lllS9_lT3_llli
	.p2align	8
	.type	_ZL50rocblas_symv_kernel_lower_double_buffered_diagonalILi32ELi4E24rocblas_internal_val_ptrIfEPKPKfPKPfEvbiT1_lT2_lllSA_lllS9_lT3_llli,@function
_ZL50rocblas_symv_kernel_lower_double_buffered_diagonalILi32ELi4E24rocblas_internal_val_ptrIfEPKPKfPKPfEvbiT1_lT2_lllSA_lllS9_lT3_llli: ; @_ZL50rocblas_symv_kernel_lower_double_buffered_diagonalILi32ELi4E24rocblas_internal_val_ptrIfEPKPKfPKPfEvbiT1_lT2_lllSA_lllS9_lT3_llli
; %bb.0:
	s_load_dword s0, s[4:5], 0x0
	s_load_dwordx8 s[8:15], s[4:5], 0x8
	s_load_dwordx2 s[20:21], s[4:5], 0x28
	s_mov_b32 s22, s7
	s_mov_b64 s[2:3], -1
	s_waitcnt lgkmcnt(0)
	s_bitcmp1_b32 s0, 0
	s_cselect_b64 s[0:1], -1, 0
	s_xor_b64 s[0:1], s[0:1], -1
	s_and_b64 vcc, exec, s[0:1]
                                        ; implicit-def: $sgpr28
	s_cbranch_vccnz .LBB143_7
; %bb.1:
	s_load_dwordx4 s[16:19], s[4:5], 0x58
	s_andn2_b64 vcc, exec, s[2:3]
	s_cbranch_vccz .LBB143_8
.LBB143_2:
	s_andn2_b64 vcc, exec, s[0:1]
	s_cbranch_vccnz .LBB143_4
.LBB143_3:
	s_waitcnt lgkmcnt(0)
	s_mul_i32 s0, s19, s22
	s_mul_hi_u32 s1, s18, s22
	s_add_i32 s1, s1, s0
	s_mul_i32 s0, s18, s22
	s_lshl_b64 s[0:1], s[0:1], 2
	s_add_u32 s0, s16, s0
	s_addc_u32 s1, s17, s1
	s_load_dword s16, s[0:1], 0x0
.LBB143_4:
	s_waitcnt lgkmcnt(0)
	v_cmp_eq_f32_e64 s[18:19], s28, 0
	v_cmp_eq_f32_e64 s[0:1], s16, 1.0
	s_and_b64 s[0:1], s[18:19], s[0:1]
	s_and_b64 vcc, exec, s[0:1]
	s_cbranch_vccnz .LBB143_42
; %bb.5:
	v_cmp_neq_f32_e64 s[26:27], s28, 0
	s_mov_b32 s23, 0
	s_and_b64 vcc, exec, s[26:27]
	s_cbranch_vccnz .LBB143_9
; %bb.6:
	s_mov_b64 s[0:1], 0
	s_branch .LBB143_10
.LBB143_7:
	s_mul_i32 s2, s11, s22
	s_mul_hi_u32 s3, s10, s22
	s_add_i32 s3, s3, s2
	s_mul_i32 s2, s10, s22
	s_lshl_b64 s[2:3], s[2:3], 2
	s_add_u32 s2, s8, s2
	s_addc_u32 s3, s9, s3
	s_load_dword s28, s[2:3], 0x0
	s_load_dwordx4 s[16:19], s[4:5], 0x58
	s_cbranch_execnz .LBB143_2
.LBB143_8:
	s_waitcnt lgkmcnt(0)
	s_mov_b32 s28, s8
	s_andn2_b64 vcc, exec, s[0:1]
	s_cbranch_vccz .LBB143_3
	s_branch .LBB143_4
.LBB143_9:
	s_mov_b64 s[0:1], -1
.LBB143_10:
	s_load_dwordx2 s[24:25], s[4:5], 0x68
	s_mov_b64 s[10:11], 0
	s_andn2_b64 vcc, exec, s[0:1]
	s_mov_b64 s[8:9], 0
	s_cbranch_vccnz .LBB143_12
; %bb.11:
	s_lshl_b64 s[0:1], s[22:23], 3
	s_add_u32 s0, s12, s0
	s_addc_u32 s1, s13, s1
	s_load_dwordx2 s[0:1], s[0:1], 0x0
	s_lshl_b64 s[2:3], s[14:15], 2
	s_waitcnt lgkmcnt(0)
	s_add_u32 s8, s0, s2
	s_addc_u32 s9, s1, s3
.LBB143_12:
	s_load_dwordx4 s[0:3], s[4:5], 0x38
	s_load_dwordx2 s[12:13], s[4:5], 0x48
	s_andn2_b64 vcc, exec, s[26:27]
	s_cbranch_vccnz .LBB143_14
; %bb.13:
	s_lshl_b64 s[10:11], s[22:23], 3
	s_waitcnt lgkmcnt(0)
	s_add_u32 s0, s0, s10
	s_addc_u32 s1, s1, s11
	s_load_dwordx2 s[0:1], s[0:1], 0x0
	s_lshl_b64 s[2:3], s[2:3], 2
	s_waitcnt lgkmcnt(0)
	s_add_u32 s10, s0, s2
	s_addc_u32 s11, s1, s3
.LBB143_14:
	s_waitcnt lgkmcnt(0)
	s_load_dwordx4 s[0:3], s[4:5], 0x70
	s_lshl_b64 s[4:5], s[22:23], 3
	s_add_u32 s4, s24, s4
	s_addc_u32 s5, s25, s5
	s_load_dwordx2 s[4:5], s[4:5], 0x0
	s_waitcnt lgkmcnt(0)
	s_lshl_b64 s[0:1], s[0:1], 2
	s_add_u32 s4, s4, s0
	s_addc_u32 s5, s5, s1
	s_lshl_b32 s6, s6, 5
	s_ashr_i32 s7, s6, 31
	s_mul_hi_u32 s0, s2, s6
	s_mul_i32 s1, s2, s7
	s_add_i32 s0, s0, s1
	s_mul_i32 s1, s3, s6
	s_add_i32 s1, s0, s1
	s_mul_i32 s0, s2, s6
	s_lshl_b64 s[0:1], s[0:1], 2
	s_add_u32 s14, s4, s0
	s_addc_u32 s15, s5, s1
	s_mov_b64 s[4:5], -1
	s_andn2_b64 vcc, exec, s[18:19]
	v_cmp_eq_u32_e64 s[0:1], 0, v1
	s_cbranch_vccnz .LBB143_18
; %bb.15:
	s_and_saveexec_b64 s[4:5], s[0:1]
	s_cbranch_execz .LBB143_17
; %bb.16:
	v_mad_u64_u32 v[2:3], s[0:1], s2, v0, 0
	v_mad_u64_u32 v[3:4], s[0:1], s3, v0, v[3:4]
	v_mov_b32_e32 v4, s15
	v_lshlrev_b64 v[2:3], 2, v[2:3]
	v_add_co_u32_e32 v2, vcc, s14, v2
	v_addc_co_u32_e32 v3, vcc, v4, v3, vcc
	flat_load_dword v4, v[2:3]
	s_waitcnt vmcnt(0) lgkmcnt(0)
	v_mul_f32_e32 v4, s16, v4
	flat_store_dword v[2:3], v4
.LBB143_17:
	s_or_b64 exec, exec, s[4:5]
	s_mov_b64 s[4:5], 0
.LBB143_18:
	s_andn2_b64 vcc, exec, s[4:5]
	s_cbranch_vccnz .LBB143_42
; %bb.19:
	v_mov_b32_e32 v4, 0
	v_cmp_eq_u32_e64 s[0:1], 0, v1
	s_and_saveexec_b64 s[4:5], s[0:1]
	s_cbranch_execz .LBB143_23
; %bb.20:
	v_cmp_eq_f32_e64 s[18:19], s16, 0
	v_mov_b32_e32 v4, 0
	s_and_b64 vcc, exec, s[18:19]
	s_cbranch_vccnz .LBB143_22
; %bb.21:
	v_mad_u64_u32 v[2:3], s[18:19], s2, v0, 0
	v_mad_u64_u32 v[3:4], s[18:19], s3, v0, v[3:4]
	v_mov_b32_e32 v4, s15
	v_lshlrev_b64 v[2:3], 2, v[2:3]
	v_add_co_u32_e32 v2, vcc, s14, v2
	v_addc_co_u32_e32 v3, vcc, v4, v3, vcc
	flat_load_dword v2, v[2:3]
	s_waitcnt vmcnt(0) lgkmcnt(0)
	v_mul_f32_e32 v4, s16, v2
.LBB143_22:
	s_mul_i32 s17, s12, s7
	s_mul_hi_u32 s18, s12, s6
	s_add_i32 s17, s18, s17
	v_mad_u64_u32 v[2:3], s[18:19], s12, v0, 0
	s_mul_i32 s18, s13, s6
	s_add_i32 s19, s17, s18
	s_mul_i32 s18, s12, s6
	v_mad_u64_u32 v[5:6], s[12:13], s13, v0, v[3:4]
	s_lshl_b64 s[12:13], s[18:19], 2
	s_add_u32 s10, s10, s12
	v_mov_b32_e32 v3, v5
	v_lshlrev_b64 v[2:3], 2, v[2:3]
	s_addc_u32 s11, s11, s13
	v_mov_b32_e32 v5, s11
	v_add_co_u32_e32 v2, vcc, s10, v2
	v_addc_co_u32_e32 v3, vcc, v5, v3, vcc
	flat_load_dword v2, v[2:3]
	v_lshlrev_b32_e32 v3, 2, v0
	s_waitcnt vmcnt(0) lgkmcnt(0)
	ds_write_b32 v3, v2 offset:5120
.LBB143_23:
	s_or_b64 exec, exec, s[4:5]
	s_add_u32 s10, s20, 1
	s_mul_i32 s4, s10, s7
	s_mul_hi_u32 s5, s10, s6
	s_addc_u32 s11, s21, 0
	s_add_i32 s7, s5, s4
	v_mad_u64_u32 v[2:3], s[4:5], s20, v1, 0
	s_mul_i32 s11, s11, s6
	s_add_i32 s5, s7, s11
	s_mul_i32 s4, s10, s6
	v_mad_u64_u32 v[5:6], s[6:7], s21, v1, v[3:4]
	s_lshl_b64 s[4:5], s[4:5], 2
	s_add_u32 s4, s8, s4
	v_mov_b32_e32 v3, v5
	v_lshlrev_b64 v[2:3], 2, v[2:3]
	s_addc_u32 s5, s9, s5
	v_mov_b32_e32 v5, s5
	v_add_co_u32_e32 v2, vcc, s4, v2
	v_addc_co_u32_e32 v3, vcc, v5, v3, vcc
	v_lshlrev_b32_e32 v5, 2, v0
	v_add_co_u32_e32 v6, vcc, v2, v5
	v_addc_co_u32_e32 v7, vcc, 0, v3, vcc
	s_lshl_b64 s[4:5], s[20:21], 4
	v_mov_b32_e32 v3, s5
	v_add_co_u32_e32 v8, vcc, s4, v6
	v_addc_co_u32_e32 v9, vcc, v7, v3, vcc
	v_add_co_u32_e32 v10, vcc, s4, v8
	v_addc_co_u32_e32 v11, vcc, v9, v3, vcc
	;; [unrolled: 2-line block ×3, first 2 shown]
	flat_load_dword v12, v[6:7]
	flat_load_dword v13, v[8:9]
	;; [unrolled: 1-line block ×4, first 2 shown]
	v_lshlrev_b32_e32 v7, 7, v1
	v_add_u32_e32 v8, 0x200, v7
	v_add_u32_e32 v9, 0x400, v7
	;; [unrolled: 1-line block ×7, first 2 shown]
	v_cmp_lt_u32_e32 vcc, 15, v0
	s_waitcnt vmcnt(0) lgkmcnt(0)
	ds_write_b32 v6, v12
	ds_write_b32 v7, v13
	ds_write_b32 v8, v14
	ds_write_b32 v9, v15
	s_and_saveexec_b64 s[6:7], vcc
	s_cbranch_execz .LBB143_25
; %bb.24:
	s_lshl_b64 s[8:9], s[20:21], 2
	v_mov_b32_e32 v15, s5
	v_add_co_u32_e32 v2, vcc, s4, v2
	v_addc_co_u32_e32 v3, vcc, v3, v15, vcc
	s_lshl_b64 s[8:9], s[8:9], 2
	v_mov_b32_e32 v11, s9
	v_add_co_u32_e32 v10, vcc, s8, v2
	v_addc_co_u32_e32 v11, vcc, v3, v11, vcc
	v_add_co_u32_e32 v12, vcc, s4, v10
	v_addc_co_u32_e32 v13, vcc, v11, v15, vcc
	;; [unrolled: 2-line block ×3, first 2 shown]
	flat_load_dword v16, v[2:3]
	flat_load_dword v17, v[10:11]
	flat_load_dword v18, v[12:13]
	flat_load_dword v19, v[14:15]
	s_waitcnt vmcnt(0) lgkmcnt(0)
	ds_write2st64_b32 v6, v16, v17 offset0:8 offset1:10
	ds_write2st64_b32 v6, v18, v19 offset0:12 offset1:14
.LBB143_25:
	s_or_b64 exec, exec, s[6:7]
	v_cmp_ge_u32_e32 vcc, v0, v1
	v_lshlrev_b32_e32 v10, 7, v0
	s_waitcnt lgkmcnt(0)
	s_barrier
	s_and_saveexec_b64 s[4:5], vcc
	s_xor_b64 s[4:5], exec, s[4:5]
; %bb.26:
	v_lshlrev_b32_e32 v10, 7, v0
; %bb.27:
	s_or_saveexec_b64 s[4:5], s[4:5]
	v_lshlrev_b32_e32 v2, 5, v1
	v_lshlrev_b32_e32 v3, 2, v1
	s_xor_b64 exec, exec, s[4:5]
	s_cbranch_execz .LBB143_29
; %bb.28:
	v_mul_u32_u24_e32 v11, 0x7c, v0
	v_add3_u32 v11, v5, v11, v3
	ds_read_b32 v11, v11
	v_lshl_add_u32 v12, v2, 2, v5
	s_waitcnt lgkmcnt(0)
	ds_write_b32 v12, v11
.LBB143_29:
	s_or_b64 exec, exec, s[4:5]
	v_sub_u32_e32 v11, v0, v1
	v_sub_u32_e32 v12, 0, v11
	v_max_i32_e32 v11, v11, v12
	v_cmp_gt_u32_e32 vcc, 4, v11
	v_lshl_add_u32 v10, v1, 2, v10
	s_and_saveexec_b64 s[4:5], vcc
	s_cbranch_execnz .LBB143_43
; %bb.30:
	s_or_b64 exec, exec, s[4:5]
	v_cmp_gt_u32_e32 vcc, 8, v11
	s_and_saveexec_b64 s[4:5], vcc
	s_cbranch_execnz .LBB143_44
.LBB143_31:
	s_or_b64 exec, exec, s[4:5]
	v_cmp_gt_u32_e32 vcc, 12, v11
	s_and_saveexec_b64 s[4:5], vcc
	s_cbranch_execnz .LBB143_45
.LBB143_32:
	s_or_b64 exec, exec, s[4:5]
	v_cmp_gt_u32_e32 vcc, 16, v11
	s_and_saveexec_b64 s[4:5], vcc
	s_cbranch_execnz .LBB143_46
.LBB143_33:
	s_or_b64 exec, exec, s[4:5]
	v_cmp_gt_u32_e32 vcc, 20, v11
	s_and_saveexec_b64 s[4:5], vcc
	s_cbranch_execnz .LBB143_47
.LBB143_34:
	s_or_b64 exec, exec, s[4:5]
	v_cmp_gt_u32_e32 vcc, 24, v11
	s_and_saveexec_b64 s[4:5], vcc
	s_cbranch_execz .LBB143_36
.LBB143_35:
	ds_read_b32 v12, v10 offset:96
	s_waitcnt lgkmcnt(0)
	ds_write_b32 v6, v12 offset:3072
.LBB143_36:
	s_or_b64 exec, exec, s[4:5]
	v_cmp_lt_u32_e32 vcc, 27, v11
	v_add_u32_e32 v11, 28, v1
                                        ; implicit-def: $vgpr12
	s_and_saveexec_b64 s[4:5], vcc
	s_xor_b64 s[4:5], exec, s[4:5]
; %bb.37:
	v_add_u32_e32 v11, 28, v1
	v_lshlrev_b32_e32 v12, 7, v11
                                        ; implicit-def: $vgpr10
; %bb.38:
	s_andn2_saveexec_b64 s[4:5], s[4:5]
	s_cbranch_execz .LBB143_40
; %bb.39:
	ds_read_b32 v10, v10 offset:112
	v_lshlrev_b32_e32 v12, 7, v11
	v_add_u32_e32 v13, v5, v12
	s_waitcnt lgkmcnt(0)
	ds_write_b32 v13, v10
.LBB143_40:
	s_or_b64 exec, exec, s[4:5]
	v_add_u32_e32 v10, 0x1400, v3
	s_waitcnt lgkmcnt(0)
	s_barrier
	ds_read2_b32 v[13:14], v10 offset1:4
	ds_read2_b32 v[15:16], v10 offset0:8 offset1:12
	v_lshl_add_u32 v1, v1, 7, v5
	ds_read2st64_b32 v[17:18], v1 offset0:8 offset1:10
	ds_read2_b32 v[19:20], v10 offset0:16 offset1:20
	v_add_u32_e32 v10, v5, v12
	v_lshlrev_b32_e32 v11, 2, v11
	ds_read_b32 v6, v6
	ds_read_b32 v7, v7
	;; [unrolled: 1-line block ×4, first 2 shown]
	ds_read_b32 v1, v1 offset:3072
	ds_read_b32 v3, v3 offset:5216
	ds_read_b32 v10, v10
	ds_read_b32 v11, v11 offset:5120
	s_waitcnt lgkmcnt(7)
	v_fma_f32 v6, v6, v13, 0
	s_waitcnt lgkmcnt(6)
	v_fmac_f32_e32 v6, v7, v14
	s_waitcnt lgkmcnt(5)
	v_fmac_f32_e32 v6, v8, v15
	;; [unrolled: 2-line block ×3, first 2 shown]
	v_fmac_f32_e32 v6, v17, v19
	v_fmac_f32_e32 v6, v18, v20
	s_waitcnt lgkmcnt(2)
	v_fmac_f32_e32 v6, v1, v3
	s_waitcnt lgkmcnt(0)
	v_fmac_f32_e32 v6, v10, v11
	v_add_lshl_u32 v1, v2, v0, 2
	ds_write_b32 v1, v6 offset:4096
	s_waitcnt lgkmcnt(0)
	s_barrier
	s_and_saveexec_b64 s[4:5], s[0:1]
	s_cbranch_execz .LBB143_42
; %bb.41:
	v_add_u32_e32 v3, 0x1000, v5
	ds_read2_b32 v[1:2], v3 offset1:32
	ds_read2_b32 v[7:8], v3 offset0:64 offset1:96
	v_mad_u64_u32 v[5:6], s[0:1], s2, v0, 0
	v_cmp_neq_f32_e64 vcc, s16, 0
	s_waitcnt lgkmcnt(1)
	v_add_f32_e32 v1, 0, v1
	v_add_f32_e32 v1, v1, v2
	v_mov_b32_e32 v3, v6
	s_waitcnt lgkmcnt(0)
	v_add_f32_e32 v1, v1, v7
	v_add_f32_e32 v2, v1, v8
	v_mad_u64_u32 v[0:1], s[0:1], s3, v0, v[3:4]
	v_mul_f32_e32 v6, s28, v2
	v_fmac_f32_e32 v4, s28, v2
	v_cndmask_b32_e32 v2, v6, v4, vcc
	v_mov_b32_e32 v6, v0
	v_lshlrev_b64 v[0:1], 2, v[5:6]
	v_mov_b32_e32 v3, s15
	v_add_co_u32_e32 v0, vcc, s14, v0
	v_addc_co_u32_e32 v1, vcc, v3, v1, vcc
	flat_store_dword v[0:1], v2
.LBB143_42:
	s_endpgm
.LBB143_43:
	ds_read_b32 v12, v10 offset:16
	s_waitcnt lgkmcnt(0)
	ds_write_b32 v7, v12
	s_or_b64 exec, exec, s[4:5]
	v_cmp_gt_u32_e32 vcc, 8, v11
	s_and_saveexec_b64 s[4:5], vcc
	s_cbranch_execz .LBB143_31
.LBB143_44:
	ds_read_b32 v12, v10 offset:32
	s_waitcnt lgkmcnt(0)
	ds_write_b32 v8, v12
	s_or_b64 exec, exec, s[4:5]
	v_cmp_gt_u32_e32 vcc, 12, v11
	s_and_saveexec_b64 s[4:5], vcc
	s_cbranch_execz .LBB143_32
.LBB143_45:
	ds_read_b32 v12, v10 offset:48
	s_waitcnt lgkmcnt(0)
	ds_write_b32 v9, v12
	s_or_b64 exec, exec, s[4:5]
	v_cmp_gt_u32_e32 vcc, 16, v11
	s_and_saveexec_b64 s[4:5], vcc
	s_cbranch_execz .LBB143_33
.LBB143_46:
	ds_read_b32 v12, v10 offset:64
	s_waitcnt lgkmcnt(0)
	ds_write_b32 v6, v12 offset:2048
	s_or_b64 exec, exec, s[4:5]
	v_cmp_gt_u32_e32 vcc, 20, v11
	s_and_saveexec_b64 s[4:5], vcc
	s_cbranch_execz .LBB143_34
.LBB143_47:
	ds_read_b32 v12, v10 offset:80
	s_waitcnt lgkmcnt(0)
	ds_write_b32 v6, v12 offset:2560
	s_or_b64 exec, exec, s[4:5]
	v_cmp_gt_u32_e32 vcc, 24, v11
	s_and_saveexec_b64 s[4:5], vcc
	s_cbranch_execnz .LBB143_35
	s_branch .LBB143_36
	.section	.rodata,"a",@progbits
	.p2align	6, 0x0
	.amdhsa_kernel _ZL50rocblas_symv_kernel_lower_double_buffered_diagonalILi32ELi4E24rocblas_internal_val_ptrIfEPKPKfPKPfEvbiT1_lT2_lllSA_lllS9_lT3_llli
		.amdhsa_group_segment_fixed_size 5248
		.amdhsa_private_segment_fixed_size 0
		.amdhsa_kernarg_size 140
		.amdhsa_user_sgpr_count 6
		.amdhsa_user_sgpr_private_segment_buffer 1
		.amdhsa_user_sgpr_dispatch_ptr 0
		.amdhsa_user_sgpr_queue_ptr 0
		.amdhsa_user_sgpr_kernarg_segment_ptr 1
		.amdhsa_user_sgpr_dispatch_id 0
		.amdhsa_user_sgpr_flat_scratch_init 0
		.amdhsa_user_sgpr_private_segment_size 0
		.amdhsa_uses_dynamic_stack 0
		.amdhsa_system_sgpr_private_segment_wavefront_offset 0
		.amdhsa_system_sgpr_workgroup_id_x 1
		.amdhsa_system_sgpr_workgroup_id_y 0
		.amdhsa_system_sgpr_workgroup_id_z 1
		.amdhsa_system_sgpr_workgroup_info 0
		.amdhsa_system_vgpr_workitem_id 1
		.amdhsa_next_free_vgpr 37
		.amdhsa_next_free_sgpr 93
		.amdhsa_reserve_vcc 1
		.amdhsa_reserve_flat_scratch 0
		.amdhsa_float_round_mode_32 0
		.amdhsa_float_round_mode_16_64 0
		.amdhsa_float_denorm_mode_32 3
		.amdhsa_float_denorm_mode_16_64 3
		.amdhsa_dx10_clamp 1
		.amdhsa_ieee_mode 1
		.amdhsa_fp16_overflow 0
		.amdhsa_exception_fp_ieee_invalid_op 0
		.amdhsa_exception_fp_denorm_src 0
		.amdhsa_exception_fp_ieee_div_zero 0
		.amdhsa_exception_fp_ieee_overflow 0
		.amdhsa_exception_fp_ieee_underflow 0
		.amdhsa_exception_fp_ieee_inexact 0
		.amdhsa_exception_int_div_zero 0
	.end_amdhsa_kernel
	.section	.text._ZL50rocblas_symv_kernel_lower_double_buffered_diagonalILi32ELi4E24rocblas_internal_val_ptrIfEPKPKfPKPfEvbiT1_lT2_lllSA_lllS9_lT3_llli,"axG",@progbits,_ZL50rocblas_symv_kernel_lower_double_buffered_diagonalILi32ELi4E24rocblas_internal_val_ptrIfEPKPKfPKPfEvbiT1_lT2_lllSA_lllS9_lT3_llli,comdat
.Lfunc_end143:
	.size	_ZL50rocblas_symv_kernel_lower_double_buffered_diagonalILi32ELi4E24rocblas_internal_val_ptrIfEPKPKfPKPfEvbiT1_lT2_lllSA_lllS9_lT3_llli, .Lfunc_end143-_ZL50rocblas_symv_kernel_lower_double_buffered_diagonalILi32ELi4E24rocblas_internal_val_ptrIfEPKPKfPKPfEvbiT1_lT2_lllSA_lllS9_lT3_llli
                                        ; -- End function
	.set _ZL50rocblas_symv_kernel_lower_double_buffered_diagonalILi32ELi4E24rocblas_internal_val_ptrIfEPKPKfPKPfEvbiT1_lT2_lllSA_lllS9_lT3_llli.num_vgpr, 21
	.set _ZL50rocblas_symv_kernel_lower_double_buffered_diagonalILi32ELi4E24rocblas_internal_val_ptrIfEPKPKfPKPfEvbiT1_lT2_lllSA_lllS9_lT3_llli.num_agpr, 0
	.set _ZL50rocblas_symv_kernel_lower_double_buffered_diagonalILi32ELi4E24rocblas_internal_val_ptrIfEPKPKfPKPfEvbiT1_lT2_lllSA_lllS9_lT3_llli.numbered_sgpr, 29
	.set _ZL50rocblas_symv_kernel_lower_double_buffered_diagonalILi32ELi4E24rocblas_internal_val_ptrIfEPKPKfPKPfEvbiT1_lT2_lllSA_lllS9_lT3_llli.num_named_barrier, 0
	.set _ZL50rocblas_symv_kernel_lower_double_buffered_diagonalILi32ELi4E24rocblas_internal_val_ptrIfEPKPKfPKPfEvbiT1_lT2_lllSA_lllS9_lT3_llli.private_seg_size, 0
	.set _ZL50rocblas_symv_kernel_lower_double_buffered_diagonalILi32ELi4E24rocblas_internal_val_ptrIfEPKPKfPKPfEvbiT1_lT2_lllSA_lllS9_lT3_llli.uses_vcc, 1
	.set _ZL50rocblas_symv_kernel_lower_double_buffered_diagonalILi32ELi4E24rocblas_internal_val_ptrIfEPKPKfPKPfEvbiT1_lT2_lllSA_lllS9_lT3_llli.uses_flat_scratch, 0
	.set _ZL50rocblas_symv_kernel_lower_double_buffered_diagonalILi32ELi4E24rocblas_internal_val_ptrIfEPKPKfPKPfEvbiT1_lT2_lllSA_lllS9_lT3_llli.has_dyn_sized_stack, 0
	.set _ZL50rocblas_symv_kernel_lower_double_buffered_diagonalILi32ELi4E24rocblas_internal_val_ptrIfEPKPKfPKPfEvbiT1_lT2_lllSA_lllS9_lT3_llli.has_recursion, 0
	.set _ZL50rocblas_symv_kernel_lower_double_buffered_diagonalILi32ELi4E24rocblas_internal_val_ptrIfEPKPKfPKPfEvbiT1_lT2_lllSA_lllS9_lT3_llli.has_indirect_call, 0
	.section	.AMDGPU.csdata,"",@progbits
; Kernel info:
; codeLenInByte = 1948
; TotalNumSgprs: 33
; NumVgprs: 21
; ScratchSize: 0
; MemoryBound: 0
; FloatMode: 240
; IeeeMode: 1
; LDSByteSize: 5248 bytes/workgroup (compile time only)
; SGPRBlocks: 12
; VGPRBlocks: 9
; NumSGPRsForWavesPerEU: 97
; NumVGPRsForWavesPerEU: 37
; Occupancy: 6
; WaveLimiterHint : 1
; COMPUTE_PGM_RSRC2:SCRATCH_EN: 0
; COMPUTE_PGM_RSRC2:USER_SGPR: 6
; COMPUTE_PGM_RSRC2:TRAP_HANDLER: 0
; COMPUTE_PGM_RSRC2:TGID_X_EN: 1
; COMPUTE_PGM_RSRC2:TGID_Y_EN: 0
; COMPUTE_PGM_RSRC2:TGID_Z_EN: 1
; COMPUTE_PGM_RSRC2:TIDIG_COMP_CNT: 1
	.section	.text._ZL54rocblas_symv_kernel_lower_double_buffered_non_diagonalILi32ELi4ELi4E24rocblas_internal_val_ptrIfEPKPKfPKPfEvbiT2_lT3_lllSA_lllT4_llli,"axG",@progbits,_ZL54rocblas_symv_kernel_lower_double_buffered_non_diagonalILi32ELi4ELi4E24rocblas_internal_val_ptrIfEPKPKfPKPfEvbiT2_lT3_lllSA_lllT4_llli,comdat
	.globl	_ZL54rocblas_symv_kernel_lower_double_buffered_non_diagonalILi32ELi4ELi4E24rocblas_internal_val_ptrIfEPKPKfPKPfEvbiT2_lT3_lllSA_lllT4_llli ; -- Begin function _ZL54rocblas_symv_kernel_lower_double_buffered_non_diagonalILi32ELi4ELi4E24rocblas_internal_val_ptrIfEPKPKfPKPfEvbiT2_lT3_lllSA_lllT4_llli
	.p2align	8
	.type	_ZL54rocblas_symv_kernel_lower_double_buffered_non_diagonalILi32ELi4ELi4E24rocblas_internal_val_ptrIfEPKPKfPKPfEvbiT2_lT3_lllSA_lllT4_llli,@function
_ZL54rocblas_symv_kernel_lower_double_buffered_non_diagonalILi32ELi4ELi4E24rocblas_internal_val_ptrIfEPKPKfPKPfEvbiT2_lT3_lllSA_lllT4_llli: ; @_ZL54rocblas_symv_kernel_lower_double_buffered_non_diagonalILi32ELi4ELi4E24rocblas_internal_val_ptrIfEPKPKfPKPfEvbiT2_lT3_lllSA_lllT4_llli
; %bb.0:
	s_load_dword s0, s[4:5], 0x0
	s_load_dwordx8 s[12:19], s[4:5], 0x8
	s_load_dwordx2 s[20:21], s[4:5], 0x28
	s_waitcnt lgkmcnt(0)
	s_bitcmp0_b32 s0, 0
	s_cbranch_scc0 .LBB144_2
; %bb.1:
	s_mul_i32 s0, s15, s8
	s_mul_hi_u32 s1, s14, s8
	s_add_i32 s1, s1, s0
	s_mul_i32 s0, s14, s8
	s_lshl_b64 s[0:1], s[0:1], 2
	s_add_u32 s0, s12, s0
	s_addc_u32 s1, s13, s1
	s_load_dword s22, s[0:1], 0x0
	s_cbranch_execz .LBB144_3
	s_branch .LBB144_4
.LBB144_2:
                                        ; implicit-def: $sgpr22
.LBB144_3:
	s_waitcnt lgkmcnt(0)
	s_mov_b32 s22, s12
.LBB144_4:
	s_waitcnt lgkmcnt(0)
	v_cmp_eq_f32_e64 s[0:1], s22, 0
	s_and_b64 vcc, exec, s[0:1]
	s_cbranch_vccnz .LBB144_29
; %bb.5:
	s_load_dwordx2 s[2:3], s[4:5], 0x80
	s_waitcnt lgkmcnt(0)
	v_cvt_f32_u32_e32 v2, s3
	s_add_i32 s0, s2, -1
	s_cmp_eq_u32 s6, s0
	v_rcp_iflag_f32_e32 v2, v2
	v_mul_f32_e32 v2, 0x4f7ffffe, v2
	v_cvt_u32_f32_e32 v2, v2
	v_readfirstlane_b32 s0, v2
	s_cbranch_scc1 .LBB144_29
; %bb.6:
	s_not_b32 s1, s6
	s_add_i32 s2, s2, s1
	s_sub_i32 s1, 0, s3
	s_mul_i32 s1, s1, s0
	s_mul_hi_u32 s1, s0, s1
	s_load_dwordx4 s[24:27], s[4:5], 0x38
	s_load_dwordx2 s[12:13], s[4:5], 0x48
	s_mov_b32 s9, 0
	s_add_i32 s23, s0, s1
	s_lshl_b64 s[0:1], s[8:9], 3
	s_add_u32 s8, s16, s0
	s_addc_u32 s9, s17, s1
	s_load_dwordx2 s[10:11], s[4:5], 0x58
	s_waitcnt lgkmcnt(0)
	s_add_u32 s14, s24, s0
	s_addc_u32 s15, s25, s1
	s_load_dwordx2 s[14:15], s[14:15], 0x0
	s_mul_hi_u32 s16, s2, s23
	s_add_u32 s10, s10, s0
	s_addc_u32 s11, s11, s1
	s_lshl_b64 s[0:1], s[26:27], 2
	s_waitcnt lgkmcnt(0)
	s_add_u32 s14, s14, s0
	s_addc_u32 s15, s15, s1
	s_lshl_b32 s24, s6, 5
	s_ashr_i32 s25, s24, 31
	s_mul_i32 s0, s12, s25
	s_mul_hi_u32 s1, s12, s24
	s_add_i32 s0, s1, s0
	s_mul_i32 s1, s13, s24
	s_add_i32 s1, s0, s1
	s_mul_i32 s0, s12, s24
	s_lshl_b64 s[0:1], s[0:1], 2
	s_add_u32 s6, s14, s0
	s_addc_u32 s23, s15, s1
	v_cmp_eq_u32_e32 vcc, 0, v1
	s_and_saveexec_b64 s[14:15], vcc
	s_cbranch_execz .LBB144_8
; %bb.7:
	v_mad_u64_u32 v[2:3], s[0:1], s12, v0, 0
	v_mad_u64_u32 v[3:4], s[0:1], s13, v0, v[3:4]
	v_mov_b32_e32 v4, s23
	v_lshlrev_b64 v[2:3], 2, v[2:3]
	v_add_co_u32_e64 v2, s[0:1], s6, v2
	v_addc_co_u32_e64 v3, s[0:1], v4, v3, s[0:1]
	flat_load_dword v2, v[2:3]
	v_lshlrev_b32_e32 v3, 2, v0
	s_waitcnt vmcnt(0) lgkmcnt(0)
	ds_write_b32 v3, v2 offset:3072
.LBB144_8:
	s_or_b64 exec, exec, s[14:15]
	s_mul_i32 s0, s16, s3
	s_sub_i32 s0, s2, s0
	s_add_i32 s1, s16, 1
	s_sub_i32 s14, s0, s3
	s_cmp_ge_u32 s0, s3
	s_cselect_b32 s1, s1, s16
	s_cselect_b32 s0, s14, s0
	s_add_i32 s14, s1, 1
	s_cmp_ge_u32 s0, s3
	s_cselect_b32 s15, s14, s1
	s_add_i32 s0, s3, -1
	s_cmp_lg_u32 s7, s0
	s_mov_b32 s14, s15
	s_cbranch_scc1 .LBB144_10
; %bb.9:
	s_mul_i32 s0, s15, s3
	s_sub_i32 s0, s2, s0
	s_add_i32 s14, s0, s15
.LBB144_10:
	s_cmp_eq_u32 s14, 0
	s_cbranch_scc1 .LBB144_29
; %bb.11:
	s_load_dwordx4 s[0:3], s[4:5], 0x60
	s_load_dwordx2 s[16:17], s[10:11], 0x0
	v_lshl_add_u32 v2, v1, 5, v0
	v_and_b32_e32 v1, 15, v0
	v_lshrrev_b32_e32 v17, 4, v2
	s_waitcnt lgkmcnt(0)
	s_lshl_b64 s[0:1], s[0:1], 2
	s_mul_i32 s4, s2, s25
	s_mul_hi_u32 s5, s2, s24
	s_add_u32 s10, s16, s0
	s_addc_u32 s11, s17, s1
	s_add_i32 s0, s5, s4
	s_mul_i32 s1, s3, s24
	s_add_i32 s1, s0, s1
	s_mul_i32 s0, s2, s24
	s_lshl_b64 s[0:1], s[0:1], 2
	s_add_u32 s16, s10, s0
	s_addc_u32 s17, s11, s1
	s_cmp_lt_i32 s14, 1
	s_barrier
	s_cbranch_scc1 .LBB144_20
; %bb.12:
	s_load_dwordx2 s[0:1], s[8:9], 0x0
	s_mul_i32 s7, s7, s15
	s_lshl_b64 s[4:5], s[18:19], 2
	s_lshl_b32 s18, s7, 5
	s_ashr_i32 s19, s18, 31
	s_waitcnt lgkmcnt(0)
	s_add_u32 s7, s0, s4
	s_addc_u32 s8, s1, s5
	s_add_u32 s0, s20, 1
	s_addc_u32 s1, s21, 0
	s_mul_i32 s4, s0, s25
	s_mul_hi_u32 s5, s0, s24
	s_add_i32 s4, s5, s4
	s_mul_i32 s1, s1, s24
	v_lshlrev_b32_e32 v5, 2, v17
	v_mov_b32_e32 v2, 0
	s_add_i32 s1, s4, s1
	v_mad_u64_u32 v[3:4], s[4:5], s20, v5, v[1:2]
	s_mul_i32 s0, s0, s24
	s_lshl_b64 s[0:1], s[0:1], 2
	s_add_u32 s4, s7, s0
	s_addc_u32 s5, s8, s1
	v_mad_u64_u32 v[4:5], s[0:1], s21, v5, v[4:5]
	s_lshl_b64 s[0:1], s[18:19], 2
	s_add_u32 s8, s4, s0
	v_lshlrev_b64 v[5:6], 2, v[3:4]
	s_addc_u32 s9, s5, s1
	v_mov_b32_e32 v4, s9
	v_add_co_u32_e64 v3, s[0:1], s8, v5
	v_addc_co_u32_e64 v4, s[0:1], v4, v6, s[0:1]
	s_lshl_b64 s[4:5], s[20:21], 2
	v_mov_b32_e32 v12, s5
	v_add_co_u32_e64 v7, s[0:1], s4, v3
	v_addc_co_u32_e64 v8, s[0:1], v4, v12, s[0:1]
	v_add_co_u32_e64 v9, s[0:1], s4, v7
	v_addc_co_u32_e64 v10, s[0:1], v8, v12, s[0:1]
	;; [unrolled: 2-line block ×3, first 2 shown]
	flat_load_dword v25, v[3:4] offset:128
	flat_load_dword v26, v[7:8] offset:128
	;; [unrolled: 1-line block ×4, first 2 shown]
	s_mul_i32 s0, s2, s19
	s_mul_hi_u32 s1, s2, s18
	s_add_i32 s0, s1, s0
	s_mul_i32 s1, s3, s18
	s_add_i32 s1, s0, s1
	s_mul_i32 s0, s2, s18
	s_lshl_b64 s[10:11], s[12:13], 7
	s_lshl_b64 s[0:1], s[0:1], 2
	s_add_u32 s0, s16, s0
	s_mul_i32 s7, s12, s19
	s_mul_hi_u32 s15, s12, s18
	s_addc_u32 s1, s17, s1
	s_add_i32 s7, s15, s7
	s_mul_i32 s15, s13, s18
	s_add_i32 s19, s7, s15
	s_mul_i32 s18, s12, s18
	s_lshl_b64 s[18:19], s[18:19], 2
	s_add_u32 s18, s6, s18
	v_mad_u64_u32 v[11:12], s[6:7], s12, v1, 0
	v_or_b32_e32 v7, 16, v1
	v_mad_u64_u32 v[9:10], s[6:7], s12, v7, 0
	v_mov_b32_e32 v3, v12
	v_mad_u64_u32 v[3:4], s[6:7], s13, v1, v[3:4]
	v_mov_b32_e32 v4, v10
	;; [unrolled: 2-line block ×4, first 2 shown]
	v_mov_b32_e32 v7, 0xc00
	v_lshl_add_u32 v24, v17, 4, v7
	v_mad_u64_u32 v[7:8], s[6:7], s3, v0, v[4:5]
	s_addc_u32 s19, s23, s19
	v_mov_b32_e32 v13, 0x800
	s_lshl_b64 s[6:7], s[2:3], 7
	v_lshl_or_b32 v22, v1, 2, v13
	v_lshlrev_b32_e32 v23, 7, v17
	v_lshl_or_b32 v21, v0, 2, v13
	v_mov_b32_e32 v4, v7
	s_cmp_eq_u32 s14, 1
	s_cbranch_scc1 .LBB144_21
; %bb.13:
	s_add_u32 s8, s8, 0x80
	s_addc_u32 s9, s9, 0
	s_add_i32 s23, s14, -2
	s_lshl_b64 s[12:13], s[20:21], 3
	s_sub_u32 s20, 0, s12
	v_mov_b32_e32 v18, 0
	v_mov_b32_e32 v8, s1
	s_subb_u32 s21, 0, s13
	s_mov_b32 s24, 0
	v_mov_b32_e32 v7, s0
	v_mov_b32_e32 v20, 0
	;; [unrolled: 1-line block ×4, first 2 shown]
.LBB144_14:                             ; =>This Loop Header: Depth=1
                                        ;     Child Loop BB144_16 Depth 2
	v_mov_b32_e32 v14, s9
	v_add_co_u32_e64 v13, s[0:1], s8, v5
	v_addc_co_u32_e64 v14, s[0:1], v14, v6, s[0:1]
	v_mov_b32_e32 v16, s5
	v_add_co_u32_e64 v15, s[0:1], s4, v13
	v_addc_co_u32_e64 v16, s[0:1], v14, v16, s[0:1]
	;; [unrolled: 3-line block ×3, first 2 shown]
	v_add_co_u32_e64 v31, s[0:1], s4, v29
	v_addc_co_u32_e64 v32, s[0:1], v30, v37, s[0:1]
	flat_load_dword v36, v[13:14] offset:64
	flat_load_dword v34, v[15:16] offset:64
	;; [unrolled: 1-line block ×4, first 2 shown]
	v_mov_b32_e32 v16, s21
	v_add_co_u32_e64 v15, s[0:1], s20, v31
	v_addc_co_u32_e64 v16, s[0:1], v32, v16, s[0:1]
	v_add_co_u32_e64 v39, s[0:1], s4, v15
	v_addc_co_u32_e64 v40, s[0:1], v16, v37, s[0:1]
	v_add_co_u32_e64 v41, s[0:1], s4, v39
	s_add_u32 s18, s18, s10
	v_lshlrev_b64 v[29:30], 2, v[11:12]
	v_addc_co_u32_e64 v42, s[0:1], v40, v37, s[0:1]
	s_addc_u32 s19, s19, s11
	v_mov_b32_e32 v31, s19
	v_add_co_u32_e64 v43, s[0:1], s18, v29
	v_addc_co_u32_e64 v44, s[0:1], v31, v30, s[0:1]
	v_lshlrev_b64 v[29:30], 2, v[9:10]
	v_add_co_u32_e64 v45, s[0:1], s18, v29
	v_addc_co_u32_e64 v46, s[0:1], v31, v30, s[0:1]
	flat_load_dword v38, v[43:44]
	flat_load_dword v37, v[45:46]
	flat_load_dword v31, v[15:16] offset:128
	flat_load_dword v30, v[39:40] offset:128
	;; [unrolled: 1-line block ×4, first 2 shown]
	ds_read_b128 v[13:16], v24
	v_add_u32_e32 v39, v22, v23
	s_waitcnt vmcnt(0) lgkmcnt(0)
	s_barrier
	v_fma_f32 v40, v25, v13, 0
	v_fmac_f32_e32 v40, v26, v14
	v_fmac_f32_e32 v40, v27, v15
	;; [unrolled: 1-line block ×3, first 2 shown]
	v_fma_f32 v13, v36, v13, 0
	v_fmac_f32_e32 v13, v34, v14
	v_fmac_f32_e32 v13, v33, v15
	;; [unrolled: 1-line block ×3, first 2 shown]
	ds_write2_b32 v39, v40, v13 offset1:16
	s_waitcnt lgkmcnt(0)
	s_barrier
	s_and_saveexec_b64 s[12:13], vcc
	s_cbranch_execz .LBB144_18
; %bb.15:                               ;   in Loop: Header=BB144_14 Depth=1
	v_mov_b32_e32 v13, s7
	v_add_co_u32_e64 v7, s[0:1], s6, v7
	v_addc_co_u32_e64 v8, s[0:1], v8, v13, s[0:1]
	v_lshlrev_b64 v[13:14], 2, v[3:4]
	s_mov_b64 s[14:15], 0
	v_add_co_u32_e64 v13, s[0:1], v7, v13
	v_addc_co_u32_e64 v14, s[0:1], v8, v14, s[0:1]
	flat_load_dword v16, v[13:14]
	ds_read2_b32 v[39:40], v21 offset1:32
	ds_read2_b32 v[41:42], v21 offset0:64 offset1:96
	ds_read2_b32 v[43:44], v21 offset0:128 offset1:160
	s_waitcnt lgkmcnt(0)
	v_add_f32_e32 v15, 0, v39
	v_add_f32_e32 v15, v15, v40
	ds_read2_b32 v[39:40], v21 offset0:192 offset1:224
	v_add_f32_e32 v15, v15, v41
	v_add_f32_e32 v15, v15, v42
	;; [unrolled: 1-line block ×4, first 2 shown]
	s_waitcnt lgkmcnt(0)
	v_add_f32_e32 v15, v15, v39
	v_add_f32_e32 v15, v15, v40
	v_mul_f32_e32 v39, s22, v15
.LBB144_16:                             ;   Parent Loop BB144_14 Depth=1
                                        ; =>  This Inner Loop Header: Depth=2
	s_waitcnt vmcnt(0)
	v_add_f32_e32 v15, v16, v39
	flat_atomic_cmpswap v15, v[13:14], v[15:16] glc
	s_waitcnt vmcnt(0) lgkmcnt(0)
	v_cmp_eq_u32_e64 s[0:1], v15, v16
	s_or_b64 s[14:15], s[0:1], s[14:15]
	v_mov_b32_e32 v16, v15
	s_andn2_b64 exec, exec, s[14:15]
	s_cbranch_execnz .LBB144_16
; %bb.17:                               ;   in Loop: Header=BB144_14 Depth=1
	s_or_b64 exec, exec, s[14:15]
.LBB144_18:                             ;   in Loop: Header=BB144_14 Depth=1
	s_or_b64 exec, exec, s[12:13]
	s_add_u32 s0, s8, 0x80
	v_fmac_f32_e32 v18, v38, v25
	v_fmac_f32_e32 v20, v38, v26
	;; [unrolled: 1-line block ×4, first 2 shown]
	s_addc_u32 s1, s9, 0
	s_add_i32 s12, s24, 1
	v_fmac_f32_e32 v18, v37, v36
	v_fmac_f32_e32 v20, v37, v34
	;; [unrolled: 1-line block ×4, first 2 shown]
	s_cmp_eq_u32 s24, s23
	s_cbranch_scc1 .LBB144_22
; %bb.19:                               ;   in Loop: Header=BB144_14 Depth=1
	s_mov_b32 s24, s12
	s_mov_b64 s[8:9], s[0:1]
	v_mov_b32_e32 v25, v32
	v_mov_b32_e32 v26, v31
	;; [unrolled: 1-line block ×4, first 2 shown]
	s_branch .LBB144_14
.LBB144_20:
	v_mov_b32_e32 v2, 0
	v_mov_b32_e32 v19, v2
	v_mov_b32_e32 v20, v2
	v_mov_b32_e32 v18, v2
	s_branch .LBB144_26
.LBB144_21:
	v_mov_b32_e32 v8, s1
	v_mov_b32_e32 v7, s0
	s_waitcnt vmcnt(0) lgkmcnt(0)
	v_mov_b32_e32 v29, v28
	v_mov_b32_e32 v30, v27
	;; [unrolled: 1-line block ×7, first 2 shown]
.LBB144_22:
	s_add_u32 s10, s18, s10
	v_lshlrev_b64 v[11:12], 2, v[11:12]
	s_addc_u32 s11, s19, s11
	v_mov_b32_e32 v13, s11
	v_add_co_u32_e64 v11, s[0:1], s10, v11
	v_addc_co_u32_e64 v12, s[0:1], v13, v12, s[0:1]
	v_lshlrev_b64 v[13:14], 2, v[9:10]
	v_mov_b32_e32 v9, s9
	v_add_co_u32_e64 v5, s[0:1], s8, v5
	v_addc_co_u32_e64 v6, s[0:1], v9, v6, s[0:1]
	flat_load_dword v28, v[11:12]
	v_mov_b32_e32 v9, s5
	v_add_co_u32_e64 v11, s[0:1], s4, v5
	v_addc_co_u32_e64 v12, s[0:1], v6, v9, s[0:1]
	flat_load_dword v9, v[5:6] offset:192
	flat_load_dword v10, v[11:12] offset:192
	v_mov_b32_e32 v16, s5
	v_add_co_u32_e64 v5, s[0:1], s4, v11
	v_addc_co_u32_e64 v6, s[0:1], v12, v16, s[0:1]
	v_add_co_u32_e64 v15, s[0:1], s4, v5
	v_addc_co_u32_e64 v16, s[0:1], v6, v16, s[0:1]
	v_mov_b32_e32 v25, s11
	flat_load_dword v11, v[5:6] offset:192
	flat_load_dword v12, v[15:16] offset:192
	v_add_co_u32_e64 v5, s[0:1], s10, v13
	v_addc_co_u32_e64 v6, s[0:1], v25, v14, s[0:1]
	flat_load_dword v13, v[5:6]
	ds_read_b128 v[24:27], v24
	v_add_u32_e32 v5, v22, v23
	s_waitcnt vmcnt(0) lgkmcnt(0)
	s_barrier
	v_fma_f32 v6, v32, v24, 0
	v_fmac_f32_e32 v6, v31, v25
	v_fmac_f32_e32 v6, v30, v26
	v_fmac_f32_e32 v6, v29, v27
	v_fmac_f32_e32 v18, v28, v32
	v_fmac_f32_e32 v20, v28, v31
	v_fmac_f32_e32 v19, v28, v30
	v_fmac_f32_e32 v2, v28, v29
	v_fma_f32 v14, v9, v24, 0
	v_fmac_f32_e32 v14, v10, v25
	v_fmac_f32_e32 v14, v11, v26
	;; [unrolled: 1-line block ×3, first 2 shown]
	ds_write2_b32 v5, v6, v14 offset1:16
	s_waitcnt lgkmcnt(0)
	s_barrier
	s_and_saveexec_b64 s[4:5], vcc
	s_cbranch_execz .LBB144_25
; %bb.23:
	v_mov_b32_e32 v5, s7
	v_add_co_u32_e64 v6, s[0:1], s6, v7
	v_lshlrev_b64 v[3:4], 2, v[3:4]
	v_addc_co_u32_e64 v5, s[0:1], v8, v5, s[0:1]
	v_add_co_u32_e64 v3, s[0:1], v6, v3
	v_addc_co_u32_e64 v4, s[0:1], v5, v4, s[0:1]
	flat_load_dword v6, v[3:4]
	ds_read2_b32 v[7:8], v21 offset1:32
	ds_read2_b32 v[14:15], v21 offset0:64 offset1:96
	ds_read2_b32 v[22:23], v21 offset0:128 offset1:160
	s_mov_b64 s[6:7], 0
	s_waitcnt lgkmcnt(0)
	v_add_f32_e32 v5, 0, v7
	v_add_f32_e32 v5, v5, v8
	ds_read2_b32 v[7:8], v21 offset0:192 offset1:224
	v_add_f32_e32 v5, v5, v14
	v_add_f32_e32 v5, v5, v15
	v_add_f32_e32 v5, v5, v22
	v_add_f32_e32 v5, v5, v23
	s_waitcnt lgkmcnt(0)
	v_add_f32_e32 v5, v5, v7
	v_add_f32_e32 v5, v5, v8
	v_mul_f32_e32 v7, s22, v5
.LBB144_24:                             ; =>This Inner Loop Header: Depth=1
	s_waitcnt vmcnt(0)
	v_add_f32_e32 v5, v6, v7
	flat_atomic_cmpswap v5, v[3:4], v[5:6] glc
	s_waitcnt vmcnt(0) lgkmcnt(0)
	v_cmp_eq_u32_e64 s[0:1], v5, v6
	s_or_b64 s[6:7], s[0:1], s[6:7]
	v_mov_b32_e32 v6, v5
	s_andn2_b64 exec, exec, s[6:7]
	s_cbranch_execnz .LBB144_24
.LBB144_25:
	s_or_b64 exec, exec, s[4:5]
	v_fmac_f32_e32 v18, v13, v9
	v_fmac_f32_e32 v20, v13, v10
	;; [unrolled: 1-line block ×4, first 2 shown]
.LBB144_26:
	v_lshlrev_b32_e32 v3, 8, v17
	v_lshl_or_b32 v3, v1, 2, v3
	ds_write2_b32 v3, v18, v20 offset1:16
	ds_write2_b32 v3, v19, v2 offset0:32 offset1:48
	s_waitcnt lgkmcnt(0)
	s_barrier
	s_and_saveexec_b64 s[0:1], vcc
	s_cbranch_execz .LBB144_29
; %bb.27:
	v_mad_u64_u32 v[2:3], s[0:1], s2, v0, 0
	v_mov_b32_e32 v5, s17
	v_add_u32_e32 v7, 1, v0
	v_mad_u64_u32 v[3:4], s[0:1], s3, v0, v[3:4]
	v_add_u32_e32 v8, 2, v0
	v_add_u32_e32 v9, 3, v0
	v_lshlrev_b64 v[2:3], 2, v[2:3]
	v_add_u32_e32 v10, 4, v0
	v_add_co_u32_e32 v2, vcc, s16, v2
	v_addc_co_u32_e32 v3, vcc, v5, v3, vcc
	flat_load_dword v5, v[2:3]
	v_add_u32_e32 v11, 5, v0
	v_add_u32_e32 v12, 6, v0
	v_add_u32_e32 v13, 7, v0
	v_lshlrev_b32_e32 v4, 6, v0
	v_and_b32_e32 v7, 15, v7
	v_and_b32_e32 v8, 15, v8
	;; [unrolled: 1-line block ×7, first 2 shown]
	v_lshl_or_b32 v6, v1, 2, v4
	v_lshl_or_b32 v7, v7, 2, v4
	v_lshl_or_b32 v8, v8, 2, v4
	v_lshl_or_b32 v9, v9, 2, v4
	v_lshl_or_b32 v10, v10, 2, v4
	v_lshl_or_b32 v11, v11, 2, v4
	v_lshl_or_b32 v12, v12, 2, v4
	v_lshl_or_b32 v13, v13, 2, v4
	ds_read_b32 v6, v6
	ds_read_b32 v7, v7
	;; [unrolled: 1-line block ×8, first 2 shown]
	s_waitcnt lgkmcnt(0)
	v_add_f32_e32 v6, 0, v6
	v_add_f32_e32 v6, v6, v7
	;; [unrolled: 1-line block ×7, first 2 shown]
	v_add_u32_e32 v7, 9, v0
	v_add_u32_e32 v8, 10, v0
	;; [unrolled: 1-line block ×6, first 2 shown]
	v_add_u32_e32 v0, -1, v0
	v_xor_b32_e32 v1, 8, v1
	v_and_b32_e32 v7, 15, v7
	v_and_b32_e32 v8, 15, v8
	;; [unrolled: 1-line block ×6, first 2 shown]
	v_lshl_or_b32 v1, v1, 2, v4
	v_lshl_or_b32 v7, v7, 2, v4
	;; [unrolled: 1-line block ×6, first 2 shown]
	v_and_b32_e32 v12, 15, v12
	v_lshl_or_b32 v0, v0, 2, v4
	v_add_f32_e32 v6, v6, v13
	v_lshl_or_b32 v12, v12, 2, v4
	ds_read_b32 v1, v1
	ds_read_b32 v4, v7
	;; [unrolled: 1-line block ×8, first 2 shown]
	s_waitcnt lgkmcnt(0)
	v_add_f32_e32 v1, v6, v1
	v_add_f32_e32 v1, v1, v4
	;; [unrolled: 1-line block ×8, first 2 shown]
	v_mul_f32_e32 v0, s22, v0
	s_mov_b64 s[0:1], 0
.LBB144_28:                             ; =>This Inner Loop Header: Depth=1
	s_waitcnt vmcnt(0)
	v_add_f32_e32 v4, v5, v0
	flat_atomic_cmpswap v1, v[2:3], v[4:5] glc
	s_waitcnt vmcnt(0) lgkmcnt(0)
	v_cmp_eq_u32_e32 vcc, v1, v5
	s_or_b64 s[0:1], vcc, s[0:1]
	v_mov_b32_e32 v5, v1
	s_andn2_b64 exec, exec, s[0:1]
	s_cbranch_execnz .LBB144_28
.LBB144_29:
	s_endpgm
	.section	.rodata,"a",@progbits
	.p2align	6, 0x0
	.amdhsa_kernel _ZL54rocblas_symv_kernel_lower_double_buffered_non_diagonalILi32ELi4ELi4E24rocblas_internal_val_ptrIfEPKPKfPKPfEvbiT2_lT3_lllSA_lllT4_llli
		.amdhsa_group_segment_fixed_size 3200
		.amdhsa_private_segment_fixed_size 0
		.amdhsa_kernarg_size 384
		.amdhsa_user_sgpr_count 6
		.amdhsa_user_sgpr_private_segment_buffer 1
		.amdhsa_user_sgpr_dispatch_ptr 0
		.amdhsa_user_sgpr_queue_ptr 0
		.amdhsa_user_sgpr_kernarg_segment_ptr 1
		.amdhsa_user_sgpr_dispatch_id 0
		.amdhsa_user_sgpr_flat_scratch_init 0
		.amdhsa_user_sgpr_private_segment_size 0
		.amdhsa_uses_dynamic_stack 0
		.amdhsa_system_sgpr_private_segment_wavefront_offset 0
		.amdhsa_system_sgpr_workgroup_id_x 1
		.amdhsa_system_sgpr_workgroup_id_y 1
		.amdhsa_system_sgpr_workgroup_id_z 1
		.amdhsa_system_sgpr_workgroup_info 0
		.amdhsa_system_vgpr_workitem_id 1
		.amdhsa_next_free_vgpr 47
		.amdhsa_next_free_sgpr 61
		.amdhsa_reserve_vcc 1
		.amdhsa_reserve_flat_scratch 0
		.amdhsa_float_round_mode_32 0
		.amdhsa_float_round_mode_16_64 0
		.amdhsa_float_denorm_mode_32 3
		.amdhsa_float_denorm_mode_16_64 3
		.amdhsa_dx10_clamp 1
		.amdhsa_ieee_mode 1
		.amdhsa_fp16_overflow 0
		.amdhsa_exception_fp_ieee_invalid_op 0
		.amdhsa_exception_fp_denorm_src 0
		.amdhsa_exception_fp_ieee_div_zero 0
		.amdhsa_exception_fp_ieee_overflow 0
		.amdhsa_exception_fp_ieee_underflow 0
		.amdhsa_exception_fp_ieee_inexact 0
		.amdhsa_exception_int_div_zero 0
	.end_amdhsa_kernel
	.section	.text._ZL54rocblas_symv_kernel_lower_double_buffered_non_diagonalILi32ELi4ELi4E24rocblas_internal_val_ptrIfEPKPKfPKPfEvbiT2_lT3_lllSA_lllT4_llli,"axG",@progbits,_ZL54rocblas_symv_kernel_lower_double_buffered_non_diagonalILi32ELi4ELi4E24rocblas_internal_val_ptrIfEPKPKfPKPfEvbiT2_lT3_lllSA_lllT4_llli,comdat
.Lfunc_end144:
	.size	_ZL54rocblas_symv_kernel_lower_double_buffered_non_diagonalILi32ELi4ELi4E24rocblas_internal_val_ptrIfEPKPKfPKPfEvbiT2_lT3_lllSA_lllT4_llli, .Lfunc_end144-_ZL54rocblas_symv_kernel_lower_double_buffered_non_diagonalILi32ELi4ELi4E24rocblas_internal_val_ptrIfEPKPKfPKPfEvbiT2_lT3_lllSA_lllT4_llli
                                        ; -- End function
	.set _ZL54rocblas_symv_kernel_lower_double_buffered_non_diagonalILi32ELi4ELi4E24rocblas_internal_val_ptrIfEPKPKfPKPfEvbiT2_lT3_lllSA_lllT4_llli.num_vgpr, 47
	.set _ZL54rocblas_symv_kernel_lower_double_buffered_non_diagonalILi32ELi4ELi4E24rocblas_internal_val_ptrIfEPKPKfPKPfEvbiT2_lT3_lllSA_lllT4_llli.num_agpr, 0
	.set _ZL54rocblas_symv_kernel_lower_double_buffered_non_diagonalILi32ELi4ELi4E24rocblas_internal_val_ptrIfEPKPKfPKPfEvbiT2_lT3_lllSA_lllT4_llli.numbered_sgpr, 28
	.set _ZL54rocblas_symv_kernel_lower_double_buffered_non_diagonalILi32ELi4ELi4E24rocblas_internal_val_ptrIfEPKPKfPKPfEvbiT2_lT3_lllSA_lllT4_llli.num_named_barrier, 0
	.set _ZL54rocblas_symv_kernel_lower_double_buffered_non_diagonalILi32ELi4ELi4E24rocblas_internal_val_ptrIfEPKPKfPKPfEvbiT2_lT3_lllSA_lllT4_llli.private_seg_size, 0
	.set _ZL54rocblas_symv_kernel_lower_double_buffered_non_diagonalILi32ELi4ELi4E24rocblas_internal_val_ptrIfEPKPKfPKPfEvbiT2_lT3_lllSA_lllT4_llli.uses_vcc, 1
	.set _ZL54rocblas_symv_kernel_lower_double_buffered_non_diagonalILi32ELi4ELi4E24rocblas_internal_val_ptrIfEPKPKfPKPfEvbiT2_lT3_lllSA_lllT4_llli.uses_flat_scratch, 0
	.set _ZL54rocblas_symv_kernel_lower_double_buffered_non_diagonalILi32ELi4ELi4E24rocblas_internal_val_ptrIfEPKPKfPKPfEvbiT2_lT3_lllSA_lllT4_llli.has_dyn_sized_stack, 0
	.set _ZL54rocblas_symv_kernel_lower_double_buffered_non_diagonalILi32ELi4ELi4E24rocblas_internal_val_ptrIfEPKPKfPKPfEvbiT2_lT3_lllSA_lllT4_llli.has_recursion, 0
	.set _ZL54rocblas_symv_kernel_lower_double_buffered_non_diagonalILi32ELi4ELi4E24rocblas_internal_val_ptrIfEPKPKfPKPfEvbiT2_lT3_lllSA_lllT4_llli.has_indirect_call, 0
	.section	.AMDGPU.csdata,"",@progbits
; Kernel info:
; codeLenInByte = 2812
; TotalNumSgprs: 32
; NumVgprs: 47
; ScratchSize: 0
; MemoryBound: 0
; FloatMode: 240
; IeeeMode: 1
; LDSByteSize: 3200 bytes/workgroup (compile time only)
; SGPRBlocks: 8
; VGPRBlocks: 11
; NumSGPRsForWavesPerEU: 65
; NumVGPRsForWavesPerEU: 47
; Occupancy: 5
; WaveLimiterHint : 1
; COMPUTE_PGM_RSRC2:SCRATCH_EN: 0
; COMPUTE_PGM_RSRC2:USER_SGPR: 6
; COMPUTE_PGM_RSRC2:TRAP_HANDLER: 0
; COMPUTE_PGM_RSRC2:TGID_X_EN: 1
; COMPUTE_PGM_RSRC2:TGID_Y_EN: 1
; COMPUTE_PGM_RSRC2:TGID_Z_EN: 1
; COMPUTE_PGM_RSRC2:TIDIG_COMP_CNT: 1
	.section	.text._ZL58rocblas_symv_kernel_lower_double_buffered_diagonal_genericILi32ELi4E24rocblas_internal_val_ptrIfEPKPKfPKPfEvbiT1_lT2_lllSA_lllS9_lT3_lllii,"axG",@progbits,_ZL58rocblas_symv_kernel_lower_double_buffered_diagonal_genericILi32ELi4E24rocblas_internal_val_ptrIfEPKPKfPKPfEvbiT1_lT2_lllSA_lllS9_lT3_lllii,comdat
	.globl	_ZL58rocblas_symv_kernel_lower_double_buffered_diagonal_genericILi32ELi4E24rocblas_internal_val_ptrIfEPKPKfPKPfEvbiT1_lT2_lllSA_lllS9_lT3_lllii ; -- Begin function _ZL58rocblas_symv_kernel_lower_double_buffered_diagonal_genericILi32ELi4E24rocblas_internal_val_ptrIfEPKPKfPKPfEvbiT1_lT2_lllSA_lllS9_lT3_lllii
	.p2align	8
	.type	_ZL58rocblas_symv_kernel_lower_double_buffered_diagonal_genericILi32ELi4E24rocblas_internal_val_ptrIfEPKPKfPKPfEvbiT1_lT2_lllSA_lllS9_lT3_lllii,@function
_ZL58rocblas_symv_kernel_lower_double_buffered_diagonal_genericILi32ELi4E24rocblas_internal_val_ptrIfEPKPKfPKPfEvbiT1_lT2_lllSA_lllS9_lT3_lllii: ; @_ZL58rocblas_symv_kernel_lower_double_buffered_diagonal_genericILi32ELi4E24rocblas_internal_val_ptrIfEPKPKfPKPfEvbiT1_lT2_lllSA_lllS9_lT3_lllii
; %bb.0:
	s_load_dword s0, s[4:5], 0x0
	s_load_dwordx8 s[8:15], s[4:5], 0x8
	s_load_dwordx2 s[20:21], s[4:5], 0x28
	s_mov_b32 s22, s7
	s_mov_b64 s[2:3], -1
	s_waitcnt lgkmcnt(0)
	s_bitcmp1_b32 s0, 0
	s_cselect_b64 s[0:1], -1, 0
	s_xor_b64 s[0:1], s[0:1], -1
	s_and_b64 vcc, exec, s[0:1]
                                        ; implicit-def: $sgpr30
	s_cbranch_vccnz .LBB145_7
; %bb.1:
	s_load_dwordx4 s[16:19], s[4:5], 0x58
	s_andn2_b64 vcc, exec, s[2:3]
	s_cbranch_vccz .LBB145_8
.LBB145_2:
	s_andn2_b64 vcc, exec, s[0:1]
	s_cbranch_vccnz .LBB145_4
.LBB145_3:
	s_waitcnt lgkmcnt(0)
	s_mul_i32 s0, s19, s22
	s_mul_hi_u32 s1, s18, s22
	s_add_i32 s1, s1, s0
	s_mul_i32 s0, s18, s22
	s_lshl_b64 s[0:1], s[0:1], 2
	s_add_u32 s0, s16, s0
	s_addc_u32 s1, s17, s1
	s_load_dword s16, s[0:1], 0x0
.LBB145_4:
	s_waitcnt lgkmcnt(0)
	v_cmp_eq_f32_e64 s[24:25], s30, 0
	v_cmp_eq_f32_e64 s[0:1], s16, 1.0
	s_and_b64 s[0:1], s[24:25], s[0:1]
	s_and_b64 vcc, exec, s[0:1]
	s_cbranch_vccnz .LBB145_67
; %bb.5:
	v_cmp_neq_f32_e64 s[28:29], s30, 0
	s_mov_b32 s23, 0
	s_and_b64 vcc, exec, s[28:29]
	s_cbranch_vccnz .LBB145_9
; %bb.6:
	s_mov_b64 s[0:1], 0
	s_branch .LBB145_10
.LBB145_7:
	s_mul_i32 s2, s11, s22
	s_mul_hi_u32 s3, s10, s22
	s_add_i32 s3, s3, s2
	s_mul_i32 s2, s10, s22
	s_lshl_b64 s[2:3], s[2:3], 2
	s_add_u32 s2, s8, s2
	s_addc_u32 s3, s9, s3
	s_load_dword s30, s[2:3], 0x0
	s_load_dwordx4 s[16:19], s[4:5], 0x58
	s_cbranch_execnz .LBB145_2
.LBB145_8:
	s_waitcnt lgkmcnt(0)
	s_mov_b32 s30, s8
	s_andn2_b64 vcc, exec, s[0:1]
	s_cbranch_vccz .LBB145_3
	s_branch .LBB145_4
.LBB145_9:
	s_mov_b64 s[0:1], -1
.LBB145_10:
	s_load_dwordx2 s[26:27], s[4:5], 0x68
	s_mov_b64 s[18:19], 0
	s_andn2_b64 vcc, exec, s[0:1]
	s_mov_b64 s[8:9], 0
	s_cbranch_vccnz .LBB145_12
; %bb.11:
	s_lshl_b64 s[0:1], s[22:23], 3
	s_add_u32 s0, s12, s0
	s_addc_u32 s1, s13, s1
	s_load_dwordx2 s[0:1], s[0:1], 0x0
	s_lshl_b64 s[2:3], s[14:15], 2
	s_waitcnt lgkmcnt(0)
	s_add_u32 s8, s0, s2
	s_addc_u32 s9, s1, s3
.LBB145_12:
	s_load_dwordx4 s[0:3], s[4:5], 0x38
	s_load_dwordx2 s[10:11], s[4:5], 0x48
	s_andn2_b64 vcc, exec, s[28:29]
	s_cbranch_vccnz .LBB145_14
; %bb.13:
	s_lshl_b64 s[12:13], s[22:23], 3
	s_waitcnt lgkmcnt(0)
	s_add_u32 s0, s0, s12
	s_addc_u32 s1, s1, s13
	s_load_dwordx2 s[0:1], s[0:1], 0x0
	s_lshl_b64 s[2:3], s[2:3], 2
	s_waitcnt lgkmcnt(0)
	s_add_u32 s18, s0, s2
	s_addc_u32 s19, s1, s3
.LBB145_14:
	s_lshl_b64 s[12:13], s[22:23], 3
	s_waitcnt lgkmcnt(0)
	s_load_dwordx4 s[0:3], s[4:5], 0x70
	s_add_u32 s12, s26, s12
	s_addc_u32 s13, s27, s13
	s_load_dwordx2 s[14:15], s[12:13], 0x0
	s_load_dword s17, s[4:5], 0x88
	s_waitcnt lgkmcnt(0)
	s_lshl_b64 s[0:1], s[0:1], 2
	s_add_u32 s7, s14, s0
	s_addc_u32 s12, s15, s1
	s_lshl_b32 s26, s6, 5
	s_ashr_i32 s27, s26, 31
	s_mul_i32 s0, s2, s27
	s_mul_hi_u32 s1, s2, s26
	s_add_i32 s0, s1, s0
	s_mul_i32 s1, s3, s26
	s_add_i32 s1, s0, s1
	s_mul_i32 s0, s2, s26
	s_lshl_b64 s[0:1], s[0:1], 2
	s_add_u32 s22, s7, s0
	s_addc_u32 s23, s12, s1
	s_mov_b64 s[12:13], -1
	s_andn2_b64 vcc, exec, s[24:25]
	v_cmp_eq_u32_e64 s[0:1], 0, v1
	s_cbranch_vccnz .LBB145_21
; %bb.15:
	s_and_saveexec_b64 s[12:13], s[0:1]
	s_cbranch_execz .LBB145_20
; %bb.16:
	v_cmp_gt_i32_e64 s[0:1], s17, v0
	v_cmp_le_i32_e32 vcc, s17, v0
	s_and_saveexec_b64 s[14:15], vcc
	s_cbranch_execz .LBB145_18
; %bb.17:
	s_load_dword s7, s[4:5], 0x90
	s_waitcnt lgkmcnt(0)
	s_add_i32 s7, s7, -1
	s_cmp_lt_u32 s6, s7
	s_cselect_b64 s[24:25], -1, 0
	s_andn2_b64 s[0:1], s[0:1], exec
	s_and_b64 s[24:25], s[24:25], exec
	s_or_b64 s[0:1], s[0:1], s[24:25]
.LBB145_18:
	s_or_b64 exec, exec, s[14:15]
	s_and_b64 exec, exec, s[0:1]
	s_cbranch_execz .LBB145_20
; %bb.19:
	v_mad_u64_u32 v[2:3], s[0:1], s2, v0, 0
	v_mad_u64_u32 v[3:4], s[0:1], s3, v0, v[3:4]
	v_mov_b32_e32 v4, s23
	v_lshlrev_b64 v[2:3], 2, v[2:3]
	v_add_co_u32_e32 v2, vcc, s22, v2
	v_addc_co_u32_e32 v3, vcc, v4, v3, vcc
	flat_load_dword v4, v[2:3]
	s_waitcnt vmcnt(0) lgkmcnt(0)
	v_mul_f32_e32 v4, s16, v4
	flat_store_dword v[2:3], v4
.LBB145_20:
	s_or_b64 exec, exec, s[12:13]
	s_mov_b64 s[12:13], 0
.LBB145_21:
	s_andn2_b64 vcc, exec, s[12:13]
	s_cbranch_vccnz .LBB145_67
; %bb.22:
	s_mul_i32 s0, s10, s27
	s_mul_hi_u32 s1, s10, s26
	s_load_dword s4, s[4:5], 0x90
	s_add_i32 s0, s1, s0
	s_mul_i32 s1, s11, s26
	s_add_i32 s1, s0, s1
	s_mul_i32 s0, s10, s26
	s_lshl_b64 s[0:1], s[0:1], 2
	s_add_u32 s14, s18, s0
	s_addc_u32 s15, s19, s1
	s_waitcnt lgkmcnt(0)
	s_add_i32 s4, s4, -1
	s_cmp_lg_u32 s6, s4
	s_cselect_b64 s[4:5], -1, 0
	v_mov_b32_e32 v6, 0
	v_cmp_eq_u32_e64 s[0:1], 0, v1
	s_and_b64 vcc, exec, s[4:5]
	s_cbranch_vccz .LBB145_27
; %bb.23:
	s_and_saveexec_b64 s[6:7], s[0:1]
	s_cbranch_execz .LBB145_26
; %bb.24:
	v_mad_u64_u32 v[2:3], s[12:13], s10, v0, 0
	v_mov_b32_e32 v6, 0
	v_mad_u64_u32 v[3:4], s[12:13], s11, v0, v[3:4]
	v_mov_b32_e32 v4, s15
	v_cmp_eq_f32_e64 s[12:13], s16, 0
	v_lshlrev_b64 v[2:3], 2, v[2:3]
	v_add_co_u32_e32 v2, vcc, s14, v2
	v_addc_co_u32_e32 v3, vcc, v4, v3, vcc
	flat_load_dword v2, v[2:3]
	v_lshlrev_b32_e32 v3, 2, v0
	s_and_b64 vcc, exec, s[12:13]
	s_waitcnt vmcnt(0) lgkmcnt(0)
	ds_write_b32 v3, v2 offset:5120
	s_cbranch_vccnz .LBB145_26
; %bb.25:
	v_mad_u64_u32 v[2:3], s[12:13], s2, v0, 0
	v_mad_u64_u32 v[3:4], s[12:13], s3, v0, v[3:4]
	v_mov_b32_e32 v4, s23
	v_lshlrev_b64 v[2:3], 2, v[2:3]
	v_add_co_u32_e32 v2, vcc, s22, v2
	v_addc_co_u32_e32 v3, vcc, v4, v3, vcc
	flat_load_dword v2, v[2:3]
	s_waitcnt vmcnt(0) lgkmcnt(0)
	v_mul_f32_e32 v6, s16, v2
.LBB145_26:
	s_or_b64 exec, exec, s[6:7]
	s_cbranch_execz .LBB145_28
	s_branch .LBB145_36
.LBB145_27:
                                        ; implicit-def: $vgpr6
.LBB145_28:
	v_mov_b32_e32 v6, 0
	s_and_saveexec_b64 s[6:7], s[0:1]
	s_cbranch_execz .LBB145_35
; %bb.29:
	v_cmp_le_i32_e32 vcc, s17, v0
	s_and_saveexec_b64 s[12:13], vcc
	s_xor_b64 s[12:13], exec, s[12:13]
; %bb.30:
	v_lshlrev_b32_e32 v2, 2, v0
	v_mov_b32_e32 v3, 0
	ds_write_b32 v2, v3 offset:5120
; %bb.31:
	s_or_saveexec_b64 s[12:13], s[12:13]
	v_mov_b32_e32 v6, 0
	s_xor_b64 exec, exec, s[12:13]
	s_cbranch_execz .LBB145_34
; %bb.32:
	v_mad_u64_u32 v[2:3], s[18:19], s10, v0, 0
	v_mov_b32_e32 v6, 0
	v_mad_u64_u32 v[3:4], s[10:11], s11, v0, v[3:4]
	v_mov_b32_e32 v4, s15
	v_cmp_eq_f32_e64 s[10:11], s16, 0
	v_lshlrev_b64 v[2:3], 2, v[2:3]
	v_add_co_u32_e32 v2, vcc, s14, v2
	v_addc_co_u32_e32 v3, vcc, v4, v3, vcc
	flat_load_dword v2, v[2:3]
	v_lshlrev_b32_e32 v3, 2, v0
	s_and_b64 vcc, exec, s[10:11]
	s_waitcnt vmcnt(0) lgkmcnt(0)
	ds_write_b32 v3, v2 offset:5120
	s_cbranch_vccnz .LBB145_34
; %bb.33:
	v_mad_u64_u32 v[2:3], s[10:11], s2, v0, 0
	v_mad_u64_u32 v[3:4], s[10:11], s3, v0, v[3:4]
	v_mov_b32_e32 v4, s23
	v_lshlrev_b64 v[2:3], 2, v[2:3]
	v_add_co_u32_e32 v2, vcc, s22, v2
	v_addc_co_u32_e32 v3, vcc, v4, v3, vcc
	flat_load_dword v2, v[2:3]
	s_waitcnt vmcnt(0) lgkmcnt(0)
	v_mul_f32_e32 v6, s16, v2
.LBB145_34:
	s_or_b64 exec, exec, s[12:13]
.LBB145_35:
	s_or_b64 exec, exec, s[6:7]
.LBB145_36:
	s_add_u32 s10, s20, 1
	s_mul_i32 s6, s10, s27
	s_mul_hi_u32 s7, s10, s26
	s_addc_u32 s11, s21, 0
	s_add_i32 s12, s7, s6
	v_mad_u64_u32 v[2:3], s[6:7], s20, v1, 0
	s_mul_i32 s11, s11, s26
	s_add_i32 s7, s12, s11
	s_mul_i32 s6, s10, s26
	v_mad_u64_u32 v[3:4], s[10:11], s21, v1, v[3:4]
	s_lshl_b64 s[6:7], s[6:7], 2
	s_add_u32 s10, s8, s6
	v_lshlrev_b64 v[4:5], 2, v[2:3]
	s_addc_u32 s11, s9, s7
	v_mov_b32_e32 v2, s11
	v_add_co_u32_e32 v3, vcc, s10, v4
	v_addc_co_u32_e32 v8, vcc, v2, v5, vcc
	v_lshlrev_b32_e32 v7, 2, v0
	v_add_co_u32_e32 v2, vcc, v3, v7
	v_addc_co_u32_e32 v3, vcc, 0, v8, vcc
	v_lshlrev_b32_e32 v8, 7, v1
	v_lshlrev_b32_e32 v10, 5, v1
	s_mov_b64 s[10:11], -1
	s_andn2_b64 vcc, exec, s[4:5]
	v_add_u32_e32 v8, v7, v8
	s_cbranch_vccnz .LBB145_38
; %bb.37:
	s_lshl_b64 s[10:11], s[20:21], 4
	v_mov_b32_e32 v9, s11
	v_add_co_u32_e32 v11, vcc, s10, v2
	v_addc_co_u32_e32 v12, vcc, v3, v9, vcc
	v_add_co_u32_e32 v13, vcc, s10, v11
	v_addc_co_u32_e32 v14, vcc, v12, v9, vcc
	v_add_co_u32_e32 v15, vcc, s10, v13
	v_addc_co_u32_e32 v16, vcc, v14, v9, vcc
	v_add_co_u32_e32 v17, vcc, s10, v15
	v_addc_co_u32_e32 v18, vcc, v16, v9, vcc
	v_add_co_u32_e32 v19, vcc, s10, v17
	v_addc_co_u32_e32 v20, vcc, v18, v9, vcc
	v_add_co_u32_e32 v21, vcc, s10, v19
	v_addc_co_u32_e32 v22, vcc, v20, v9, vcc
	v_add_co_u32_e32 v23, vcc, s10, v21
	v_addc_co_u32_e32 v24, vcc, v22, v9, vcc
	flat_load_dword v9, v[2:3]
	flat_load_dword v25, v[11:12]
	flat_load_dword v26, v[13:14]
	flat_load_dword v27, v[15:16]
	flat_load_dword v28, v[17:18]
	flat_load_dword v29, v[19:20]
	flat_load_dword v30, v[21:22]
	flat_load_dword v31, v[23:24]
	s_mov_b64 s[10:11], 0
	s_waitcnt vmcnt(0) lgkmcnt(0)
	ds_write2st64_b32 v8, v9, v25 offset1:2
	ds_write2st64_b32 v8, v26, v27 offset0:4 offset1:6
	ds_write2st64_b32 v8, v28, v29 offset0:8 offset1:10
	;; [unrolled: 1-line block ×3, first 2 shown]
.LBB145_38:
	s_andn2_b64 vcc, exec, s[10:11]
	v_add_u32_e32 v9, v10, v0
	s_cbranch_vccnz .LBB145_46
; %bb.39:
	v_mov_b32_e32 v11, 0
	v_cmp_gt_i32_e32 vcc, s17, v0
	ds_write2st64_b32 v8, v11, v11 offset1:2
	ds_write2st64_b32 v8, v11, v11 offset0:4 offset1:6
	ds_write2st64_b32 v8, v11, v11 offset0:8 offset1:10
	;; [unrolled: 1-line block ×3, first 2 shown]
	s_and_saveexec_b64 s[10:11], vcc
	s_cbranch_execz .LBB145_45
; %bb.40:
	s_cmp_lt_u32 s17, 4
	s_mov_b32 s12, 0
	s_cbranch_scc1 .LBB145_43
; %bb.41:
	v_mov_b32_e32 v12, s7
	v_add_co_u32_e32 v4, vcc, s6, v4
	v_addc_co_u32_e32 v5, vcc, v12, v5, vcc
	v_add_co_u32_e32 v4, vcc, v4, v7
	v_addc_co_u32_e32 v5, vcc, 0, v5, vcc
	s_lshr_b32 s12, s17, 2
	v_mov_b32_e32 v12, s9
	v_add_co_u32_e32 v4, vcc, s8, v4
	s_lshl_b64 s[6:7], s[20:21], 4
	v_lshl_add_u32 v11, v10, 2, v7
	v_addc_co_u32_e32 v5, vcc, v12, v5, vcc
	v_mov_b32_e32 v12, s7
	s_mov_b32 s7, s12
.LBB145_42:                             ; =>This Inner Loop Header: Depth=1
	flat_load_dword v13, v[4:5]
	s_add_i32 s7, s7, -1
	v_add_co_u32_e32 v4, vcc, s6, v4
	v_addc_co_u32_e32 v5, vcc, v5, v12, vcc
	s_cmp_lg_u32 s7, 0
	s_waitcnt vmcnt(0) lgkmcnt(0)
	ds_write_b32 v11, v13
	v_add_u32_e32 v11, 0x200, v11
	s_cbranch_scc1 .LBB145_42
.LBB145_43:
	s_and_b32 s6, s17, 3
	v_cmp_gt_u32_e32 vcc, s6, v1
	s_and_b64 exec, exec, vcc
	s_cbranch_execz .LBB145_45
; %bb.44:
	s_lshl_b32 s6, s12, 2
	s_mul_i32 s7, s21, s6
	s_mul_hi_u32 s8, s20, s6
	s_add_i32 s7, s8, s7
	s_mul_i32 s6, s20, s6
	s_lshl_b64 s[6:7], s[6:7], 2
	v_mov_b32_e32 v4, s7
	v_add_co_u32_e32 v2, vcc, s6, v2
	v_addc_co_u32_e32 v3, vcc, v3, v4, vcc
	flat_load_dword v2, v[2:3]
	v_lshlrev_b32_e32 v3, 2, v9
	v_lshl_add_u32 v3, s12, 9, v3
	s_waitcnt vmcnt(0) lgkmcnt(0)
	ds_write_b32 v3, v2
.LBB145_45:
	s_or_b64 exec, exec, s[10:11]
.LBB145_46:
	v_cmp_ge_u32_e32 vcc, v0, v1
	v_lshlrev_b32_e32 v3, 7, v0
	s_waitcnt vmcnt(0) lgkmcnt(0)
	s_barrier
	s_and_saveexec_b64 s[6:7], vcc
	s_xor_b64 s[6:7], exec, s[6:7]
; %bb.47:
	v_lshlrev_b32_e32 v3, 7, v0
                                        ; implicit-def: $vgpr10
; %bb.48:
	s_or_saveexec_b64 s[6:7], s[6:7]
	v_lshlrev_b32_e32 v2, 2, v1
	s_xor_b64 exec, exec, s[6:7]
	s_cbranch_execz .LBB145_50
; %bb.49:
	v_mul_u32_u24_e32 v4, 0x7c, v0
	v_add3_u32 v4, v7, v4, v2
	ds_read_b32 v4, v4
	v_lshl_add_u32 v5, v10, 2, v7
	s_waitcnt lgkmcnt(0)
	ds_write_b32 v5, v4
.LBB145_50:
	s_or_b64 exec, exec, s[6:7]
	v_sub_u32_e32 v4, v0, v1
	v_sub_u32_e32 v5, 0, v4
	v_max_i32_e32 v5, v4, v5
	v_cmp_gt_u32_e32 vcc, 4, v5
	v_lshl_add_u32 v4, v1, 2, v3
	v_lshl_add_u32 v3, v1, 7, v7
	s_and_saveexec_b64 s[6:7], vcc
	s_cbranch_execnz .LBB145_68
; %bb.51:
	s_or_b64 exec, exec, s[6:7]
	v_cmp_gt_u32_e32 vcc, 8, v5
	s_and_saveexec_b64 s[6:7], vcc
	s_cbranch_execnz .LBB145_69
.LBB145_52:
	s_or_b64 exec, exec, s[6:7]
	v_cmp_gt_u32_e32 vcc, 12, v5
	s_and_saveexec_b64 s[6:7], vcc
	s_cbranch_execnz .LBB145_70
.LBB145_53:
	s_or_b64 exec, exec, s[6:7]
	v_cmp_gt_u32_e32 vcc, 16, v5
	s_and_saveexec_b64 s[6:7], vcc
	s_cbranch_execnz .LBB145_71
.LBB145_54:
	s_or_b64 exec, exec, s[6:7]
	v_cmp_gt_u32_e32 vcc, 20, v5
	s_and_saveexec_b64 s[6:7], vcc
	s_cbranch_execnz .LBB145_72
.LBB145_55:
	s_or_b64 exec, exec, s[6:7]
	v_cmp_gt_u32_e32 vcc, 24, v5
	s_and_saveexec_b64 s[6:7], vcc
	s_cbranch_execz .LBB145_57
.LBB145_56:
	ds_read_b32 v10, v4 offset:96
	s_waitcnt lgkmcnt(0)
	ds_write_b32 v8, v10 offset:3072
.LBB145_57:
	s_or_b64 exec, exec, s[6:7]
	v_cmp_lt_u32_e32 vcc, 27, v5
	v_add_u32_e32 v5, 28, v1
                                        ; implicit-def: $vgpr10
	s_and_saveexec_b64 s[6:7], vcc
	s_xor_b64 s[6:7], exec, s[6:7]
; %bb.58:
	v_add_u32_e32 v5, 28, v1
	v_lshlrev_b32_e32 v10, 7, v5
                                        ; implicit-def: $vgpr4
; %bb.59:
	s_andn2_saveexec_b64 s[6:7], s[6:7]
	s_cbranch_execz .LBB145_61
; %bb.60:
	ds_read_b32 v1, v4 offset:112
	v_lshlrev_b32_e32 v10, 7, v5
	v_add_u32_e32 v4, v7, v10
	s_waitcnt lgkmcnt(0)
	ds_write_b32 v4, v1
.LBB145_61:
	s_or_b64 exec, exec, s[6:7]
	s_waitcnt lgkmcnt(0)
	s_barrier
	ds_read_b32 v1, v8
	v_add_u32_e32 v4, 0x1400, v2
	ds_read2_b32 v[11:12], v4 offset1:4
	ds_read2_b32 v[13:14], v4 offset0:8 offset1:12
	ds_read2st64_b32 v[15:16], v3 offset0:2 offset1:4
	v_add_u32_e32 v8, v7, v10
	v_lshlrev_b32_e32 v5, 2, v5
	ds_read_b32 v17, v2 offset:5216
	ds_read_b32 v8, v8
	ds_read_b32 v18, v5 offset:5120
	s_waitcnt lgkmcnt(5)
	v_fma_f32 v19, v1, v11, 0
	ds_read2st64_b32 v[1:2], v3 offset0:6 offset1:8
	ds_read2_b32 v[4:5], v4 offset0:16 offset1:20
	ds_read2st64_b32 v[10:11], v3 offset0:10 offset1:12
	s_waitcnt lgkmcnt(6)
	v_fmac_f32_e32 v19, v15, v12
	v_fmac_f32_e32 v19, v16, v13
	s_waitcnt lgkmcnt(2)
	v_fmac_f32_e32 v19, v1, v14
	s_waitcnt lgkmcnt(1)
	;; [unrolled: 2-line block ×3, first 2 shown]
	v_fmac_f32_e32 v19, v10, v5
	v_fmac_f32_e32 v19, v11, v17
	;; [unrolled: 1-line block ×3, first 2 shown]
	v_lshlrev_b32_e32 v1, 2, v9
	ds_write_b32 v1, v19 offset:4096
	s_waitcnt lgkmcnt(0)
	s_barrier
	s_and_saveexec_b64 s[6:7], s[0:1]
	s_cbranch_execz .LBB145_67
; %bb.62:
	v_add_u32_e32 v3, 0x1000, v7
	ds_read2_b32 v[1:2], v3 offset1:32
	ds_read2_b32 v[3:4], v3 offset0:64 offset1:96
	v_cmp_neq_f32_e64 vcc, s16, 0
	s_mov_b64 s[0:1], -1
	s_waitcnt lgkmcnt(1)
	v_add_f32_e32 v1, 0, v1
	v_add_f32_e32 v1, v1, v2
	s_waitcnt lgkmcnt(0)
	v_add_f32_e32 v1, v1, v3
	v_add_f32_e32 v1, v1, v4
	v_mul_f32_e32 v2, s30, v1
	v_fmac_f32_e32 v6, s30, v1
	v_cndmask_b32_e32 v1, v2, v6, vcc
	s_and_b64 vcc, exec, s[4:5]
	s_cbranch_vccz .LBB145_64
; %bb.63:
	v_mad_u64_u32 v[2:3], s[0:1], s2, v0, 0
	v_mad_u64_u32 v[3:4], s[0:1], s3, v0, v[3:4]
	v_mov_b32_e32 v4, s23
	s_mov_b64 s[0:1], 0
	v_lshlrev_b64 v[2:3], 2, v[2:3]
	v_add_co_u32_e32 v2, vcc, s22, v2
	v_addc_co_u32_e32 v3, vcc, v4, v3, vcc
	flat_store_dword v[2:3], v1
.LBB145_64:
	s_andn2_b64 vcc, exec, s[0:1]
	s_cbranch_vccnz .LBB145_67
; %bb.65:
	v_cmp_gt_i32_e32 vcc, s17, v0
	s_and_b64 exec, exec, vcc
	s_cbranch_execz .LBB145_67
; %bb.66:
	v_mad_u64_u32 v[2:3], s[0:1], s2, v0, 0
	v_mad_u64_u32 v[3:4], s[0:1], s3, v0, v[3:4]
	v_mov_b32_e32 v0, s23
	v_lshlrev_b64 v[2:3], 2, v[2:3]
	v_add_co_u32_e32 v2, vcc, s22, v2
	v_addc_co_u32_e32 v3, vcc, v0, v3, vcc
	flat_store_dword v[2:3], v1
.LBB145_67:
	s_endpgm
.LBB145_68:
	ds_read_b32 v10, v4 offset:16
	s_waitcnt lgkmcnt(0)
	ds_write_b32 v3, v10 offset:512
	s_or_b64 exec, exec, s[6:7]
	v_cmp_gt_u32_e32 vcc, 8, v5
	s_and_saveexec_b64 s[6:7], vcc
	s_cbranch_execz .LBB145_52
.LBB145_69:
	ds_read_b32 v10, v4 offset:32
	s_waitcnt lgkmcnt(0)
	ds_write_b32 v3, v10 offset:1024
	s_or_b64 exec, exec, s[6:7]
	v_cmp_gt_u32_e32 vcc, 12, v5
	s_and_saveexec_b64 s[6:7], vcc
	s_cbranch_execz .LBB145_53
.LBB145_70:
	ds_read_b32 v10, v4 offset:48
	s_waitcnt lgkmcnt(0)
	ds_write_b32 v3, v10 offset:1536
	s_or_b64 exec, exec, s[6:7]
	v_cmp_gt_u32_e32 vcc, 16, v5
	s_and_saveexec_b64 s[6:7], vcc
	s_cbranch_execz .LBB145_54
.LBB145_71:
	ds_read_b32 v10, v4 offset:64
	s_waitcnt lgkmcnt(0)
	ds_write_b32 v8, v10 offset:2048
	s_or_b64 exec, exec, s[6:7]
	v_cmp_gt_u32_e32 vcc, 20, v5
	s_and_saveexec_b64 s[6:7], vcc
	s_cbranch_execz .LBB145_55
.LBB145_72:
	ds_read_b32 v10, v4 offset:80
	s_waitcnt lgkmcnt(0)
	ds_write_b32 v8, v10 offset:2560
	s_or_b64 exec, exec, s[6:7]
	v_cmp_gt_u32_e32 vcc, 24, v5
	s_and_saveexec_b64 s[6:7], vcc
	s_cbranch_execnz .LBB145_56
	s_branch .LBB145_57
	.section	.rodata,"a",@progbits
	.p2align	6, 0x0
	.amdhsa_kernel _ZL58rocblas_symv_kernel_lower_double_buffered_diagonal_genericILi32ELi4E24rocblas_internal_val_ptrIfEPKPKfPKPfEvbiT1_lT2_lllSA_lllS9_lT3_lllii
		.amdhsa_group_segment_fixed_size 5248
		.amdhsa_private_segment_fixed_size 0
		.amdhsa_kernarg_size 400
		.amdhsa_user_sgpr_count 6
		.amdhsa_user_sgpr_private_segment_buffer 1
		.amdhsa_user_sgpr_dispatch_ptr 0
		.amdhsa_user_sgpr_queue_ptr 0
		.amdhsa_user_sgpr_kernarg_segment_ptr 1
		.amdhsa_user_sgpr_dispatch_id 0
		.amdhsa_user_sgpr_flat_scratch_init 0
		.amdhsa_user_sgpr_private_segment_size 0
		.amdhsa_uses_dynamic_stack 0
		.amdhsa_system_sgpr_private_segment_wavefront_offset 0
		.amdhsa_system_sgpr_workgroup_id_x 1
		.amdhsa_system_sgpr_workgroup_id_y 0
		.amdhsa_system_sgpr_workgroup_id_z 1
		.amdhsa_system_sgpr_workgroup_info 0
		.amdhsa_system_vgpr_workitem_id 1
		.amdhsa_next_free_vgpr 37
		.amdhsa_next_free_sgpr 93
		.amdhsa_reserve_vcc 1
		.amdhsa_reserve_flat_scratch 0
		.amdhsa_float_round_mode_32 0
		.amdhsa_float_round_mode_16_64 0
		.amdhsa_float_denorm_mode_32 3
		.amdhsa_float_denorm_mode_16_64 3
		.amdhsa_dx10_clamp 1
		.amdhsa_ieee_mode 1
		.amdhsa_fp16_overflow 0
		.amdhsa_exception_fp_ieee_invalid_op 0
		.amdhsa_exception_fp_denorm_src 0
		.amdhsa_exception_fp_ieee_div_zero 0
		.amdhsa_exception_fp_ieee_overflow 0
		.amdhsa_exception_fp_ieee_underflow 0
		.amdhsa_exception_fp_ieee_inexact 0
		.amdhsa_exception_int_div_zero 0
	.end_amdhsa_kernel
	.section	.text._ZL58rocblas_symv_kernel_lower_double_buffered_diagonal_genericILi32ELi4E24rocblas_internal_val_ptrIfEPKPKfPKPfEvbiT1_lT2_lllSA_lllS9_lT3_lllii,"axG",@progbits,_ZL58rocblas_symv_kernel_lower_double_buffered_diagonal_genericILi32ELi4E24rocblas_internal_val_ptrIfEPKPKfPKPfEvbiT1_lT2_lllSA_lllS9_lT3_lllii,comdat
.Lfunc_end145:
	.size	_ZL58rocblas_symv_kernel_lower_double_buffered_diagonal_genericILi32ELi4E24rocblas_internal_val_ptrIfEPKPKfPKPfEvbiT1_lT2_lllSA_lllS9_lT3_lllii, .Lfunc_end145-_ZL58rocblas_symv_kernel_lower_double_buffered_diagonal_genericILi32ELi4E24rocblas_internal_val_ptrIfEPKPKfPKPfEvbiT1_lT2_lllSA_lllS9_lT3_lllii
                                        ; -- End function
	.set _ZL58rocblas_symv_kernel_lower_double_buffered_diagonal_genericILi32ELi4E24rocblas_internal_val_ptrIfEPKPKfPKPfEvbiT1_lT2_lllSA_lllS9_lT3_lllii.num_vgpr, 32
	.set _ZL58rocblas_symv_kernel_lower_double_buffered_diagonal_genericILi32ELi4E24rocblas_internal_val_ptrIfEPKPKfPKPfEvbiT1_lT2_lllSA_lllS9_lT3_lllii.num_agpr, 0
	.set _ZL58rocblas_symv_kernel_lower_double_buffered_diagonal_genericILi32ELi4E24rocblas_internal_val_ptrIfEPKPKfPKPfEvbiT1_lT2_lllSA_lllS9_lT3_lllii.numbered_sgpr, 31
	.set _ZL58rocblas_symv_kernel_lower_double_buffered_diagonal_genericILi32ELi4E24rocblas_internal_val_ptrIfEPKPKfPKPfEvbiT1_lT2_lllSA_lllS9_lT3_lllii.num_named_barrier, 0
	.set _ZL58rocblas_symv_kernel_lower_double_buffered_diagonal_genericILi32ELi4E24rocblas_internal_val_ptrIfEPKPKfPKPfEvbiT1_lT2_lllSA_lllS9_lT3_lllii.private_seg_size, 0
	.set _ZL58rocblas_symv_kernel_lower_double_buffered_diagonal_genericILi32ELi4E24rocblas_internal_val_ptrIfEPKPKfPKPfEvbiT1_lT2_lllSA_lllS9_lT3_lllii.uses_vcc, 1
	.set _ZL58rocblas_symv_kernel_lower_double_buffered_diagonal_genericILi32ELi4E24rocblas_internal_val_ptrIfEPKPKfPKPfEvbiT1_lT2_lllSA_lllS9_lT3_lllii.uses_flat_scratch, 0
	.set _ZL58rocblas_symv_kernel_lower_double_buffered_diagonal_genericILi32ELi4E24rocblas_internal_val_ptrIfEPKPKfPKPfEvbiT1_lT2_lllSA_lllS9_lT3_lllii.has_dyn_sized_stack, 0
	.set _ZL58rocblas_symv_kernel_lower_double_buffered_diagonal_genericILi32ELi4E24rocblas_internal_val_ptrIfEPKPKfPKPfEvbiT1_lT2_lllSA_lllS9_lT3_lllii.has_recursion, 0
	.set _ZL58rocblas_symv_kernel_lower_double_buffered_diagonal_genericILi32ELi4E24rocblas_internal_val_ptrIfEPKPKfPKPfEvbiT1_lT2_lllSA_lllS9_lT3_lllii.has_indirect_call, 0
	.section	.AMDGPU.csdata,"",@progbits
; Kernel info:
; codeLenInByte = 2492
; TotalNumSgprs: 35
; NumVgprs: 32
; ScratchSize: 0
; MemoryBound: 0
; FloatMode: 240
; IeeeMode: 1
; LDSByteSize: 5248 bytes/workgroup (compile time only)
; SGPRBlocks: 12
; VGPRBlocks: 9
; NumSGPRsForWavesPerEU: 97
; NumVGPRsForWavesPerEU: 37
; Occupancy: 6
; WaveLimiterHint : 1
; COMPUTE_PGM_RSRC2:SCRATCH_EN: 0
; COMPUTE_PGM_RSRC2:USER_SGPR: 6
; COMPUTE_PGM_RSRC2:TRAP_HANDLER: 0
; COMPUTE_PGM_RSRC2:TGID_X_EN: 1
; COMPUTE_PGM_RSRC2:TGID_Y_EN: 0
; COMPUTE_PGM_RSRC2:TGID_Z_EN: 1
; COMPUTE_PGM_RSRC2:TIDIG_COMP_CNT: 1
	.section	.text._ZL62rocblas_symv_kernel_lower_double_buffered_non_diagonal_genericILi32ELi4ELi4E24rocblas_internal_val_ptrIfEPKPKfPKPfEvbiT2_lT3_lllSA_lllT4_lllii,"axG",@progbits,_ZL62rocblas_symv_kernel_lower_double_buffered_non_diagonal_genericILi32ELi4ELi4E24rocblas_internal_val_ptrIfEPKPKfPKPfEvbiT2_lT3_lllSA_lllT4_lllii,comdat
	.globl	_ZL62rocblas_symv_kernel_lower_double_buffered_non_diagonal_genericILi32ELi4ELi4E24rocblas_internal_val_ptrIfEPKPKfPKPfEvbiT2_lT3_lllSA_lllT4_lllii ; -- Begin function _ZL62rocblas_symv_kernel_lower_double_buffered_non_diagonal_genericILi32ELi4ELi4E24rocblas_internal_val_ptrIfEPKPKfPKPfEvbiT2_lT3_lllSA_lllT4_lllii
	.p2align	8
	.type	_ZL62rocblas_symv_kernel_lower_double_buffered_non_diagonal_genericILi32ELi4ELi4E24rocblas_internal_val_ptrIfEPKPKfPKPfEvbiT2_lT3_lllSA_lllT4_lllii,@function
_ZL62rocblas_symv_kernel_lower_double_buffered_non_diagonal_genericILi32ELi4ELi4E24rocblas_internal_val_ptrIfEPKPKfPKPfEvbiT2_lT3_lllSA_lllT4_lllii: ; @_ZL62rocblas_symv_kernel_lower_double_buffered_non_diagonal_genericILi32ELi4ELi4E24rocblas_internal_val_ptrIfEPKPKfPKPfEvbiT2_lT3_lllSA_lllT4_lllii
; %bb.0:
	s_load_dword s0, s[4:5], 0x0
	s_load_dwordx8 s[12:19], s[4:5], 0x8
	s_load_dwordx2 s[2:3], s[4:5], 0x28
	s_waitcnt lgkmcnt(0)
	s_bitcmp0_b32 s0, 0
	s_cbranch_scc0 .LBB146_2
; %bb.1:
	s_mul_i32 s0, s15, s8
	s_mul_hi_u32 s1, s14, s8
	s_add_i32 s1, s1, s0
	s_mul_i32 s0, s14, s8
	s_lshl_b64 s[0:1], s[0:1], 2
	s_add_u32 s0, s12, s0
	s_addc_u32 s1, s13, s1
	s_load_dword s33, s[0:1], 0x0
	s_cbranch_execz .LBB146_3
	s_branch .LBB146_4
.LBB146_2:
                                        ; implicit-def: $sgpr33
.LBB146_3:
	s_waitcnt lgkmcnt(0)
	s_mov_b32 s33, s12
.LBB146_4:
	s_waitcnt lgkmcnt(0)
	v_cmp_eq_f32_e64 s[0:1], s33, 0
	s_and_b64 vcc, exec, s[0:1]
	s_cbranch_vccnz .LBB146_42
; %bb.5:
	s_load_dwordx2 s[10:11], s[4:5], 0x80
	s_waitcnt lgkmcnt(0)
	v_cvt_f32_u32_e32 v2, s11
	s_add_i32 s22, s10, -1
	s_cmp_eq_u32 s6, s22
	v_rcp_iflag_f32_e32 v2, v2
	v_mul_f32_e32 v2, 0x4f7ffffe, v2
	v_cvt_u32_f32_e32 v2, v2
	v_readfirstlane_b32 s0, v2
	s_cbranch_scc1 .LBB146_42
; %bb.6:
	s_not_b32 s1, s6
	s_add_i32 s22, s22, s1
	s_sub_i32 s1, 0, s11
	s_mul_i32 s1, s1, s0
	s_mul_hi_u32 s1, s0, s1
	s_load_dwordx4 s[24:27], s[4:5], 0x38
	s_load_dwordx2 s[12:13], s[4:5], 0x48
	s_mov_b32 s9, 0
	s_add_i32 s23, s0, s1
	s_lshl_b64 s[0:1], s[8:9], 3
	s_add_u32 s8, s16, s0
	s_addc_u32 s9, s17, s1
	s_load_dwordx2 s[14:15], s[4:5], 0x58
	s_waitcnt lgkmcnt(0)
	s_add_u32 s16, s24, s0
	s_addc_u32 s17, s25, s1
	s_load_dwordx2 s[20:21], s[16:17], 0x0
	s_mul_hi_u32 s23, s22, s23
	s_add_u32 s16, s14, s0
	s_addc_u32 s17, s15, s1
	s_lshl_b64 s[0:1], s[26:27], 2
	s_waitcnt lgkmcnt(0)
	s_add_u32 s14, s20, s0
	s_addc_u32 s15, s21, s1
	s_lshl_b32 s26, s6, 5
	s_ashr_i32 s28, s26, 31
	s_mul_i32 s0, s12, s28
	s_mul_hi_u32 s1, s12, s26
	s_add_i32 s0, s1, s0
	s_mul_i32 s1, s13, s26
	s_add_i32 s1, s0, s1
	s_mul_i32 s0, s12, s26
	s_lshl_b64 s[0:1], s[0:1], 2
	s_add_u32 s20, s14, s0
	s_addc_u32 s21, s15, s1
	v_cmp_eq_u32_e64 s[0:1], 0, v1
	s_and_saveexec_b64 s[14:15], s[0:1]
	s_cbranch_execz .LBB146_8
; %bb.7:
	v_mad_u64_u32 v[2:3], s[24:25], s12, v0, 0
	v_mad_u64_u32 v[3:4], s[24:25], s13, v0, v[3:4]
	v_mov_b32_e32 v4, s21
	v_lshlrev_b64 v[2:3], 2, v[2:3]
	v_add_co_u32_e32 v2, vcc, s20, v2
	v_addc_co_u32_e32 v3, vcc, v4, v3, vcc
	flat_load_dword v2, v[2:3]
	v_lshlrev_b32_e32 v3, 2, v0
	s_waitcnt vmcnt(0) lgkmcnt(0)
	ds_write_b32 v3, v2 offset:3072
.LBB146_8:
	s_or_b64 exec, exec, s[14:15]
	s_mul_i32 s14, s23, s11
	s_sub_i32 s14, s22, s14
	s_add_i32 s15, s23, 1
	s_sub_i32 s24, s14, s11
	s_cmp_ge_u32 s14, s11
	s_cselect_b32 s15, s15, s23
	s_cselect_b32 s14, s24, s14
	s_add_i32 s23, s15, 1
	s_cmp_ge_u32 s14, s11
	s_cselect_b32 s23, s23, s15
	s_add_i32 s24, s11, -1
	s_cmp_eq_u32 s7, s24
	s_cselect_b64 s[14:15], -1, 0
	s_cmp_lg_u32 s7, s24
	s_mov_b32 s27, s23
	s_cbranch_scc1 .LBB146_10
; %bb.9:
	s_mul_i32 s11, s23, s11
	s_sub_i32 s11, s22, s11
	s_add_i32 s27, s11, s23
.LBB146_10:
	s_cmp_lg_u32 s7, s24
	s_cselect_b64 s[24:25], -1, 0
	s_cmp_eq_u32 s27, 0
	s_cselect_b64 s[30:31], -1, 0
	s_and_b64 s[24:25], s[24:25], s[30:31]
	s_and_b64 vcc, exec, s[24:25]
	s_cbranch_vccnz .LBB146_42
; %bb.11:
	s_load_dwordx2 s[30:31], s[8:9], 0x0
	s_load_dwordx2 s[24:25], s[16:17], 0x0
	s_mul_i32 s7, s7, s23
	s_lshl_b32 s22, s7, 5
	s_ashr_i32 s23, s22, 31
	s_lshl_b64 s[8:9], s[18:19], 2
	s_waitcnt lgkmcnt(0)
	s_add_u32 s7, s30, s8
	s_addc_u32 s11, s31, s9
	s_add_u32 s8, s2, 1
	s_addc_u32 s9, s3, 0
	s_mul_i32 s16, s8, s28
	s_mul_hi_u32 s17, s8, s26
	s_add_i32 s16, s17, s16
	s_mul_i32 s9, s9, s26
	s_add_i32 s9, s16, s9
	s_mul_i32 s8, s8, s26
	s_lshl_b64 s[8:9], s[8:9], 2
	s_add_u32 s7, s7, s8
	v_lshl_add_u32 v2, v1, 5, v0
	s_addc_u32 s11, s11, s9
	s_lshl_b64 s[8:9], s[22:23], 2
	v_lshrrev_b32_e32 v19, 4, v2
	s_add_u32 s16, s7, s8
	s_mul_i32 s7, s12, s23
	s_mul_hi_u32 s8, s12, s22
	v_and_b32_e32 v1, 15, v0
	v_lshlrev_b32_e32 v20, 2, v19
	v_mov_b32_e32 v2, 0
	s_addc_u32 s17, s11, s9
	s_add_i32 s7, s8, s7
	v_mad_u64_u32 v[3:4], s[8:9], s2, v20, v[1:2]
	s_mul_i32 s8, s13, s22
	s_add_i32 s9, s7, s8
	s_mul_i32 s8, s12, s22
	v_mad_u64_u32 v[4:5], s[18:19], s3, v20, v[4:5]
	s_lshl_b64 s[8:9], s[8:9], 2
	s_add_u32 s20, s20, s8
	s_addc_u32 s21, s21, s9
	s_lshl_b64 s[18:19], s[12:13], 5
	s_add_i32 s7, s10, -2
	s_cmp_ge_u32 s6, s7
	v_mov_b32_e32 v33, v2
	v_mov_b32_e32 v28, v2
	;; [unrolled: 1-line block ×5, first 2 shown]
	s_barrier
	s_cbranch_scc1 .LBB146_13
; %bb.12:
	v_lshlrev_b64 v[5:6], 2, v[3:4]
	s_lshl_b64 s[6:7], s[18:19], 2
	s_add_u32 s10, s20, s6
	v_mov_b32_e32 v7, s17
	v_add_co_u32_e32 v5, vcc, s16, v5
	s_addc_u32 s11, s21, s7
	v_addc_co_u32_e32 v6, vcc, v7, v6, vcc
	s_lshl_b64 s[6:7], s[2:3], 2
	v_mov_b32_e32 v8, s7
	v_add_co_u32_e32 v7, vcc, s6, v5
	v_addc_co_u32_e32 v8, vcc, v6, v8, vcc
	s_lshl_b64 s[6:7], s[2:3], 3
	v_mov_b32_e32 v12, s7
	v_mad_u64_u32 v[9:10], s[8:9], s2, 12, v[5:6]
	v_add_co_u32_e32 v11, vcc, s6, v5
	v_mad_u64_u32 v[13:14], s[6:7], s12, v1, 0
	v_mad_u64_u32 v[15:16], s[6:7], s3, 12, v[10:11]
	v_mov_b32_e32 v10, v14
	v_mad_u64_u32 v[16:17], s[6:7], s13, v1, v[10:11]
	v_addc_co_u32_e32 v12, vcc, v6, v12, vcc
	v_mov_b32_e32 v14, v16
	flat_load_dword v28, v[5:6] offset:128
	flat_load_dword v29, v[7:8] offset:128
	flat_load_dword v31, v[11:12] offset:128
	v_lshlrev_b64 v[5:6], 2, v[13:14]
	v_mov_b32_e32 v7, s11
	v_add_co_u32_e32 v5, vcc, s10, v5
	v_mov_b32_e32 v10, v15
	v_addc_co_u32_e32 v6, vcc, v7, v6, vcc
	flat_load_dword v32, v[9:10] offset:128
	flat_load_dword v33, v[5:6]
.LBB146_13:
	s_load_dwordx4 s[8:11], s[4:5], 0x60
	v_or_b32_e32 v24, 16, v1
	s_waitcnt lgkmcnt(0)
	s_lshl_b64 s[6:7], s[8:9], 2
	s_mul_i32 s8, s10, s28
	s_mul_hi_u32 s9, s10, s26
	s_add_u32 s24, s24, s6
	s_mul_i32 s28, s11, s26
	s_addc_u32 s25, s25, s7
	s_add_i32 s6, s9, s8
	s_add_i32 s7, s6, s28
	s_mul_i32 s6, s10, s26
	s_lshl_b64 s[6:7], s[6:7], 2
	s_add_u32 s36, s24, s6
	s_addc_u32 s37, s25, s7
	s_mul_i32 s6, s10, s23
	s_mul_hi_u32 s7, s10, s22
	s_add_i32 s6, s7, s6
	s_mul_i32 s7, s11, s22
	s_add_i32 s7, s6, s7
	s_mul_i32 s6, s10, s22
	s_lshl_b64 s[6:7], s[6:7], 2
	s_add_u32 s24, s36, s6
	s_addc_u32 s25, s37, s7
	s_cmp_lt_i32 s27, 1
	s_cbranch_scc1 .LBB146_22
; %bb.14:
	v_mad_u64_u32 v[5:6], s[6:7], s12, v24, 0
	v_mov_b32_e32 v10, 0x800
	v_lshl_or_b32 v11, v1, 2, v10
	v_mov_b32_e32 v2, v6
	v_mad_u64_u32 v[6:7], s[6:7], s13, v24, v[2:3]
	v_mad_u64_u32 v[7:8], s[6:7], s10, v0, 0
	v_mov_b32_e32 v2, 0xc00
	v_lshl_add_u32 v30, v20, 2, v2
	v_mov_b32_e32 v2, v8
	v_mad_u64_u32 v[8:9], s[6:7], s11, v0, v[2:3]
	v_lshlrev_b32_e32 v2, 7, v19
	s_lshl_b64 s[6:7], s[10:11], 7
	v_lshl_or_b32 v26, v0, 2, v10
	v_lshlrev_b64 v[9:10], 2, v[5:6]
	s_cmp_lg_u32 s27, 1
	v_add_u32_e32 v27, v11, v2
	s_cbranch_scc0 .LBB146_23
; %bb.15:
	v_mad_u64_u32 v[13:14], s[8:9], s12, v1, 0
	s_add_i32 s38, s27, -2
	s_lshl_b64 s[22:23], s[2:3], 2
	v_mov_b32_e32 v2, v14
	v_mad_u64_u32 v[5:6], s[8:9], s13, v1, v[2:3]
	s_lshl_b64 s[8:9], s[2:3], 3
	s_sub_u32 s39, 0, s8
	v_mov_b32_e32 v14, v5
	s_subb_u32 s8, 0, s9
	v_mov_b32_e32 v21, 0
	v_mov_b32_e32 v5, s24
	v_lshlrev_b64 v[11:12], 2, v[3:4]
	v_lshlrev_b64 v[13:14], 2, v[13:14]
	s_mov_b32 s40, 0
	v_mov_b32_e32 v6, s25
	s_lshl_b64 s[28:29], s[18:19], 2
	v_mov_b32_e32 v38, s23
	v_mov_b32_e32 v39, s8
	s_mov_b64 s[8:9], s[16:17]
	s_waitcnt vmcnt(0)
	v_mov_b32_e32 v40, v33
	s_mov_b64 s[26:27], s[20:21]
	v_mov_b32_e32 v23, 0
	v_mov_b32_e32 v22, 0
	v_mov_b32_e32 v2, v21
	v_mov_b32_e32 v41, v28
	v_mov_b32_e32 v42, v29
	v_mov_b32_e32 v43, v31
	v_mov_b32_e32 v44, v32
.LBB146_16:                             ; =>This Loop Header: Depth=1
                                        ;     Child Loop BB146_18 Depth 2
	s_add_u32 s26, s26, s28
	s_addc_u32 s27, s27, s29
	v_mov_b32_e32 v16, s27
	v_add_co_u32_e32 v15, vcc, s26, v9
	v_addc_co_u32_e32 v16, vcc, v16, v10, vcc
	flat_load_dword v45, v[15:16]
	v_mov_b32_e32 v16, s9
	v_add_co_u32_e32 v15, vcc, s8, v11
	v_addc_co_u32_e32 v16, vcc, v16, v12, vcc
	v_add_co_u32_e32 v17, vcc, s22, v15
	v_addc_co_u32_e32 v18, vcc, v16, v38, vcc
	;; [unrolled: 2-line block ×4, first 2 shown]
	flat_load_dword v49, v[15:16] offset:192
	flat_load_dword v47, v[17:18] offset:192
	;; [unrolled: 1-line block ×4, first 2 shown]
	v_add_co_u32_e32 v17, vcc, s39, v36
	v_addc_co_u32_e32 v18, vcc, v37, v39, vcc
	v_add_co_u32_e32 v50, vcc, s22, v17
	v_addc_co_u32_e32 v51, vcc, v18, v38, vcc
	s_add_u32 s30, s26, s28
	v_add_co_u32_e32 v52, vcc, s22, v50
	s_addc_u32 s31, s27, s29
	v_addc_co_u32_e32 v53, vcc, v51, v38, vcc
	v_mov_b32_e32 v25, s31
	v_add_co_u32_e32 v54, vcc, s30, v13
	v_addc_co_u32_e32 v55, vcc, v25, v14, vcc
	flat_load_dword v25, v[54:55]
	flat_load_dword v36, v[17:18] offset:256
	flat_load_dword v35, v[50:51] offset:256
	flat_load_dword v34, v[52:53] offset:256
	flat_load_dword v37, v[15:16] offset:256
	ds_read_b128 v[15:18], v30
	s_waitcnt vmcnt(0) lgkmcnt(0)
	s_barrier
	v_fma_f32 v50, v41, v15, 0
	v_fmac_f32_e32 v50, v42, v16
	v_fmac_f32_e32 v50, v43, v17
	;; [unrolled: 1-line block ×3, first 2 shown]
	v_fma_f32 v15, v49, v15, 0
	v_fmac_f32_e32 v15, v47, v16
	v_fmac_f32_e32 v15, v46, v17
	;; [unrolled: 1-line block ×3, first 2 shown]
	ds_write2_b32 v27, v50, v15 offset1:16
	s_waitcnt lgkmcnt(0)
	s_barrier
	s_and_saveexec_b64 s[30:31], s[0:1]
	s_cbranch_execz .LBB146_20
; %bb.17:                               ;   in Loop: Header=BB146_16 Depth=1
	v_mov_b32_e32 v15, s7
	v_add_co_u32_e32 v5, vcc, s6, v5
	v_addc_co_u32_e32 v6, vcc, v6, v15, vcc
	v_lshlrev_b64 v[15:16], 2, v[7:8]
	s_mov_b64 s[34:35], 0
	v_add_co_u32_e32 v15, vcc, v5, v15
	v_addc_co_u32_e32 v16, vcc, v6, v16, vcc
	flat_load_dword v18, v[15:16]
	ds_read2_b32 v[50:51], v26 offset1:32
	ds_read2_b32 v[52:53], v26 offset0:64 offset1:96
	ds_read2_b32 v[54:55], v26 offset0:128 offset1:160
	s_waitcnt lgkmcnt(0)
	v_add_f32_e32 v17, 0, v50
	v_add_f32_e32 v17, v17, v51
	ds_read2_b32 v[50:51], v26 offset0:192 offset1:224
	v_add_f32_e32 v17, v17, v52
	v_add_f32_e32 v17, v17, v53
	;; [unrolled: 1-line block ×4, first 2 shown]
	s_waitcnt lgkmcnt(0)
	v_add_f32_e32 v17, v17, v50
	v_add_f32_e32 v17, v17, v51
	v_mul_f32_e32 v50, s33, v17
.LBB146_18:                             ;   Parent Loop BB146_16 Depth=1
                                        ; =>  This Inner Loop Header: Depth=2
	s_waitcnt vmcnt(0)
	v_add_f32_e32 v17, v18, v50
	flat_atomic_cmpswap v17, v[15:16], v[17:18] glc
	s_waitcnt vmcnt(0) lgkmcnt(0)
	v_cmp_eq_u32_e32 vcc, v17, v18
	s_or_b64 s[34:35], vcc, s[34:35]
	v_mov_b32_e32 v18, v17
	s_andn2_b64 exec, exec, s[34:35]
	s_cbranch_execnz .LBB146_18
; %bb.19:                               ;   in Loop: Header=BB146_16 Depth=1
	s_or_b64 exec, exec, s[34:35]
.LBB146_20:                             ;   in Loop: Header=BB146_16 Depth=1
	s_or_b64 exec, exec, s[30:31]
	s_add_u32 s8, s8, 0x80
	v_fmac_f32_e32 v21, v40, v41
	v_fmac_f32_e32 v23, v40, v42
	;; [unrolled: 1-line block ×4, first 2 shown]
	s_addc_u32 s9, s9, 0
	s_add_i32 s30, s40, 1
	v_fmac_f32_e32 v21, v45, v49
	v_fmac_f32_e32 v23, v45, v47
	;; [unrolled: 1-line block ×4, first 2 shown]
	s_cmp_eq_u32 s40, s38
	s_cbranch_scc1 .LBB146_24
; %bb.21:                               ;   in Loop: Header=BB146_16 Depth=1
	s_mov_b32 s40, s30
	v_mov_b32_e32 v40, v25
	v_mov_b32_e32 v41, v37
	;; [unrolled: 1-line block ×5, first 2 shown]
	s_branch .LBB146_16
.LBB146_22:
	v_mov_b32_e32 v5, s24
	v_mov_b32_e32 v6, s25
	;; [unrolled: 1-line block ×6, first 2 shown]
	s_waitcnt vmcnt(0)
	v_mov_b32_e32 v25, v33
	s_and_b64 vcc, exec, s[14:15]
	s_cbranch_vccnz .LBB146_31
	s_branch .LBB146_39
.LBB146_23:
                                        ; implicit-def: $vgpr34
                                        ; implicit-def: $vgpr35
                                        ; implicit-def: $vgpr36
                                        ; implicit-def: $vgpr37
                                        ; implicit-def: $vgpr22
                                        ; implicit-def: $vgpr23
                                        ; implicit-def: $vgpr21
                                        ; implicit-def: $sgpr26_sgpr27
                                        ; implicit-def: $vgpr5_vgpr6
                                        ; implicit-def: $vgpr25
                                        ; implicit-def: $sgpr8_sgpr9
                                        ; implicit-def: $sgpr22_sgpr23
	s_cbranch_execnz .LBB146_25
	s_branch .LBB146_26
.LBB146_24:
	s_branch .LBB146_26
.LBB146_25:
	v_mov_b32_e32 v21, 0
	v_mov_b32_e32 v5, s24
	s_lshl_b64 s[22:23], s[2:3], 2
	v_mov_b32_e32 v6, s25
	s_mov_b64 s[8:9], s[16:17]
	s_waitcnt vmcnt(0)
	v_mov_b32_e32 v25, v33
	s_mov_b64 s[26:27], s[20:21]
	v_mov_b32_e32 v23, 0
	v_mov_b32_e32 v22, 0
	;; [unrolled: 1-line block ×7, first 2 shown]
.LBB146_26:
	v_lshlrev_b64 v[11:12], 2, v[3:4]
	v_mov_b32_e32 v13, s9
	v_add_co_u32_e32 v16, vcc, s8, v11
	v_addc_co_u32_e32 v17, vcc, v13, v12, vcc
	s_waitcnt vmcnt(0)
	v_mad_u64_u32 v[28:29], s[16:17], s2, 12, v[16:17]
	v_fmac_f32_e32 v2, v25, v34
	v_fmac_f32_e32 v22, v25, v35
	v_mov_b32_e32 v11, v29
	v_mad_u64_u32 v[11:12], s[16:17], s3, 12, v[11:12]
	s_lshl_b64 s[16:17], s[18:19], 2
	s_add_u32 s20, s26, s16
	s_addc_u32 s21, s27, s17
	s_sub_u32 s16, 0, s22
	s_subb_u32 s17, 0, s23
	v_mov_b32_e32 v12, s17
	v_add_co_u32_e32 v31, vcc, s16, v28
	v_addc_co_u32_e32 v32, vcc, v11, v12, vcc
	v_mov_b32_e32 v29, v11
	v_mov_b32_e32 v11, s17
	v_add_co_u32_e32 v38, vcc, s16, v31
	v_addc_co_u32_e32 v39, vcc, v32, v11, vcc
	flat_load_dword v14, v[38:39] offset:192
	flat_load_dword v15, v[16:17] offset:192
	;; [unrolled: 1-line block ×4, first 2 shown]
	v_mov_b32_e32 v11, s21
	v_add_co_u32_e32 v9, vcc, s20, v9
	v_addc_co_u32_e32 v10, vcc, v11, v10, vcc
	flat_load_dword v11, v[9:10]
	ds_read_b128 v[28:31], v30
	s_add_u32 s16, s8, 0x80
	v_fmac_f32_e32 v23, v25, v36
	v_fmac_f32_e32 v21, v25, v37
	s_mov_b64 s[22:23], 0
	s_waitcnt lgkmcnt(0)
	v_fma_f32 v9, v37, v28, 0
	v_fmac_f32_e32 v9, v36, v29
	v_fmac_f32_e32 v9, v35, v30
	s_addc_u32 s17, s9, 0
	v_fmac_f32_e32 v9, v34, v31
	s_waitcnt vmcnt(0)
	s_barrier
	v_fma_f32 v10, v15, v28, 0
	v_fmac_f32_e32 v10, v14, v29
	v_fmac_f32_e32 v10, v13, v30
	;; [unrolled: 1-line block ×3, first 2 shown]
	ds_write2_b32 v27, v9, v10 offset1:16
	s_waitcnt lgkmcnt(0)
	s_barrier
	s_and_saveexec_b64 s[8:9], s[0:1]
	s_cbranch_execz .LBB146_30
; %bb.27:
	v_mov_b32_e32 v9, s7
	v_add_co_u32_e32 v5, vcc, s6, v5
	v_lshlrev_b64 v[7:8], 2, v[7:8]
	v_addc_co_u32_e32 v6, vcc, v6, v9, vcc
	v_add_co_u32_e32 v7, vcc, v5, v7
	v_addc_co_u32_e32 v8, vcc, v6, v8, vcc
	flat_load_dword v10, v[7:8]
	ds_read2_b32 v[16:17], v26 offset1:32
	ds_read2_b32 v[27:28], v26 offset0:64 offset1:96
	ds_read2_b32 v[29:30], v26 offset0:128 offset1:160
	s_waitcnt lgkmcnt(0)
	v_add_f32_e32 v9, 0, v16
	v_add_f32_e32 v9, v9, v17
	ds_read2_b32 v[16:17], v26 offset0:192 offset1:224
	v_add_f32_e32 v9, v9, v27
	v_add_f32_e32 v9, v9, v28
	;; [unrolled: 1-line block ×4, first 2 shown]
	s_waitcnt lgkmcnt(0)
	v_add_f32_e32 v9, v9, v16
	v_add_f32_e32 v9, v9, v17
	v_mul_f32_e32 v16, s33, v9
.LBB146_28:                             ; =>This Inner Loop Header: Depth=1
	s_waitcnt vmcnt(0)
	v_add_f32_e32 v9, v10, v16
	flat_atomic_cmpswap v9, v[7:8], v[9:10] glc
	s_waitcnt vmcnt(0) lgkmcnt(0)
	v_cmp_eq_u32_e32 vcc, v9, v10
	s_or_b64 s[22:23], vcc, s[22:23]
	v_mov_b32_e32 v10, v9
	s_andn2_b64 exec, exec, s[22:23]
	s_cbranch_execnz .LBB146_28
; %bb.29:
	s_or_b64 exec, exec, s[22:23]
.LBB146_30:
	s_or_b64 exec, exec, s[8:9]
	v_fmac_f32_e32 v21, v11, v15
	v_fmac_f32_e32 v23, v11, v14
	;; [unrolled: 1-line block ×4, first 2 shown]
	s_and_b64 vcc, exec, s[14:15]
	s_cbranch_vccz .LBB146_39
.LBB146_31:
	s_load_dword s6, s[4:5], 0x78
	s_lshl_b64 s[4:5], s[18:19], 2
	s_add_u32 s7, s20, s4
	v_mov_b32_e32 v7, 0
	s_addc_u32 s8, s21, s5
	s_waitcnt lgkmcnt(0)
	v_cmp_gt_i32_e32 vcc, s6, v1
	v_mov_b32_e32 v12, 0
	v_mov_b32_e32 v13, 0
	;; [unrolled: 1-line block ×4, first 2 shown]
	s_and_saveexec_b64 s[4:5], vcc
	s_cbranch_execz .LBB146_33
; %bb.32:
	v_lshlrev_b64 v[8:9], 2, v[3:4]
	v_mov_b32_e32 v10, s17
	v_add_co_u32_e32 v8, vcc, s16, v8
	v_addc_co_u32_e32 v9, vcc, v10, v9, vcc
	s_lshl_b64 s[14:15], s[2:3], 2
	v_mov_b32_e32 v10, s15
	v_add_co_u32_e32 v15, vcc, s14, v8
	v_addc_co_u32_e32 v16, vcc, v9, v10, vcc
	s_lshl_b64 s[14:15], s[2:3], 3
	v_mad_u64_u32 v[17:18], s[18:19], s2, 12, v[8:9]
	v_mov_b32_e32 v10, s15
	v_add_co_u32_e32 v25, vcc, s14, v8
	v_mad_u64_u32 v[27:28], s[14:15], s12, v1, 0
	v_addc_co_u32_e32 v26, vcc, v9, v10, vcc
	v_mov_b32_e32 v10, v18
	v_mad_u64_u32 v[29:30], s[14:15], s3, 12, v[10:11]
	v_mov_b32_e32 v10, v28
	v_mad_u64_u32 v[30:31], s[14:15], s13, v1, v[10:11]
	flat_load_dword v12, v[8:9] offset:128
	flat_load_dword v13, v[15:16] offset:128
	;; [unrolled: 1-line block ×3, first 2 shown]
	v_mov_b32_e32 v10, s8
	v_mov_b32_e32 v28, v30
	v_lshlrev_b64 v[8:9], 2, v[27:28]
	v_mov_b32_e32 v18, v29
	v_add_co_u32_e32 v8, vcc, s7, v8
	v_addc_co_u32_e32 v9, vcc, v10, v9, vcc
	flat_load_dword v15, v[17:18] offset:128
	flat_load_dword v25, v[8:9]
.LBB146_33:
	s_or_b64 exec, exec, s[4:5]
	v_cmp_gt_i32_e32 vcc, s6, v24
	v_mov_b32_e32 v8, 0
	v_mov_b32_e32 v9, 0
	;; [unrolled: 1-line block ×3, first 2 shown]
	s_and_saveexec_b64 s[4:5], vcc
	s_cbranch_execz .LBB146_35
; %bb.34:
	v_lshlrev_b64 v[3:4], 2, v[3:4]
	v_mov_b32_e32 v7, s17
	v_add_co_u32_e32 v3, vcc, s16, v3
	v_addc_co_u32_e32 v4, vcc, v7, v4, vcc
	s_lshl_b64 s[14:15], s[2:3], 2
	v_mov_b32_e32 v7, s15
	v_add_co_u32_e32 v10, vcc, s14, v3
	v_addc_co_u32_e32 v11, vcc, v4, v7, vcc
	s_lshl_b64 s[14:15], s[2:3], 3
	v_mad_u64_u32 v[16:17], s[16:17], s2, 12, v[3:4]
	v_mov_b32_e32 v7, s15
	v_add_co_u32_e32 v26, vcc, s14, v3
	v_mad_u64_u32 v[28:29], s[14:15], s12, v24, 0
	v_addc_co_u32_e32 v27, vcc, v4, v7, vcc
	v_mov_b32_e32 v7, v17
	v_mad_u64_u32 v[17:18], s[2:3], s3, 12, v[7:8]
	v_mov_b32_e32 v7, v29
	v_mad_u64_u32 v[29:30], s[2:3], s13, v24, v[7:8]
	flat_load_dword v7, v[3:4] offset:192
	flat_load_dword v8, v[10:11] offset:192
	;; [unrolled: 1-line block ×3, first 2 shown]
                                        ; kill: killed $vgpr26 killed $vgpr27
                                        ; kill: killed $vgpr10 killed $vgpr11
                                        ; kill: killed $vgpr3 killed $vgpr4
	s_nop 0
	flat_load_dword v10, v[16:17] offset:192
	v_mov_b32_e32 v11, s8
	v_lshlrev_b64 v[3:4], 2, v[28:29]
	v_add_co_u32_e32 v3, vcc, s7, v3
	v_addc_co_u32_e32 v4, vcc, v11, v4, vcc
	flat_load_dword v11, v[3:4]
.LBB146_35:
	s_or_b64 exec, exec, s[4:5]
	v_lshlrev_b32_e32 v3, 2, v20
	ds_read_b128 v[26:29], v3 offset:3072
	s_waitcnt vmcnt(0) lgkmcnt(0)
	v_fmac_f32_e32 v21, v25, v12
	v_cmp_gt_i32_e32 vcc, s6, v0
	v_fmac_f32_e32 v23, v25, v13
	v_fmac_f32_e32 v22, v25, v14
	v_fma_f32 v3, v7, v26, 0
	v_fma_f32 v4, v12, v26, 0
	v_fmac_f32_e32 v3, v8, v27
	v_fmac_f32_e32 v4, v13, v27
	v_lshlrev_b32_e32 v12, 2, v1
	v_fmac_f32_e32 v3, v9, v28
	v_fmac_f32_e32 v4, v14, v28
	v_lshl_or_b32 v12, v19, 7, v12
	v_fmac_f32_e32 v2, v25, v15
	v_fmac_f32_e32 v3, v10, v29
	;; [unrolled: 1-line block ×3, first 2 shown]
	v_add_u32_e32 v12, 0x800, v12
	s_and_b64 s[4:5], s[0:1], vcc
	s_barrier
	ds_write2_b32 v12, v4, v3 offset1:16
	s_waitcnt lgkmcnt(0)
	s_barrier
	s_and_saveexec_b64 s[2:3], s[4:5]
	s_cbranch_execz .LBB146_38
; %bb.36:
	v_mad_u64_u32 v[3:4], s[4:5], s10, v0, 0
	s_lshl_b64 s[4:5], s[10:11], 7
	v_mov_b32_e32 v14, s5
	v_mad_u64_u32 v[12:13], s[6:7], s11, v0, v[4:5]
	v_add_co_u32_e32 v5, vcc, s4, v5
	v_mov_b32_e32 v4, v12
	v_lshlrev_b64 v[3:4], 2, v[3:4]
	v_addc_co_u32_e32 v6, vcc, v6, v14, vcc
	v_add_co_u32_e32 v3, vcc, v5, v3
	v_addc_co_u32_e32 v4, vcc, v6, v4, vcc
	flat_load_dword v6, v[3:4]
	v_lshlrev_b32_e32 v5, 2, v0
	v_add_u32_e32 v5, 0x800, v5
	ds_read2_b32 v[12:13], v5 offset1:32
	ds_read2_b32 v[14:15], v5 offset0:64 offset1:96
	ds_read2_b32 v[16:17], v5 offset0:128 offset1:160
	s_mov_b64 s[4:5], 0
	s_waitcnt lgkmcnt(0)
	v_add_f32_e32 v12, 0, v12
	v_add_f32_e32 v18, v12, v13
	ds_read2_b32 v[12:13], v5 offset0:192 offset1:224
	v_add_f32_e32 v5, v18, v14
	v_add_f32_e32 v5, v5, v15
	;; [unrolled: 1-line block ×4, first 2 shown]
	s_waitcnt lgkmcnt(0)
	v_add_f32_e32 v5, v5, v12
	v_add_f32_e32 v5, v5, v13
	v_mul_f32_e32 v12, s33, v5
.LBB146_37:                             ; =>This Inner Loop Header: Depth=1
	s_waitcnt vmcnt(0)
	v_add_f32_e32 v5, v6, v12
	flat_atomic_cmpswap v5, v[3:4], v[5:6] glc
	s_waitcnt vmcnt(0) lgkmcnt(0)
	v_cmp_eq_u32_e32 vcc, v5, v6
	s_or_b64 s[4:5], vcc, s[4:5]
	v_mov_b32_e32 v6, v5
	s_andn2_b64 exec, exec, s[4:5]
	s_cbranch_execnz .LBB146_37
.LBB146_38:
	s_or_b64 exec, exec, s[2:3]
	v_fmac_f32_e32 v21, v11, v7
	v_fmac_f32_e32 v23, v11, v8
	;; [unrolled: 1-line block ×4, first 2 shown]
.LBB146_39:
	v_lshlrev_b32_e32 v3, 8, v19
	v_lshl_or_b32 v3, v1, 2, v3
	ds_write2_b32 v3, v21, v23 offset1:16
	ds_write2_b32 v3, v22, v2 offset0:32 offset1:48
	s_waitcnt lgkmcnt(0)
	s_barrier
	s_and_saveexec_b64 s[2:3], s[0:1]
	s_cbranch_execz .LBB146_42
; %bb.40:
	v_mad_u64_u32 v[2:3], s[0:1], s10, v0, 0
	v_mov_b32_e32 v5, s37
	v_add_u32_e32 v7, 1, v0
	v_mad_u64_u32 v[3:4], s[0:1], s11, v0, v[3:4]
	v_add_u32_e32 v8, 2, v0
	v_add_u32_e32 v9, 3, v0
	v_lshlrev_b64 v[2:3], 2, v[2:3]
	v_add_u32_e32 v10, 4, v0
	v_add_co_u32_e32 v2, vcc, s36, v2
	v_addc_co_u32_e32 v3, vcc, v5, v3, vcc
	flat_load_dword v5, v[2:3]
	v_add_u32_e32 v11, 5, v0
	v_add_u32_e32 v12, 6, v0
	;; [unrolled: 1-line block ×3, first 2 shown]
	v_lshlrev_b32_e32 v4, 6, v0
	v_and_b32_e32 v7, 15, v7
	v_and_b32_e32 v8, 15, v8
	v_and_b32_e32 v9, 15, v9
	v_and_b32_e32 v10, 15, v10
	v_and_b32_e32 v11, 15, v11
	v_and_b32_e32 v12, 15, v12
	v_and_b32_e32 v13, 15, v13
	v_lshl_or_b32 v6, v1, 2, v4
	v_lshl_or_b32 v7, v7, 2, v4
	;; [unrolled: 1-line block ×8, first 2 shown]
	ds_read_b32 v6, v6
	ds_read_b32 v7, v7
	;; [unrolled: 1-line block ×8, first 2 shown]
	s_waitcnt lgkmcnt(0)
	v_add_f32_e32 v6, 0, v6
	v_add_f32_e32 v6, v6, v7
	;; [unrolled: 1-line block ×7, first 2 shown]
	v_add_u32_e32 v7, 9, v0
	v_add_u32_e32 v8, 10, v0
	;; [unrolled: 1-line block ×6, first 2 shown]
	v_add_u32_e32 v0, -1, v0
	v_xor_b32_e32 v1, 8, v1
	v_and_b32_e32 v7, 15, v7
	v_and_b32_e32 v8, 15, v8
	;; [unrolled: 1-line block ×6, first 2 shown]
	v_lshl_or_b32 v1, v1, 2, v4
	v_lshl_or_b32 v7, v7, 2, v4
	;; [unrolled: 1-line block ×6, first 2 shown]
	v_and_b32_e32 v12, 15, v12
	v_lshl_or_b32 v0, v0, 2, v4
	v_add_f32_e32 v6, v6, v13
	v_lshl_or_b32 v12, v12, 2, v4
	ds_read_b32 v1, v1
	ds_read_b32 v4, v7
	;; [unrolled: 1-line block ×8, first 2 shown]
	s_waitcnt lgkmcnt(0)
	v_add_f32_e32 v1, v6, v1
	v_add_f32_e32 v1, v1, v4
	;; [unrolled: 1-line block ×8, first 2 shown]
	v_mul_f32_e32 v0, s33, v0
	s_mov_b64 s[0:1], 0
.LBB146_41:                             ; =>This Inner Loop Header: Depth=1
	s_waitcnt vmcnt(0)
	v_add_f32_e32 v4, v5, v0
	flat_atomic_cmpswap v1, v[2:3], v[4:5] glc
	s_waitcnt vmcnt(0) lgkmcnt(0)
	v_cmp_eq_u32_e32 vcc, v1, v5
	s_or_b64 s[0:1], vcc, s[0:1]
	v_mov_b32_e32 v5, v1
	s_andn2_b64 exec, exec, s[0:1]
	s_cbranch_execnz .LBB146_41
.LBB146_42:
	s_endpgm
	.section	.rodata,"a",@progbits
	.p2align	6, 0x0
	.amdhsa_kernel _ZL62rocblas_symv_kernel_lower_double_buffered_non_diagonal_genericILi32ELi4ELi4E24rocblas_internal_val_ptrIfEPKPKfPKPfEvbiT2_lT3_lllSA_lllT4_lllii
		.amdhsa_group_segment_fixed_size 3200
		.amdhsa_private_segment_fixed_size 0
		.amdhsa_kernarg_size 384
		.amdhsa_user_sgpr_count 6
		.amdhsa_user_sgpr_private_segment_buffer 1
		.amdhsa_user_sgpr_dispatch_ptr 0
		.amdhsa_user_sgpr_queue_ptr 0
		.amdhsa_user_sgpr_kernarg_segment_ptr 1
		.amdhsa_user_sgpr_dispatch_id 0
		.amdhsa_user_sgpr_flat_scratch_init 0
		.amdhsa_user_sgpr_private_segment_size 0
		.amdhsa_uses_dynamic_stack 0
		.amdhsa_system_sgpr_private_segment_wavefront_offset 0
		.amdhsa_system_sgpr_workgroup_id_x 1
		.amdhsa_system_sgpr_workgroup_id_y 1
		.amdhsa_system_sgpr_workgroup_id_z 1
		.amdhsa_system_sgpr_workgroup_info 0
		.amdhsa_system_vgpr_workitem_id 1
		.amdhsa_next_free_vgpr 56
		.amdhsa_next_free_sgpr 61
		.amdhsa_reserve_vcc 1
		.amdhsa_reserve_flat_scratch 0
		.amdhsa_float_round_mode_32 0
		.amdhsa_float_round_mode_16_64 0
		.amdhsa_float_denorm_mode_32 3
		.amdhsa_float_denorm_mode_16_64 3
		.amdhsa_dx10_clamp 1
		.amdhsa_ieee_mode 1
		.amdhsa_fp16_overflow 0
		.amdhsa_exception_fp_ieee_invalid_op 0
		.amdhsa_exception_fp_denorm_src 0
		.amdhsa_exception_fp_ieee_div_zero 0
		.amdhsa_exception_fp_ieee_overflow 0
		.amdhsa_exception_fp_ieee_underflow 0
		.amdhsa_exception_fp_ieee_inexact 0
		.amdhsa_exception_int_div_zero 0
	.end_amdhsa_kernel
	.section	.text._ZL62rocblas_symv_kernel_lower_double_buffered_non_diagonal_genericILi32ELi4ELi4E24rocblas_internal_val_ptrIfEPKPKfPKPfEvbiT2_lT3_lllSA_lllT4_lllii,"axG",@progbits,_ZL62rocblas_symv_kernel_lower_double_buffered_non_diagonal_genericILi32ELi4ELi4E24rocblas_internal_val_ptrIfEPKPKfPKPfEvbiT2_lT3_lllSA_lllT4_lllii,comdat
.Lfunc_end146:
	.size	_ZL62rocblas_symv_kernel_lower_double_buffered_non_diagonal_genericILi32ELi4ELi4E24rocblas_internal_val_ptrIfEPKPKfPKPfEvbiT2_lT3_lllSA_lllT4_lllii, .Lfunc_end146-_ZL62rocblas_symv_kernel_lower_double_buffered_non_diagonal_genericILi32ELi4ELi4E24rocblas_internal_val_ptrIfEPKPKfPKPfEvbiT2_lT3_lllSA_lllT4_lllii
                                        ; -- End function
	.set _ZL62rocblas_symv_kernel_lower_double_buffered_non_diagonal_genericILi32ELi4ELi4E24rocblas_internal_val_ptrIfEPKPKfPKPfEvbiT2_lT3_lllSA_lllT4_lllii.num_vgpr, 56
	.set _ZL62rocblas_symv_kernel_lower_double_buffered_non_diagonal_genericILi32ELi4ELi4E24rocblas_internal_val_ptrIfEPKPKfPKPfEvbiT2_lT3_lllSA_lllT4_lllii.num_agpr, 0
	.set _ZL62rocblas_symv_kernel_lower_double_buffered_non_diagonal_genericILi32ELi4ELi4E24rocblas_internal_val_ptrIfEPKPKfPKPfEvbiT2_lT3_lllSA_lllT4_lllii.numbered_sgpr, 41
	.set _ZL62rocblas_symv_kernel_lower_double_buffered_non_diagonal_genericILi32ELi4ELi4E24rocblas_internal_val_ptrIfEPKPKfPKPfEvbiT2_lT3_lllSA_lllT4_lllii.num_named_barrier, 0
	.set _ZL62rocblas_symv_kernel_lower_double_buffered_non_diagonal_genericILi32ELi4ELi4E24rocblas_internal_val_ptrIfEPKPKfPKPfEvbiT2_lT3_lllSA_lllT4_lllii.private_seg_size, 0
	.set _ZL62rocblas_symv_kernel_lower_double_buffered_non_diagonal_genericILi32ELi4ELi4E24rocblas_internal_val_ptrIfEPKPKfPKPfEvbiT2_lT3_lllSA_lllT4_lllii.uses_vcc, 1
	.set _ZL62rocblas_symv_kernel_lower_double_buffered_non_diagonal_genericILi32ELi4ELi4E24rocblas_internal_val_ptrIfEPKPKfPKPfEvbiT2_lT3_lllSA_lllT4_lllii.uses_flat_scratch, 0
	.set _ZL62rocblas_symv_kernel_lower_double_buffered_non_diagonal_genericILi32ELi4ELi4E24rocblas_internal_val_ptrIfEPKPKfPKPfEvbiT2_lT3_lllSA_lllT4_lllii.has_dyn_sized_stack, 0
	.set _ZL62rocblas_symv_kernel_lower_double_buffered_non_diagonal_genericILi32ELi4ELi4E24rocblas_internal_val_ptrIfEPKPKfPKPfEvbiT2_lT3_lllSA_lllT4_lllii.has_recursion, 0
	.set _ZL62rocblas_symv_kernel_lower_double_buffered_non_diagonal_genericILi32ELi4ELi4E24rocblas_internal_val_ptrIfEPKPKfPKPfEvbiT2_lT3_lllSA_lllT4_lllii.has_indirect_call, 0
	.section	.AMDGPU.csdata,"",@progbits
; Kernel info:
; codeLenInByte = 3628
; TotalNumSgprs: 45
; NumVgprs: 56
; ScratchSize: 0
; MemoryBound: 0
; FloatMode: 240
; IeeeMode: 1
; LDSByteSize: 3200 bytes/workgroup (compile time only)
; SGPRBlocks: 8
; VGPRBlocks: 13
; NumSGPRsForWavesPerEU: 65
; NumVGPRsForWavesPerEU: 56
; Occupancy: 4
; WaveLimiterHint : 1
; COMPUTE_PGM_RSRC2:SCRATCH_EN: 0
; COMPUTE_PGM_RSRC2:USER_SGPR: 6
; COMPUTE_PGM_RSRC2:TRAP_HANDLER: 0
; COMPUTE_PGM_RSRC2:TGID_X_EN: 1
; COMPUTE_PGM_RSRC2:TGID_Y_EN: 1
; COMPUTE_PGM_RSRC2:TGID_Z_EN: 1
; COMPUTE_PGM_RSRC2:TIDIG_COMP_CNT: 1
	.section	.text._ZL26rocblas_hemvn_kernel_lowerILb0ELi64ELi4ELi33ELi32ELi16ElPKfPKS1_PfEviT6_lT7_lT5_lS6_lS7_lS5_lT8_i,"axG",@progbits,_ZL26rocblas_hemvn_kernel_lowerILb0ELi64ELi4ELi33ELi32ELi16ElPKfPKS1_PfEviT6_lT7_lT5_lS6_lS7_lS5_lT8_i,comdat
	.globl	_ZL26rocblas_hemvn_kernel_lowerILb0ELi64ELi4ELi33ELi32ELi16ElPKfPKS1_PfEviT6_lT7_lT5_lS6_lS7_lS5_lT8_i ; -- Begin function _ZL26rocblas_hemvn_kernel_lowerILb0ELi64ELi4ELi33ELi32ELi16ElPKfPKS1_PfEviT6_lT7_lT5_lS6_lS7_lS5_lT8_i
	.p2align	8
	.type	_ZL26rocblas_hemvn_kernel_lowerILb0ELi64ELi4ELi33ELi32ELi16ElPKfPKS1_PfEviT6_lT7_lT5_lS6_lS7_lS5_lT8_i,@function
_ZL26rocblas_hemvn_kernel_lowerILb0ELi64ELi4ELi33ELi32ELi16ElPKfPKS1_PfEviT6_lT7_lT5_lS6_lS7_lS5_lT8_i: ; @_ZL26rocblas_hemvn_kernel_lowerILb0ELi64ELi4ELi33ELi32ELi16ElPKfPKS1_PfEviT6_lT7_lT5_lS6_lS7_lS5_lT8_i
; %bb.0:
	s_load_dwordx2 s[2:3], s[4:5], 0x84
	s_add_u32 s0, s4, 0x78
	s_mov_b32 s26, s7
	s_addc_u32 s1, s5, 0
	s_waitcnt lgkmcnt(0)
	s_lshr_b32 s7, s2, 16
	s_and_b32 s2, s2, 0xffff
	s_and_b32 s3, s3, 0xffff
	s_mul_i32 s2, s7, s2
	s_mul_i32 s2, s2, s3
	s_cmpk_lg_i32 s2, 0x100
	s_cbranch_scc1 .LBB147_4
; %bb.1:
	s_load_dwordx8 s[8:15], s[4:5], 0x8
	s_load_dwordx4 s[16:19], s[4:5], 0x58
	s_waitcnt lgkmcnt(0)
	s_mul_i32 s3, s11, s26
	s_mul_hi_u32 s7, s10, s26
	s_mul_i32 s2, s10, s26
	s_add_i32 s3, s7, s3
	s_lshl_b64 s[2:3], s[2:3], 2
	s_add_u32 s2, s8, s2
	s_addc_u32 s3, s9, s3
	s_mul_i32 s10, s19, s26
	s_load_dword s7, s[2:3], 0x0
	s_mul_hi_u32 s2, s18, s26
	s_add_i32 s3, s2, s10
	s_mul_i32 s2, s18, s26
	s_lshl_b64 s[2:3], s[2:3], 2
	s_add_u32 s2, s16, s2
	s_addc_u32 s3, s17, s3
	s_load_dword s8, s[2:3], 0x0
	s_waitcnt lgkmcnt(0)
	v_cmp_eq_f32_e64 s[2:3], s7, 0
	v_cmp_eq_f32_e64 s[8:9], s8, 1.0
	s_and_b64 s[8:9], s[2:3], s[8:9]
	s_and_b64 vcc, exec, s[8:9]
	s_cbranch_vccnz .LBB147_4
; %bb.2:
	s_and_b64 vcc, exec, s[2:3]
	s_cbranch_vccz .LBB147_5
; %bb.3:
	s_cbranch_execz .LBB147_6
.LBB147_4:
	s_endpgm
.LBB147_5:
.LBB147_6:
	s_mov_b32 s27, 0
	s_load_dword s7, s[0:1], 0x0
	s_load_dwordx4 s[8:11], s[4:5], 0x38
	s_load_dwordx2 s[20:21], s[4:5], 0x48
	s_lshl_b64 s[0:1], s[26:27], 3
	s_add_u32 s2, s12, s0
	s_addc_u32 s3, s13, s1
	s_waitcnt lgkmcnt(0)
	s_add_u32 s0, s8, s0
	s_addc_u32 s1, s9, s1
	s_load_dwordx2 s[12:13], s[0:1], 0x0
	s_load_dwordx2 s[24:25], s[4:5], 0x28
	s_load_dword s27, s[4:5], 0x0
	s_load_dwordx2 s[8:9], s[2:3], 0x0
	s_lshl_b64 s[0:1], s[10:11], 2
	s_waitcnt lgkmcnt(0)
	s_add_u32 s2, s12, s0
	s_addc_u32 s3, s13, s1
	s_lshl_b32 s34, s6, 6
	s_ashr_i32 s33, s27, 31
	s_lshr_b32 s0, s33, 26
	v_add_u32_e32 v18, s34, v0
	s_add_i32 s0, s27, s0
	v_ashrrev_i32_e32 v19, 31, v18
	s_load_dwordx2 s[30:31], s[4:5], 0x68
	s_and_b32 s5, s0, 0xffffffc0
	v_mul_lo_u32 v4, s20, v19
	v_mul_lo_u32 v5, s21, v18
	v_mad_u64_u32 v[2:3], s[0:1], s20, v18, 0
	s_add_i32 s4, s7, -1
	s_sub_i32 s0, s27, s5
	v_add3_u32 v3, v3, v4, v5
	v_lshlrev_b64 v[2:3], 2, v[2:3]
	s_cmp_eq_u32 s6, s4
	v_mov_b32_e32 v4, s3
	v_add_co_u32_e32 v6, vcc, s2, v2
	s_cselect_b32 s28, s0, 0
	v_addc_co_u32_e32 v7, vcc, v4, v3, vcc
	v_cmp_ne_u32_e64 s[0:1], 0, v1
	v_cmp_eq_u32_e64 s[2:3], 0, v1
	s_and_saveexec_b64 s[4:5], s[2:3]
	s_cbranch_execz .LBB147_10
; %bb.7:
	s_cmp_eq_u32 s28, 0
	s_cselect_b64 s[10:11], -1, 0
	v_cmp_gt_i32_e32 vcc, s28, v0
	s_or_b64 s[12:13], s[10:11], vcc
	v_mov_b32_e32 v2, 0
	s_and_saveexec_b64 s[10:11], s[12:13]
	s_cbranch_execz .LBB147_9
; %bb.8:
	flat_load_dword v2, v[6:7]
.LBB147_9:
	s_or_b64 exec, exec, s[10:11]
	v_lshlrev_b32_e32 v3, 2, v0
	s_waitcnt vmcnt(0) lgkmcnt(0)
	ds_write_b32 v3, v2 offset:4544
.LBB147_10:
	s_or_b64 exec, exec, s[4:5]
	v_lshl_add_u32 v16, v1, 6, v0
	v_and_b32_e32 v2, 31, v0
	v_lshrrev_b32_e32 v5, 5, v16
	v_mov_b32_e32 v3, 0
	v_mad_u64_u32 v[3:4], s[10:11], s24, v5, v[2:3]
	s_lshl_b64 s[4:5], s[14:15], 2
	s_add_u32 s8, s8, s4
	s_addc_u32 s9, s9, s5
	v_mad_u64_u32 v[8:9], s[4:5], s25, v5, v[4:5]
	s_ashr_i32 s35, s34, 31
	s_lshl_b64 s[4:5], s[34:35], 2
	v_mov_b32_e32 v4, v8
	s_add_u32 s4, s8, s4
	v_lshlrev_b64 v[8:9], 2, v[3:4]
	s_addc_u32 s5, s9, s5
	v_mov_b32_e32 v3, s5
	v_add_co_u32_e32 v4, vcc, s4, v8
	s_mul_hi_u32 s4, s24, s34
	s_mul_i32 s5, s24, s35
	s_add_i32 s4, s4, s5
	s_mul_i32 s5, s25, s34
	s_add_i32 s5, s4, s5
	s_mul_i32 s4, s24, s34
	v_addc_co_u32_e32 v10, vcc, v3, v9, vcc
	s_lshl_b64 s[36:37], s[4:5], 2
	v_mov_b32_e32 v11, s37
	v_add_co_u32_e32 v3, vcc, s36, v4
	s_cmp_lg_u32 s28, 0
	v_addc_co_u32_e32 v4, vcc, v10, v11, vcc
	s_cselect_b64 s[38:39], -1, 0
	s_cmp_eq_u32 s28, 0
	s_cselect_b64 s[16:17], -1, 0
	s_mov_b64 s[4:5], -1
	s_and_b64 vcc, exec, s[38:39]
	s_cbranch_vccnz .LBB147_12
; %bb.11:
	s_lshl_b64 s[4:5], s[24:25], 5
	v_mov_b32_e32 v15, s5
	v_add_co_u32_e32 v10, vcc, s4, v3
	v_addc_co_u32_e32 v11, vcc, v4, v15, vcc
	v_add_co_u32_e32 v12, vcc, s4, v10
	v_addc_co_u32_e32 v13, vcc, v11, v15, vcc
	;; [unrolled: 2-line block ×3, first 2 shown]
	flat_load_dword v17, v[3:4]
	flat_load_dword v20, v[10:11]
	;; [unrolled: 1-line block ×4, first 2 shown]
	v_mul_u32_u24_e32 v10, 0x84, v5
	v_lshl_add_u32 v10, v2, 2, v10
	s_mov_b64 s[4:5], 0
	s_waitcnt vmcnt(0) lgkmcnt(0)
	ds_write_b32 v10, v17
	ds_write_b32 v10, v20 offset:1056
	ds_write_b32 v10, v21 offset:2112
	;; [unrolled: 1-line block ×3, first 2 shown]
.LBB147_12:
	s_andn2_b64 vcc, exec, s[4:5]
	s_cbranch_vccnz .LBB147_22
; %bb.13:
	v_lshlrev_b32_e32 v12, 2, v2
	v_sub_co_u32_e32 v10, vcc, v3, v12
	s_ashr_i32 s29, s28, 31
	v_subbrev_co_u32_e32 v11, vcc, 0, v4, vcc
	s_lshl_b64 s[8:9], s[28:29], 2
	v_mov_b32_e32 v14, s9
	v_add_co_u32_e32 v10, vcc, s8, v10
	v_addc_co_u32_e32 v11, vcc, v11, v14, vcc
	v_add_co_u32_e32 v10, vcc, -4, v10
	v_addc_co_u32_e32 v11, vcc, -1, v11, vcc
	v_cmp_gt_i32_e32 vcc, s28, v2
	v_mov_b32_e32 v13, 0
	v_cndmask_b32_e32 v11, v11, v4, vcc
	v_cndmask_b32_e32 v10, v10, v3, vcc
	v_cmp_gt_i32_e64 s[4:5], s28, v5
	v_mov_b32_e32 v17, 0
	s_and_saveexec_b64 s[10:11], s[4:5]
	s_cbranch_execz .LBB147_15
; %bb.14:
	flat_load_dword v17, v[10:11]
.LBB147_15:
	s_or_b64 exec, exec, s[10:11]
	v_lshlrev_b32_e32 v14, 2, v2
	s_movk_i32 s4, 0x84
	v_mad_u32_u24 v20, v5, s4, v14
	s_waitcnt vmcnt(0) lgkmcnt(0)
	ds_write_b32 v20, v17
	v_add_u32_e32 v17, 8, v5
	v_mul_u32_u24_e32 v15, 0x84, v5
	v_cmp_gt_i32_e64 s[4:5], s28, v17
	s_and_saveexec_b64 s[10:11], s[4:5]
	s_cbranch_execz .LBB147_17
; %bb.16:
	s_lshl_b64 s[4:5], s[24:25], 5
	v_mov_b32_e32 v13, s5
	v_add_co_u32_e64 v20, s[4:5], s4, v10
	v_addc_co_u32_e64 v21, s[4:5], v11, v13, s[4:5]
	flat_load_dword v13, v[20:21]
.LBB147_17:
	s_or_b64 exec, exec, s[10:11]
	v_add_u32_e32 v14, v15, v14
	s_waitcnt vmcnt(0) lgkmcnt(0)
	ds_write_b32 v14, v13 offset:1056
	v_add_u32_e32 v13, 16, v5
	v_cmp_gt_i32_e64 s[4:5], s28, v13
	v_mov_b32_e32 v13, 0
	v_mov_b32_e32 v15, 0
	s_and_saveexec_b64 s[10:11], s[4:5]
	s_cbranch_execz .LBB147_19
; %bb.18:
	s_lshl_b64 s[4:5], s[24:25], 6
	v_mov_b32_e32 v15, s5
	v_add_co_u32_e64 v20, s[4:5], s4, v10
	v_addc_co_u32_e64 v21, s[4:5], v11, v15, s[4:5]
	flat_load_dword v15, v[20:21]
.LBB147_19:
	s_or_b64 exec, exec, s[10:11]
	s_waitcnt vmcnt(0) lgkmcnt(0)
	ds_write_b32 v14, v15 offset:2112
	v_add_u32_e32 v15, 24, v5
	v_cmp_gt_i32_e64 s[4:5], s28, v15
	s_and_saveexec_b64 s[10:11], s[4:5]
	s_cbranch_execz .LBB147_21
; %bb.20:
	v_mov_b32_e32 v13, 0x60
	v_mad_u64_u32 v[20:21], s[4:5], s24, v13, v[10:11]
	s_mul_i32 s4, s25, 0x60
	v_add_u32_e32 v21, s4, v21
	flat_load_dword v13, v[20:21]
.LBB147_21:
	s_or_b64 exec, exec, s[10:11]
	v_add_co_u32_e64 v10, s[4:5], v10, v12
	v_addc_co_u32_e64 v11, s[4:5], 0, v11, s[4:5]
	v_mov_b32_e32 v12, s9
	v_subrev_co_u32_e64 v10, s[4:5], s8, v10
	v_subb_co_u32_e64 v11, s[4:5], v11, v12, s[4:5]
	v_add_co_u32_e64 v10, s[4:5], 4, v10
	v_addc_co_u32_e64 v11, s[4:5], 0, v11, s[4:5]
	v_cndmask_b32_e32 v4, v11, v4, vcc
	v_cndmask_b32_e32 v3, v10, v3, vcc
	s_waitcnt vmcnt(0) lgkmcnt(0)
	ds_write_b32 v14, v13 offset:3168
.LBB147_22:
	v_lshlrev_b32_e32 v12, 2, v5
	v_lshlrev_b32_e32 v13, 2, v2
	v_lshl_or_b32 v11, v2, 7, v13
	v_cmp_lt_u32_e64 s[18:19], v12, v2
	s_waitcnt lgkmcnt(0)
	s_barrier
	s_and_saveexec_b64 s[4:5], s[18:19]
	s_cbranch_execz .LBB147_24
; %bb.23:
	s_movk_i32 s8, 0x210
	v_mad_u32_u24 v10, v5, s8, v13
	ds_read_b32 v10, v10
	v_lshl_add_u32 v14, v12, 2, v11
	s_waitcnt lgkmcnt(0)
	ds_write_b32 v14, v10
.LBB147_24:
	s_or_b64 exec, exec, s[4:5]
	v_or_b32_e32 v10, 1, v12
	v_cmp_lt_u32_e64 s[8:9], v10, v2
	s_and_saveexec_b64 s[4:5], s[8:9]
	s_cbranch_execz .LBB147_26
; %bb.25:
	s_movk_i32 s10, 0x84
	v_mad_u32_u24 v14, v10, s10, v13
	ds_read_b32 v14, v14
	v_lshl_add_u32 v15, v12, 2, v11
	s_waitcnt lgkmcnt(0)
	ds_write_b32 v15, v14 offset:4
.LBB147_26:
	s_or_b64 exec, exec, s[4:5]
	v_or_b32_e32 v14, 2, v12
	v_cmp_lt_u32_e64 s[10:11], v14, v2
	s_and_saveexec_b64 s[4:5], s[10:11]
	s_cbranch_execz .LBB147_28
; %bb.27:
	s_movk_i32 s12, 0x84
	v_mad_u32_u24 v14, v14, s12, v13
	ds_read_b32 v14, v14
	v_lshl_add_u32 v15, v12, 2, v11
	s_waitcnt lgkmcnt(0)
	ds_write_b32 v15, v14 offset:8
.LBB147_28:
	s_or_b64 exec, exec, s[4:5]
	v_or_b32_e32 v15, 3, v12
	v_cmp_lt_u32_e64 s[12:13], v15, v2
	v_cmp_ge_u32_e32 vcc, v15, v2
                                        ; implicit-def: $vgpr14
	s_and_saveexec_b64 s[4:5], vcc
	s_xor_b64 s[4:5], exec, s[4:5]
; %bb.29:
	v_mul_u32_u24_e32 v14, 0x84, v15
                                        ; implicit-def: $vgpr11
                                        ; implicit-def: $vgpr15
; %bb.30:
	s_andn2_saveexec_b64 s[4:5], s[4:5]
	s_cbranch_execz .LBB147_32
; %bb.31:
	s_movk_i32 s14, 0x84
	v_mad_u32_u24 v14, v15, s14, v13
	ds_read_b32 v17, v14
	v_lshl_add_u32 v11, v12, 2, v11
	v_mul_u32_u24_e32 v14, 0x84, v15
	s_waitcnt lgkmcnt(0)
	ds_write_b32 v11, v17 offset:12
.LBB147_32:
	s_or_b64 exec, exec, s[4:5]
	s_movk_i32 s4, 0x210
	v_mad_u32_u24 v11, v5, s4, v13
	s_movk_i32 s4, 0x84
	s_waitcnt lgkmcnt(0)
	s_barrier
	v_lshlrev_b32_e32 v21, 2, v12
	ds_read_b32 v15, v11
	ds_read_b128 v[25:28], v21 offset:4544
	v_mad_u32_u24 v11, v10, s4, v13
	ds_read2_b32 v[22:23], v11 offset1:33
	v_add_u32_e32 v11, v13, v14
	ds_read_b32 v14, v11
	s_waitcnt lgkmcnt(2)
	v_fma_f32 v15, v15, v25, 0
	v_mov_b32_e32 v24, 0
	s_waitcnt lgkmcnt(1)
	v_fmac_f32_e32 v15, v22, v26
	v_fmac_f32_e32 v15, v23, v27
	s_waitcnt lgkmcnt(0)
	v_fmac_f32_e32 v15, v14, v28
	v_mul_u32_u24_e32 v14, 33, v2
	v_lshlrev_b32_e32 v17, 2, v14
	v_lshl_add_u32 v20, v5, 2, v17
	v_cmp_gt_u32_e64 s[4:5], 32, v16
	s_barrier
	ds_write_b32 v20, v15
	s_waitcnt lgkmcnt(0)
	s_barrier
	s_and_saveexec_b64 s[14:15], s[4:5]
	s_cbranch_execz .LBB147_34
; %bb.33:
	ds_read2_b32 v[14:15], v17 offset1:1
	ds_read2_b32 v[22:23], v17 offset0:2 offset1:3
	ds_read2_b32 v[24:25], v17 offset0:4 offset1:5
	;; [unrolled: 1-line block ×3, first 2 shown]
	s_waitcnt lgkmcnt(3)
	v_add_f32_e32 v14, v14, v15
	s_waitcnt lgkmcnt(2)
	v_add_f32_e32 v14, v14, v22
	v_add_f32_e32 v14, v14, v23
	s_waitcnt lgkmcnt(1)
	v_add_f32_e32 v14, v14, v24
	;; [unrolled: 3-line block ×3, first 2 shown]
	v_add_f32_e32 v24, v14, v27
.LBB147_34:
	s_or_b64 exec, exec, s[14:15]
	s_lshl_b64 s[22:23], s[24:25], 7
	v_mov_b32_e32 v14, s23
	v_add_co_u32_e32 v3, vcc, s22, v3
	v_addc_co_u32_e32 v4, vcc, v4, v14, vcc
	v_add_co_u32_e32 v14, vcc, 0x80, v3
	v_addc_co_u32_e32 v15, vcc, 0, v4, vcc
	v_cndmask_b32_e64 v22, 0, 1, s[16:17]
	s_lshl_b64 s[40:41], s[24:25], 5
	v_cmp_ne_u32_e64 s[14:15], 1, v22
	s_andn2_b64 vcc, exec, s[16:17]
	s_mov_b64 s[16:17], -1
	s_barrier
	s_cbranch_vccnz .LBB147_36
; %bb.35:
	v_mov_b32_e32 v28, s41
	v_add_co_u32_e32 v22, vcc, s40, v3
	v_addc_co_u32_e32 v23, vcc, v4, v28, vcc
	v_add_co_u32_e32 v25, vcc, s40, v22
	v_addc_co_u32_e32 v26, vcc, v23, v28, vcc
	;; [unrolled: 2-line block ×3, first 2 shown]
	flat_load_dword v29, v[3:4] offset:128
	flat_load_dword v30, v[22:23] offset:128
	flat_load_dword v31, v[25:26] offset:128
	flat_load_dword v32, v[27:28] offset:128
	s_movk_i32 s16, 0x84
	v_mad_u32_u24 v22, v5, s16, v13
	s_mov_b64 s[16:17], 0
	s_waitcnt vmcnt(0) lgkmcnt(0)
	ds_write_b32 v22, v29
	ds_write_b32 v22, v30 offset:1056
	ds_write_b32 v22, v31 offset:2112
	;; [unrolled: 1-line block ×3, first 2 shown]
.LBB147_36:
	s_andn2_b64 vcc, exec, s[16:17]
	s_cbranch_vccnz .LBB147_46
; %bb.37:
	v_lshlrev_b32_e32 v22, 2, v2
	v_sub_co_u32_e32 v3, vcc, v3, v22
	s_ashr_i32 s29, s28, 31
	v_subbrev_co_u32_e32 v4, vcc, 0, v4, vcc
	s_lshl_b64 s[42:43], s[28:29], 2
	v_mov_b32_e32 v26, s43
	v_add_co_u32_e32 v3, vcc, s42, v3
	v_addc_co_u32_e32 v4, vcc, v4, v26, vcc
	v_or_b32_e32 v25, 32, v2
	v_add_co_u32_e32 v3, vcc, -4, v3
	v_addc_co_u32_e32 v4, vcc, -1, v4, vcc
	v_cmp_gt_i32_e64 s[16:17], s28, v25
	s_sub_i32 s29, s28, 32
	v_mov_b32_e32 v23, 0
	v_cndmask_b32_e64 v4, v4, v15, s[16:17]
	v_cndmask_b32_e64 v3, v3, v14, s[16:17]
	v_cmp_gt_i32_e32 vcc, s29, v5
	v_mov_b32_e32 v26, 0
	s_and_saveexec_b64 s[44:45], vcc
	s_cbranch_execz .LBB147_39
; %bb.38:
	flat_load_dword v26, v[3:4]
.LBB147_39:
	s_or_b64 exec, exec, s[44:45]
	s_movk_i32 s44, 0x84
	v_mad_u32_u24 v27, v5, s44, v13
	s_waitcnt vmcnt(0) lgkmcnt(0)
	ds_write_b32 v27, v26
	v_add_u32_e32 v26, 8, v5
	v_mul_u32_u24_e32 v25, 0x84, v5
	v_cmp_gt_i32_e32 vcc, s29, v26
	s_and_saveexec_b64 s[44:45], vcc
	s_cbranch_execz .LBB147_41
; %bb.40:
	v_mov_b32_e32 v23, s41
	v_add_co_u32_e32 v26, vcc, s40, v3
	v_addc_co_u32_e32 v27, vcc, v4, v23, vcc
	flat_load_dword v23, v[26:27]
.LBB147_41:
	s_or_b64 exec, exec, s[44:45]
	v_add_u32_e32 v25, v25, v13
	s_waitcnt vmcnt(0) lgkmcnt(0)
	ds_write_b32 v25, v23 offset:1056
	v_add_u32_e32 v23, 16, v5
	v_cmp_gt_i32_e32 vcc, s29, v23
	v_mov_b32_e32 v23, 0
	v_mov_b32_e32 v26, 0
	s_and_saveexec_b64 s[44:45], vcc
	s_cbranch_execz .LBB147_43
; %bb.42:
	s_lshl_b64 s[46:47], s[24:25], 6
	v_mov_b32_e32 v27, s47
	v_add_co_u32_e32 v26, vcc, s46, v3
	v_addc_co_u32_e32 v27, vcc, v4, v27, vcc
	flat_load_dword v26, v[26:27]
.LBB147_43:
	s_or_b64 exec, exec, s[44:45]
	s_waitcnt vmcnt(0) lgkmcnt(0)
	ds_write_b32 v25, v26 offset:2112
	v_add_u32_e32 v26, 24, v5
	v_cmp_gt_i32_e32 vcc, s29, v26
	s_and_saveexec_b64 s[44:45], vcc
	s_cbranch_execz .LBB147_45
; %bb.44:
	v_mov_b32_e32 v23, 0x60
	v_mad_u64_u32 v[26:27], s[46:47], s24, v23, v[3:4]
	s_mul_i32 s29, s25, 0x60
	v_add_u32_e32 v27, s29, v27
	flat_load_dword v23, v[26:27]
.LBB147_45:
	s_or_b64 exec, exec, s[44:45]
	v_add_co_u32_e32 v3, vcc, v3, v22
	v_addc_co_u32_e32 v4, vcc, 0, v4, vcc
	v_mov_b32_e32 v22, s43
	v_subrev_co_u32_e32 v3, vcc, s42, v3
	v_subb_co_u32_e32 v4, vcc, v4, v22, vcc
	v_add_co_u32_e32 v3, vcc, 0x84, v3
	v_addc_co_u32_e32 v4, vcc, 0, v4, vcc
	v_cndmask_b32_e64 v15, v4, v15, s[16:17]
	v_cndmask_b32_e64 v14, v3, v14, s[16:17]
	s_waitcnt vmcnt(0) lgkmcnt(0)
	ds_write_b32 v25, v23 offset:3168
.LBB147_46:
	v_mul_u32_u24_e32 v3, 0x210, v5
	v_add_u32_e32 v21, 0x11c0, v21
	v_mul_u32_u24_e32 v4, 0x84, v10
	v_add_u32_e32 v3, v13, v3
	s_waitcnt lgkmcnt(0)
	s_barrier
	s_and_saveexec_b64 s[16:17], s[18:19]
	s_cbranch_execnz .LBB147_55
; %bb.47:
	s_or_b64 exec, exec, s[16:17]
	v_add_u32_e32 v4, v13, v4
	s_and_saveexec_b64 s[16:17], s[8:9]
	s_cbranch_execnz .LBB147_56
.LBB147_48:
	s_or_b64 exec, exec, s[16:17]
	s_and_saveexec_b64 s[8:9], s[10:11]
	s_cbranch_execnz .LBB147_57
.LBB147_49:
	s_or_b64 exec, exec, s[8:9]
	s_and_saveexec_b64 s[8:9], s[12:13]
	s_cbranch_execz .LBB147_51
.LBB147_50:
	ds_read_b32 v10, v11
	v_lshl_add_u32 v22, v12, 2, v17
	s_waitcnt lgkmcnt(0)
	ds_write_b32 v22, v10 offset:12
.LBB147_51:
	s_or_b64 exec, exec, s[8:9]
	s_waitcnt lgkmcnt(0)
	s_barrier
	ds_read_b32 v10, v3
	ds_read_b128 v[25:28], v21 offset:128
	ds_read2_b32 v[3:4], v4 offset1:33
	ds_read_b32 v11, v11
	v_cmp_eq_u32_e64 s[10:11], 1, v5
	s_waitcnt lgkmcnt(0)
	v_fma_f32 v10, v10, v25, 0
	v_fmac_f32_e32 v10, v3, v26
	v_fmac_f32_e32 v10, v4, v27
	;; [unrolled: 1-line block ×3, first 2 shown]
	s_barrier
	ds_write_b32 v20, v10
	s_waitcnt lgkmcnt(0)
	s_barrier
	s_and_saveexec_b64 s[8:9], s[10:11]
	s_cbranch_execz .LBB147_53
; %bb.52:
	ds_read2_b32 v[3:4], v17 offset1:1
	ds_read2_b32 v[10:11], v17 offset0:2 offset1:3
	ds_read2_b32 v[22:23], v17 offset0:4 offset1:5
	;; [unrolled: 1-line block ×3, first 2 shown]
	s_waitcnt lgkmcnt(3)
	v_add_f32_e32 v3, v3, v4
	s_waitcnt lgkmcnt(2)
	v_add_f32_e32 v3, v3, v10
	v_add_f32_e32 v3, v3, v11
	s_waitcnt lgkmcnt(1)
	v_add_f32_e32 v3, v3, v22
	;; [unrolled: 3-line block ×3, first 2 shown]
	v_add_f32_e32 v24, v3, v25
.LBB147_53:
	s_or_b64 exec, exec, s[8:9]
	s_lshl_b64 s[8:9], s[40:41], 2
	v_mov_b32_e32 v3, s9
	v_subrev_co_u32_e64 v10, s[8:9], s8, v14
	s_and_b64 vcc, exec, s[14:15]
	v_subb_co_u32_e64 v11, s[8:9], v15, v3, s[8:9]
	s_barrier
	s_cbranch_vccnz .LBB147_58
; %bb.54:
	v_mov_b32_e32 v23, s41
	v_add_co_u32_e32 v3, vcc, s40, v10
	v_addc_co_u32_e32 v4, vcc, v11, v23, vcc
	v_add_co_u32_e32 v14, vcc, s40, v3
	v_addc_co_u32_e32 v15, vcc, v4, v23, vcc
	;; [unrolled: 2-line block ×3, first 2 shown]
	flat_load_dword v28, v[10:11]
	flat_load_dword v29, v[3:4]
	;; [unrolled: 1-line block ×4, first 2 shown]
	s_movk_i32 s8, 0x84
	v_mov_b32_e32 v3, 0x420
	v_mov_b32_e32 v4, 0x840
	;; [unrolled: 1-line block ×3, first 2 shown]
	v_mul_u32_u24_e32 v15, 0x84, v5
	v_add_u32_e32 v14, 8, v5
	v_add_u32_e32 v22, 16, v5
	;; [unrolled: 1-line block ×3, first 2 shown]
	v_mad_u32_u24 v32, v5, s8, v13
	v_mad_u32_u24 v23, v5, s8, v3
	;; [unrolled: 1-line block ×4, first 2 shown]
	v_add_u32_e32 v3, v13, v23
	v_add_u32_e32 v4, v13, v26
	;; [unrolled: 1-line block ×3, first 2 shown]
	s_waitcnt vmcnt(0) lgkmcnt(0)
	ds_write_b32 v32, v28
	ds_write_b32 v3, v29
	;; [unrolled: 1-line block ×4, first 2 shown]
	s_cbranch_execz .LBB147_59
	s_branch .LBB147_68
.LBB147_55:
	ds_read_b32 v10, v3
	v_lshl_add_u32 v22, v12, 2, v17
	s_waitcnt lgkmcnt(0)
	ds_write_b32 v22, v10
	s_or_b64 exec, exec, s[16:17]
	v_add_u32_e32 v4, v13, v4
	s_and_saveexec_b64 s[16:17], s[8:9]
	s_cbranch_execz .LBB147_48
.LBB147_56:
	ds_read_b32 v10, v4
	v_lshl_add_u32 v22, v12, 2, v17
	s_waitcnt lgkmcnt(0)
	ds_write_b32 v22, v10 offset:4
	s_or_b64 exec, exec, s[16:17]
	s_and_saveexec_b64 s[8:9], s[10:11]
	s_cbranch_execz .LBB147_49
.LBB147_57:
	ds_read_b32 v10, v4 offset:132
	v_lshl_add_u32 v22, v12, 2, v17
	s_waitcnt lgkmcnt(0)
	ds_write_b32 v22, v10 offset:8
	s_or_b64 exec, exec, s[8:9]
	s_and_saveexec_b64 s[8:9], s[12:13]
	s_cbranch_execnz .LBB147_50
	s_branch .LBB147_51
.LBB147_58:
                                        ; implicit-def: $vgpr15
                                        ; implicit-def: $vgpr14
                                        ; implicit-def: $vgpr23
                                        ; implicit-def: $vgpr22
                                        ; implicit-def: $vgpr26
                                        ; implicit-def: $vgpr25
                                        ; implicit-def: $vgpr27
.LBB147_59:
	v_or_b32_e32 v3, 32, v2
	v_lshlrev_b32_e32 v4, 2, v3
	v_sub_co_u32_e32 v4, vcc, v10, v4
	s_ashr_i32 s29, s28, 31
	v_subbrev_co_u32_e32 v14, vcc, 0, v11, vcc
	s_lshl_b64 s[12:13], s[28:29], 2
	v_mov_b32_e32 v15, s13
	v_add_co_u32_e32 v4, vcc, s12, v4
	v_addc_co_u32_e32 v14, vcc, v14, v15, vcc
	v_add_co_u32_e32 v15, vcc, -4, v4
	v_addc_co_u32_e32 v4, vcc, -1, v14, vcc
	v_cmp_gt_i32_e64 s[8:9], s28, v3
	v_mov_b32_e32 v22, 0
	v_cndmask_b32_e64 v4, v4, v11, s[8:9]
	v_cndmask_b32_e64 v3, v15, v10, s[8:9]
	v_cmp_gt_i32_e32 vcc, s28, v5
	v_mov_b32_e32 v14, 0
	s_and_saveexec_b64 s[14:15], vcc
	s_cbranch_execz .LBB147_61
; %bb.60:
	flat_load_dword v14, v[3:4]
.LBB147_61:
	s_or_b64 exec, exec, s[14:15]
	s_movk_i32 s14, 0x84
	v_mad_u32_u24 v23, v5, s14, v13
	s_waitcnt vmcnt(0) lgkmcnt(0)
	ds_write_b32 v23, v14
	v_add_u32_e32 v14, 8, v5
	v_mul_u32_u24_e32 v15, 0x84, v5
	v_cmp_gt_i32_e32 vcc, s28, v14
	s_and_saveexec_b64 s[14:15], vcc
	s_cbranch_execz .LBB147_63
; %bb.62:
	v_mov_b32_e32 v23, s41
	v_add_co_u32_e32 v22, vcc, s40, v3
	v_addc_co_u32_e32 v23, vcc, v4, v23, vcc
	flat_load_dword v22, v[22:23]
.LBB147_63:
	s_or_b64 exec, exec, s[14:15]
	v_add_u32_e32 v23, 0x420, v15
	v_add_u32_e32 v25, v13, v23
	s_waitcnt vmcnt(0) lgkmcnt(0)
	ds_write_b32 v25, v22
	v_add_u32_e32 v22, 16, v5
	v_cmp_gt_i32_e32 vcc, s28, v22
	v_mov_b32_e32 v28, 0
	v_mov_b32_e32 v25, 0
	s_and_saveexec_b64 s[14:15], vcc
	s_cbranch_execz .LBB147_65
; %bb.64:
	s_lshl_b64 s[16:17], s[24:25], 6
	v_mov_b32_e32 v26, s17
	v_add_co_u32_e32 v25, vcc, s16, v3
	v_addc_co_u32_e32 v26, vcc, v4, v26, vcc
	flat_load_dword v25, v[25:26]
.LBB147_65:
	s_or_b64 exec, exec, s[14:15]
	v_add_u32_e32 v26, 0x420, v23
	v_add_u32_e32 v27, v13, v26
	s_waitcnt vmcnt(0) lgkmcnt(0)
	ds_write_b32 v27, v25
	v_add_u32_e32 v25, 24, v5
	v_cmp_gt_i32_e32 vcc, s28, v25
	s_and_saveexec_b64 s[14:15], vcc
	s_cbranch_execz .LBB147_67
; %bb.66:
	v_mov_b32_e32 v5, 0x60
	v_mad_u64_u32 v[27:28], s[16:17], s24, v5, v[3:4]
	s_mul_i32 s16, s25, 0x60
	v_add_u32_e32 v28, s16, v28
	flat_load_dword v28, v[27:28]
.LBB147_67:
	s_or_b64 exec, exec, s[14:15]
	v_lshlrev_b32_e32 v2, 2, v2
	v_add_co_u32_e32 v2, vcc, v3, v2
	v_addc_co_u32_e32 v3, vcc, 0, v4, vcc
	v_mov_b32_e32 v4, s13
	v_subrev_co_u32_e32 v2, vcc, s12, v2
	v_subb_co_u32_e32 v3, vcc, v3, v4, vcc
	v_add_co_u32_e32 v2, vcc, 0x84, v2
	v_add_u32_e32 v27, 0x420, v26
	v_addc_co_u32_e32 v3, vcc, 0, v3, vcc
	v_add_u32_e32 v5, v13, v27
	v_cndmask_b32_e64 v11, v3, v11, s[8:9]
	v_cndmask_b32_e64 v10, v2, v10, s[8:9]
	s_waitcnt vmcnt(0) lgkmcnt(0)
	ds_write_b32 v5, v28
.LBB147_68:
	v_add_u32_e32 v2, v13, v15
	s_waitcnt lgkmcnt(0)
	s_barrier
	v_add_u32_e32 v3, v13, v23
	ds_read_b32 v23, v2
	ds_read_b32 v28, v12 offset:4544
	ds_read_b32 v29, v3
	v_lshlrev_b32_e32 v2, 2, v14
	v_add_u32_e32 v3, v13, v26
	v_lshlrev_b32_e32 v4, 2, v22
	v_add_u32_e32 v5, v13, v27
	v_lshlrev_b32_e32 v13, 2, v25
	v_lshl_add_u32 v12, v12, 2, v17
	ds_read_b32 v22, v2 offset:4544
	ds_read_b32 v25, v3
	ds_read_b32 v26, v4 offset:4544
	ds_read_b32 v27, v5
	ds_read_b32 v30, v13 offset:4544
	ds_read2_b32 v[14:15], v12 offset1:1
	ds_read_b128 v[2:5], v21 offset:128
	ds_read2_b32 v[12:13], v12 offset0:2 offset1:3
	s_waitcnt lgkmcnt(9)
	v_fma_f32 v21, v23, v28, 0
	s_waitcnt lgkmcnt(7)
	v_fmac_f32_e32 v21, v29, v22
	s_waitcnt lgkmcnt(5)
	v_fmac_f32_e32 v21, v25, v26
	;; [unrolled: 2-line block ×3, first 2 shown]
	s_waitcnt lgkmcnt(0)
	s_barrier
	ds_write_b32 v20, v21
	s_waitcnt lgkmcnt(0)
	s_barrier
	s_and_saveexec_b64 s[8:9], s[10:11]
	s_cbranch_execz .LBB147_70
; %bb.69:
	ds_read2_b32 v[21:22], v17 offset1:1
	ds_read2_b32 v[25:26], v17 offset0:2 offset1:3
	ds_read2_b32 v[27:28], v17 offset0:4 offset1:5
	;; [unrolled: 1-line block ×3, first 2 shown]
	s_waitcnt lgkmcnt(3)
	v_add_f32_e32 v21, v24, v21
	v_add_f32_e32 v21, v21, v22
	s_waitcnt lgkmcnt(2)
	v_add_f32_e32 v21, v21, v25
	v_add_f32_e32 v21, v21, v26
	;; [unrolled: 3-line block ×4, first 2 shown]
.LBB147_70:
	s_or_b64 exec, exec, s[8:9]
	v_fma_f32 v2, v14, v2, 0
	v_fmac_f32_e32 v2, v15, v3
	v_fmac_f32_e32 v2, v12, v4
	;; [unrolled: 1-line block ×3, first 2 shown]
	s_barrier
	ds_write_b32 v20, v2
	s_waitcnt lgkmcnt(0)
	s_barrier
	s_and_saveexec_b64 s[8:9], s[4:5]
	s_cbranch_execz .LBB147_72
; %bb.71:
	ds_read2_b32 v[2:3], v17 offset1:1
	ds_read2_b32 v[4:5], v17 offset0:2 offset1:3
	ds_read2_b32 v[12:13], v17 offset0:4 offset1:5
	;; [unrolled: 1-line block ×3, first 2 shown]
	s_waitcnt lgkmcnt(3)
	v_add_f32_e32 v2, v24, v2
	v_add_f32_e32 v2, v2, v3
	s_waitcnt lgkmcnt(2)
	v_add_f32_e32 v2, v2, v4
	v_add_f32_e32 v2, v2, v5
	;; [unrolled: 3-line block ×4, first 2 shown]
.LBB147_72:
	s_or_b64 exec, exec, s[8:9]
	s_mul_hi_u32 s4, s27, s26
	s_mul_i32 s33, s33, s26
	s_add_i32 s4, s4, s33
	s_mul_i32 s8, s27, s26
	s_mul_i32 s4, s4, s7
	s_mul_hi_u32 s5, s8, s7
	s_add_i32 s5, s5, s4
	s_mul_i32 s4, s8, s7
	s_lshl_b64 s[4:5], s[4:5], 2
	s_add_u32 s7, s30, s4
	s_mul_i32 s4, s27, s6
	s_addc_u32 s8, s31, s5
	s_ashr_i32 s5, s4, 31
	s_lshl_b64 s[4:5], s[4:5], 2
	s_add_u32 s7, s7, s4
	v_cmp_le_i32_e32 vcc, s28, v0
	s_addc_u32 s26, s8, s5
	s_and_b64 s[4:5], s[38:39], vcc
	s_cmp_lt_i32 s6, 1
	v_lshlrev_b32_e32 v25, 2, v0
	s_barrier
	s_cbranch_scc1 .LBB147_79
; %bb.73:
	s_mul_i32 s8, s20, s35
	s_mul_hi_u32 s9, s20, s34
	s_add_i32 s8, s9, s8
	s_mul_i32 s9, s21, s34
	s_add_i32 s9, s8, s9
	s_mul_i32 s8, s20, s34
	s_lshl_b64 s[8:9], s[8:9], 2
	v_mov_b32_e32 v2, s9
	v_subrev_co_u32_e32 v26, vcc, s8, v6
	v_subb_co_u32_e32 v27, vcc, v7, v2, vcc
	v_mov_b32_e32 v2, s37
	v_subrev_co_u32_e32 v3, vcc, s36, v10
	v_subb_co_u32_e32 v4, vcc, v11, v2, vcc
	s_movk_i32 s8, 0xff80
	v_lshlrev_b32_e32 v7, 2, v1
	v_add_co_u32_e32 v6, vcc, s8, v3
	v_mad_u64_u32 v[2:3], s[8:9], s24, v7, 0
	v_addc_co_u32_e32 v10, vcc, -1, v4, vcc
	v_mad_u64_u32 v[3:4], s[8:9], s25, v7, v[3:4]
	v_sub_co_u32_e32 v4, vcc, v6, v8
	v_lshlrev_b64 v[2:3], 2, v[2:3]
	v_subb_co_u32_e32 v6, vcc, v10, v9, vcc
	v_add_co_u32_e32 v2, vcc, v4, v2
	s_ashr_i32 s29, s28, 31
	v_addc_co_u32_e32 v3, vcc, v6, v3, vcc
	s_lshl_b64 s[8:9], s[28:29], 2
	v_mov_b32_e32 v4, s9
	v_add_co_u32_e32 v6, vcc, s8, v2
	v_addc_co_u32_e32 v4, vcc, v3, v4, vcc
	v_add_co_u32_e32 v6, vcc, -4, v6
	v_addc_co_u32_e32 v4, vcc, -1, v4, vcc
	v_add_co_u32_e32 v2, vcc, v2, v25
	v_addc_co_u32_e32 v3, vcc, 0, v3, vcc
	v_cndmask_b32_e64 v23, v3, v4, s[4:5]
	s_movk_i32 s8, 0x430
	v_lshrrev_b32_e32 v4, 2, v16
	v_and_b32_e32 v5, 15, v0
	v_mad_u32_u24 v31, v1, s8, v25
	s_movk_i32 s8, 0x10c
	v_and_b32_e32 v4, 0x1ffc, v4
	v_mad_u32_u24 v32, v5, s8, v4
	v_and_b32_e32 v4, 48, v0
	v_lshlrev_b32_e32 v4, 2, v4
	s_mul_i32 s31, s25, 0x8c
	s_mul_hi_u32 s33, s24, 0x8c
	v_mad_u32_u24 v33, v5, s8, v4
	v_or_b32_e32 v4, 60, v25
	s_add_i32 s38, s33, s31
	s_mul_i32 s33, s25, 0xc0
	s_mul_hi_u32 s34, s24, 0xc0
	v_mad_u32_u24 v34, v5, s8, v4
	s_mul_i32 s8, s25, 12
	s_mul_hi_u32 s9, s24, 12
	s_add_i32 s39, s34, s33
	s_mul_i32 s34, s25, 0xc8
	s_mul_hi_u32 s35, s24, 0xc8
	s_add_i32 s8, s9, s8
	;; [unrolled: 3-line block ×5, first 2 shown]
	s_mul_i32 s36, s25, 0xc4
	s_mul_hi_u32 s37, s24, 0xc4
	v_cndmask_b32_e64 v22, v2, v6, s[4:5]
	v_mov_b32_e32 v2, 0x10c0
	s_lshl_b64 s[10:11], s[24:25], 2
	s_lshl_b64 s[12:13], s[24:25], 3
	;; [unrolled: 1-line block ×4, first 2 shown]
	s_add_i32 s18, s19, s18
	s_mul_i32 s19, s25, 0x88
	s_mul_hi_u32 s30, s24, 0x88
	s_add_i32 s42, s37, s36
	s_mul_i32 s37, s25, 0x84
	s_mul_hi_u32 s43, s24, 0x84
	s_mulk_i32 s25, 0x44
	s_mul_hi_u32 s44, s24, 0x44
	v_lshl_add_u32 v29, v1, 4, v2
	v_mul_u32_u24_e32 v2, 0x10c, v5
	v_and_b32_e32 v3, 0x7ff0, v16
	s_add_i32 s19, s30, s19
	s_add_i32 s43, s43, s37
	;; [unrolled: 1-line block ×3, first 2 shown]
	v_mov_b32_e32 v21, 0
	v_add_u32_e32 v28, 0x10c0, v25
	v_add_u32_e32 v30, 0x11c0, v25
	v_cmp_gt_u32_e32 vcc, 64, v16
	s_mul_i32 s27, s24, 12
	s_mul_i32 s28, s24, 0x48
	;; [unrolled: 1-line block ×10, first 2 shown]
	s_mulk_i32 s24, 0x44
	s_mov_b32 s25, 0
	v_mov_b32_e32 v35, s11
	v_mov_b32_e32 v36, s13
	;; [unrolled: 1-line block ×3, first 2 shown]
	v_add_u32_e32 v38, v2, v3
	v_mov_b32_e32 v39, s17
	v_mov_b32_e32 v40, s44
	;; [unrolled: 1-line block ×12, first 2 shown]
	s_branch .LBB147_75
.LBB147_74:                             ;   in Loop: Header=BB147_75 Depth=1
	s_or_b64 exec, exec, s[18:19]
	v_fmac_f32_e32 v24, v54, v2
	v_fmac_f32_e32 v24, v52, v3
	;; [unrolled: 1-line block ×15, first 2 shown]
	v_mov_b32_e32 v2, s15
	s_add_i32 s25, s25, 64
	s_add_i32 s6, s6, -1
	v_add_co_u32_e64 v22, s[8:9], s14, v22
	v_fmac_f32_e32 v24, v63, v17
	s_cmp_eq_u32 s6, 0
	v_addc_co_u32_e64 v23, s[8:9], v23, v2, s[8:9]
	s_waitcnt vmcnt(0)
	s_barrier
	s_cbranch_scc1 .LBB147_79
.LBB147_75:                             ; =>This Inner Loop Header: Depth=1
	s_and_saveexec_b64 s[18:19], s[2:3]
	s_cbranch_execz .LBB147_77
; %bb.76:                               ;   in Loop: Header=BB147_75 Depth=1
	s_mul_i32 s8, s21, s25
	s_mul_hi_u32 s9, s20, s25
	s_add_i32 s9, s9, s8
	s_mul_i32 s8, s20, s25
	s_lshl_b64 s[8:9], s[8:9], 2
	v_mov_b32_e32 v3, s9
	v_add_co_u32_e64 v2, s[8:9], s8, v26
	v_addc_co_u32_e64 v3, s[8:9], v27, v3, s[8:9]
	flat_load_dword v2, v[2:3]
	s_waitcnt vmcnt(0) lgkmcnt(0)
	ds_write_b32 v28, v2
.LBB147_77:                             ;   in Loop: Header=BB147_75 Depth=1
	s_or_b64 exec, exec, s[18:19]
	v_add_co_u32_e64 v2, s[8:9], s10, v22
	v_addc_co_u32_e64 v3, s[8:9], v23, v35, s[8:9]
	v_add_co_u32_e64 v4, s[8:9], s12, v22
	v_addc_co_u32_e64 v5, s[8:9], v23, v36, s[8:9]
	v_add_co_u32_e64 v6, s[8:9], s27, v22
	s_waitcnt lgkmcnt(0)
	s_barrier
	v_addc_co_u32_e64 v7, s[8:9], v23, v37, s[8:9]
	flat_load_dword v54, v[22:23]
	flat_load_dword v52, v[2:3]
	flat_load_dword v51, v[4:5]
	flat_load_dword v53, v[6:7]
	v_add_co_u32_e64 v6, s[8:9], s16, v22
	v_addc_co_u32_e64 v7, s[8:9], v23, v39, s[8:9]
	ds_read_b32 v14, v30
	ds_read_b128 v[2:5], v29
	v_add_co_u32_e64 v8, s[8:9], s24, v22
	v_addc_co_u32_e64 v9, s[8:9], v23, v40, s[8:9]
	v_add_co_u32_e64 v10, s[8:9], s28, v22
	v_addc_co_u32_e64 v11, s[8:9], v23, v41, s[8:9]
	;; [unrolled: 2-line block ×3, first 2 shown]
	s_waitcnt vmcnt(0) lgkmcnt(0)
	v_mul_f32_e32 v15, v54, v14
	v_mul_f32_e32 v16, v52, v14
	;; [unrolled: 1-line block ×4, first 2 shown]
	ds_write2_b32 v31, v15, v16 offset1:67
	ds_write2_b32 v31, v17, v14 offset0:134 offset1:201
	s_waitcnt lgkmcnt(0)
	s_barrier
	ds_read2_b32 v[14:15], v38 offset1:1
	ds_read2_b32 v[16:17], v38 offset0:2 offset1:3
	s_waitcnt lgkmcnt(0)
	s_barrier
	flat_load_dword v58, v[6:7]
	flat_load_dword v56, v[8:9]
	;; [unrolled: 1-line block ×4, first 2 shown]
	v_add_co_u32_e64 v10, s[8:9], s22, v22
	v_addc_co_u32_e64 v11, s[8:9], v23, v43, s[8:9]
	ds_read_b32 v20, v30
	ds_read_b128 v[6:9], v29 offset:64
	v_add_co_u32_e64 v12, s[8:9], s37, v22
	v_addc_co_u32_e64 v13, s[8:9], v23, v44, s[8:9]
	v_add_co_u32_e64 v63, s[8:9], s30, v22
	v_addc_co_u32_e64 v64, s[8:9], v23, v45, s[8:9]
	;; [unrolled: 2-line block ×7, first 2 shown]
	v_add_f32_e32 v14, 0, v14
	v_add_f32_e32 v14, v14, v15
	;; [unrolled: 1-line block ×3, first 2 shown]
	s_waitcnt vmcnt(0) lgkmcnt(0)
	v_mul_f32_e32 v59, v58, v20
	v_mul_f32_e32 v60, v56, v20
	;; [unrolled: 1-line block ×4, first 2 shown]
	ds_write2_b32 v31, v59, v60 offset1:67
	ds_write2_b32 v31, v61, v20 offset0:134 offset1:201
	s_waitcnt lgkmcnt(0)
	s_barrier
	ds_read2_b32 v[67:68], v38 offset1:1
	ds_read2_b32 v[69:70], v38 offset0:2 offset1:3
	s_waitcnt lgkmcnt(0)
	s_barrier
	flat_load_dword v62, v[10:11]
	flat_load_dword v60, v[12:13]
	;; [unrolled: 1-line block ×4, first 2 shown]
	ds_read_b32 v20, v30
	ds_read_b128 v[10:13], v29 offset:128
	s_waitcnt vmcnt(0) lgkmcnt(0)
	v_mul_f32_e32 v63, v62, v20
	v_mul_f32_e32 v64, v60, v20
	;; [unrolled: 1-line block ×4, first 2 shown]
	ds_write2_b32 v31, v63, v64 offset1:67
	ds_write2_b32 v31, v65, v20 offset0:134 offset1:201
	s_waitcnt lgkmcnt(0)
	s_barrier
	ds_read2_b32 v[79:80], v38 offset1:1
	ds_read2_b32 v[81:82], v38 offset0:2 offset1:3
	s_waitcnt lgkmcnt(0)
	s_barrier
	flat_load_dword v66, v[71:72]
	flat_load_dword v65, v[73:74]
	;; [unrolled: 1-line block ×4, first 2 shown]
	v_add_f32_e32 v20, v14, v17
	v_add_f32_e32 v14, 0, v67
	;; [unrolled: 1-line block ×5, first 2 shown]
	ds_read_b32 v67, v30
	ds_read_b128 v[14:17], v29 offset:192
	v_add_f32_e32 v68, 0, v79
	v_add_f32_e32 v68, v68, v80
	v_add_f32_e32 v68, v68, v81
	v_add_f32_e32 v72, v68, v82
	s_waitcnt vmcnt(0) lgkmcnt(0)
	v_mul_f32_e32 v68, v66, v67
	v_mul_f32_e32 v69, v65, v67
	;; [unrolled: 1-line block ×4, first 2 shown]
	ds_write2_b32 v31, v68, v69 offset1:67
	ds_write2_b32 v31, v70, v67 offset0:134 offset1:201
	s_waitcnt lgkmcnt(0)
	s_barrier
	ds_read2_b32 v[67:68], v38 offset1:1
	ds_read2_b32 v[69:70], v38 offset0:2 offset1:3
	s_waitcnt lgkmcnt(0)
	s_barrier
	ds_write2_b32 v32, v20, v71 offset1:16
	v_add_f32_e32 v20, 0, v67
	v_add_f32_e32 v20, v20, v68
	;; [unrolled: 1-line block ×4, first 2 shown]
	ds_write2_b32 v32, v72, v20 offset0:32 offset1:48
	s_waitcnt lgkmcnt(0)
	s_barrier
	s_and_saveexec_b64 s[18:19], vcc
	s_cbranch_execz .LBB147_74
; %bb.78:                               ;   in Loop: Header=BB147_75 Depth=1
	ds_read2_b32 v[67:68], v33 offset1:1
	ds_read2_b32 v[69:70], v33 offset0:2 offset1:3
	ds_read2_b32 v[71:72], v33 offset0:4 offset1:5
	;; [unrolled: 1-line block ×4, first 2 shown]
	s_waitcnt lgkmcnt(4)
	v_add_f32_e32 v20, v67, v68
	s_waitcnt lgkmcnt(3)
	v_add_f32_e32 v20, v20, v69
	v_add_f32_e32 v20, v20, v70
	s_waitcnt lgkmcnt(2)
	v_add_f32_e32 v20, v20, v71
	;; [unrolled: 3-line block ×3, first 2 shown]
	v_add_f32_e32 v20, v20, v74
	ds_read2_b32 v[67:68], v33 offset0:10 offset1:11
	ds_read2_b32 v[69:70], v33 offset0:12 offset1:13
	ds_read_b32 v71, v33 offset:56
	s_waitcnt lgkmcnt(3)
	v_add_f32_e32 v20, v20, v75
	v_add_f32_e32 v20, v20, v76
	s_waitcnt lgkmcnt(2)
	v_add_f32_e32 v20, v20, v67
	ds_read_b32 v67, v34
	v_add_f32_e32 v20, v20, v68
	s_waitcnt lgkmcnt(2)
	v_add_f32_e32 v20, v20, v69
	v_add_f32_e32 v20, v20, v70
	s_waitcnt lgkmcnt(1)
	v_add_f32_e32 v20, v20, v71
	s_waitcnt lgkmcnt(0)
	v_add_f32_e32 v69, v20, v67
	v_add_u32_e32 v20, s25, v0
	v_lshlrev_b64 v[67:68], 2, v[20:21]
	v_mov_b32_e32 v20, s26
	v_add_co_u32_e64 v67, s[8:9], s7, v67
	v_addc_co_u32_e64 v68, s[8:9], v20, v68, s[8:9]
	global_store_dword v[67:68], v69, off
	s_branch .LBB147_74
.LBB147_79:
	s_movk_i32 s2, 0x10c
	v_mad_u32_u24 v0, v1, s2, v25
	s_nor_b64 s[0:1], s[0:1], s[4:5]
	ds_write_b32 v0, v24
	s_waitcnt lgkmcnt(0)
	s_barrier
	s_and_saveexec_b64 s[2:3], s[0:1]
	s_cbranch_execz .LBB147_4
; %bb.80:
	ds_read2_b32 v[0:1], v25 offset1:67
	ds_read2_b32 v[2:3], v25 offset0:134 offset1:201
	v_lshlrev_b64 v[4:5], 2, v[18:19]
	v_mov_b32_e32 v6, s26
	s_waitcnt lgkmcnt(1)
	v_add_f32_e32 v0, v0, v1
	s_waitcnt lgkmcnt(0)
	v_add_f32_e32 v0, v0, v2
	v_add_f32_e32 v2, v0, v3
	v_add_co_u32_e32 v0, vcc, s7, v4
	v_addc_co_u32_e32 v1, vcc, v6, v5, vcc
	global_store_dword v[0:1], v2, off
	s_endpgm
	.section	.rodata,"a",@progbits
	.p2align	6, 0x0
	.amdhsa_kernel _ZL26rocblas_hemvn_kernel_lowerILb0ELi64ELi4ELi33ELi32ELi16ElPKfPKS1_PfEviT6_lT7_lT5_lS6_lS7_lS5_lT8_i
		.amdhsa_group_segment_fixed_size 4800
		.amdhsa_private_segment_fixed_size 0
		.amdhsa_kernarg_size 376
		.amdhsa_user_sgpr_count 6
		.amdhsa_user_sgpr_private_segment_buffer 1
		.amdhsa_user_sgpr_dispatch_ptr 0
		.amdhsa_user_sgpr_queue_ptr 0
		.amdhsa_user_sgpr_kernarg_segment_ptr 1
		.amdhsa_user_sgpr_dispatch_id 0
		.amdhsa_user_sgpr_flat_scratch_init 0
		.amdhsa_user_sgpr_private_segment_size 0
		.amdhsa_uses_dynamic_stack 0
		.amdhsa_system_sgpr_private_segment_wavefront_offset 0
		.amdhsa_system_sgpr_workgroup_id_x 1
		.amdhsa_system_sgpr_workgroup_id_y 0
		.amdhsa_system_sgpr_workgroup_id_z 1
		.amdhsa_system_sgpr_workgroup_info 0
		.amdhsa_system_vgpr_workitem_id 1
		.amdhsa_next_free_vgpr 83
		.amdhsa_next_free_sgpr 48
		.amdhsa_reserve_vcc 1
		.amdhsa_reserve_flat_scratch 0
		.amdhsa_float_round_mode_32 0
		.amdhsa_float_round_mode_16_64 0
		.amdhsa_float_denorm_mode_32 3
		.amdhsa_float_denorm_mode_16_64 3
		.amdhsa_dx10_clamp 1
		.amdhsa_ieee_mode 1
		.amdhsa_fp16_overflow 0
		.amdhsa_exception_fp_ieee_invalid_op 0
		.amdhsa_exception_fp_denorm_src 0
		.amdhsa_exception_fp_ieee_div_zero 0
		.amdhsa_exception_fp_ieee_overflow 0
		.amdhsa_exception_fp_ieee_underflow 0
		.amdhsa_exception_fp_ieee_inexact 0
		.amdhsa_exception_int_div_zero 0
	.end_amdhsa_kernel
	.section	.text._ZL26rocblas_hemvn_kernel_lowerILb0ELi64ELi4ELi33ELi32ELi16ElPKfPKS1_PfEviT6_lT7_lT5_lS6_lS7_lS5_lT8_i,"axG",@progbits,_ZL26rocblas_hemvn_kernel_lowerILb0ELi64ELi4ELi33ELi32ELi16ElPKfPKS1_PfEviT6_lT7_lT5_lS6_lS7_lS5_lT8_i,comdat
.Lfunc_end147:
	.size	_ZL26rocblas_hemvn_kernel_lowerILb0ELi64ELi4ELi33ELi32ELi16ElPKfPKS1_PfEviT6_lT7_lT5_lS6_lS7_lS5_lT8_i, .Lfunc_end147-_ZL26rocblas_hemvn_kernel_lowerILb0ELi64ELi4ELi33ELi32ELi16ElPKfPKS1_PfEviT6_lT7_lT5_lS6_lS7_lS5_lT8_i
                                        ; -- End function
	.set _ZL26rocblas_hemvn_kernel_lowerILb0ELi64ELi4ELi33ELi32ELi16ElPKfPKS1_PfEviT6_lT7_lT5_lS6_lS7_lS5_lT8_i.num_vgpr, 83
	.set _ZL26rocblas_hemvn_kernel_lowerILb0ELi64ELi4ELi33ELi32ELi16ElPKfPKS1_PfEviT6_lT7_lT5_lS6_lS7_lS5_lT8_i.num_agpr, 0
	.set _ZL26rocblas_hemvn_kernel_lowerILb0ELi64ELi4ELi33ELi32ELi16ElPKfPKS1_PfEviT6_lT7_lT5_lS6_lS7_lS5_lT8_i.numbered_sgpr, 48
	.set _ZL26rocblas_hemvn_kernel_lowerILb0ELi64ELi4ELi33ELi32ELi16ElPKfPKS1_PfEviT6_lT7_lT5_lS6_lS7_lS5_lT8_i.num_named_barrier, 0
	.set _ZL26rocblas_hemvn_kernel_lowerILb0ELi64ELi4ELi33ELi32ELi16ElPKfPKS1_PfEviT6_lT7_lT5_lS6_lS7_lS5_lT8_i.private_seg_size, 0
	.set _ZL26rocblas_hemvn_kernel_lowerILb0ELi64ELi4ELi33ELi32ELi16ElPKfPKS1_PfEviT6_lT7_lT5_lS6_lS7_lS5_lT8_i.uses_vcc, 1
	.set _ZL26rocblas_hemvn_kernel_lowerILb0ELi64ELi4ELi33ELi32ELi16ElPKfPKS1_PfEviT6_lT7_lT5_lS6_lS7_lS5_lT8_i.uses_flat_scratch, 0
	.set _ZL26rocblas_hemvn_kernel_lowerILb0ELi64ELi4ELi33ELi32ELi16ElPKfPKS1_PfEviT6_lT7_lT5_lS6_lS7_lS5_lT8_i.has_dyn_sized_stack, 0
	.set _ZL26rocblas_hemvn_kernel_lowerILb0ELi64ELi4ELi33ELi32ELi16ElPKfPKS1_PfEviT6_lT7_lT5_lS6_lS7_lS5_lT8_i.has_recursion, 0
	.set _ZL26rocblas_hemvn_kernel_lowerILb0ELi64ELi4ELi33ELi32ELi16ElPKfPKS1_PfEviT6_lT7_lT5_lS6_lS7_lS5_lT8_i.has_indirect_call, 0
	.section	.AMDGPU.csdata,"",@progbits
; Kernel info:
; codeLenInByte = 5820
; TotalNumSgprs: 52
; NumVgprs: 83
; ScratchSize: 0
; MemoryBound: 0
; FloatMode: 240
; IeeeMode: 1
; LDSByteSize: 4800 bytes/workgroup (compile time only)
; SGPRBlocks: 6
; VGPRBlocks: 20
; NumSGPRsForWavesPerEU: 52
; NumVGPRsForWavesPerEU: 83
; Occupancy: 3
; WaveLimiterHint : 1
; COMPUTE_PGM_RSRC2:SCRATCH_EN: 0
; COMPUTE_PGM_RSRC2:USER_SGPR: 6
; COMPUTE_PGM_RSRC2:TRAP_HANDLER: 0
; COMPUTE_PGM_RSRC2:TGID_X_EN: 1
; COMPUTE_PGM_RSRC2:TGID_Y_EN: 0
; COMPUTE_PGM_RSRC2:TGID_Z_EN: 1
; COMPUTE_PGM_RSRC2:TIDIG_COMP_CNT: 1
	.section	.text._ZL36rocblas_hemvn_kernel_lower_block_sumILi64ElPKfPKPffEviT1_lS5_lT2_lT0_lPT3_i,"axG",@progbits,_ZL36rocblas_hemvn_kernel_lower_block_sumILi64ElPKfPKPffEviT1_lS5_lT2_lT0_lPT3_i,comdat
	.globl	_ZL36rocblas_hemvn_kernel_lower_block_sumILi64ElPKfPKPffEviT1_lS5_lT2_lT0_lPT3_i ; -- Begin function _ZL36rocblas_hemvn_kernel_lower_block_sumILi64ElPKfPKPffEviT1_lS5_lT2_lT0_lPT3_i
	.p2align	8
	.type	_ZL36rocblas_hemvn_kernel_lower_block_sumILi64ElPKfPKPffEviT1_lS5_lT2_lT0_lPT3_i,@function
_ZL36rocblas_hemvn_kernel_lower_block_sumILi64ElPKfPKPffEviT1_lS5_lT2_lT0_lPT3_i: ; @_ZL36rocblas_hemvn_kernel_lower_block_sumILi64ElPKfPKPffEviT1_lS5_lT2_lT0_lPT3_i
; %bb.0:
	s_load_dwordx8 s[12:19], s[4:5], 0x8
	s_mov_b32 s10, s7
	s_waitcnt lgkmcnt(0)
	s_mul_i32 s0, s15, s7
	s_mul_hi_u32 s1, s14, s7
	s_add_i32 s1, s1, s0
	s_mul_i32 s0, s14, s7
	s_lshl_b64 s[0:1], s[0:1], 2
	s_add_u32 s0, s12, s0
	s_addc_u32 s1, s13, s1
	s_load_dword s7, s[0:1], 0x0
	s_mul_i32 s0, s19, s10
	s_mul_hi_u32 s1, s18, s10
	s_add_i32 s1, s1, s0
	s_mul_i32 s0, s18, s10
	s_lshl_b64 s[0:1], s[0:1], 2
	s_add_u32 s0, s16, s0
	s_addc_u32 s1, s17, s1
	s_load_dword s19, s[0:1], 0x0
	s_waitcnt lgkmcnt(0)
	v_cmp_eq_f32_e64 s[0:1], s7, 0
	v_cmp_eq_f32_e64 s[2:3], s19, 1.0
	s_and_b64 s[0:1], s[0:1], s[2:3]
	s_and_b64 vcc, exec, s[0:1]
	s_cbranch_vccnz .LBB148_19
; %bb.1:
	s_load_dwordx2 s[8:9], s[4:5], 0x28
	s_mov_b32 s11, 0
	s_lshl_b64 s[14:15], s[10:11], 3
	s_load_dword s12, s[4:5], 0x0
	s_load_dwordx4 s[0:3], s[4:5], 0x30
	v_lshl_or_b32 v2, s6, 6, v0
	s_waitcnt lgkmcnt(0)
	s_add_u32 s8, s8, s14
	s_addc_u32 s9, s9, s15
	s_load_dwordx2 s[8:9], s[8:9], 0x0
	s_lshl_b64 s[0:1], s[0:1], 2
	v_cmp_neq_f32_e64 s[14:15], s7, 0
	s_waitcnt lgkmcnt(0)
	s_add_u32 s11, s8, s0
	s_addc_u32 s18, s9, s1
	s_and_b64 vcc, exec, s[14:15]
	v_cmp_gt_i32_e64 s[0:1], s12, v2
	s_cbranch_vccnz .LBB148_6
; %bb.2:
	s_mov_b64 s[14:15], 0
	s_mov_b64 s[8:9], 0
                                        ; implicit-def: $vgpr3
                                        ; implicit-def: $vgpr0_vgpr1
	s_and_saveexec_b64 s[16:17], s[0:1]
	s_cbranch_execz .LBB148_7
; %bb.3:
	v_ashrrev_i32_e32 v0, 31, v2
	v_mul_lo_u32 v4, s3, v2
	v_mul_lo_u32 v5, s2, v0
	v_mad_u64_u32 v[0:1], s[0:1], s2, v2, 0
	v_cmp_eq_f32_e64 s[0:1], s19, 0
	v_mov_b32_e32 v3, 0
	v_add3_u32 v1, v1, v5, v4
	s_and_b64 vcc, exec, s[0:1]
	s_cbranch_vccnz .LBB148_5
; %bb.4:
	v_lshlrev_b64 v[3:4], 2, v[0:1]
	v_mov_b32_e32 v5, s18
	v_add_co_u32_e32 v3, vcc, s11, v3
	v_addc_co_u32_e32 v4, vcc, v5, v4, vcc
	flat_load_dword v3, v[3:4]
	s_waitcnt vmcnt(0) lgkmcnt(0)
	v_mul_f32_e32 v3, s19, v3
.LBB148_5:
	s_mov_b64 s[8:9], exec
	s_or_b64 exec, exec, s[16:17]
	s_and_b64 vcc, exec, s[14:15]
	s_cbranch_vccnz .LBB148_8
	s_branch .LBB148_17
.LBB148_6:
	s_mov_b64 s[8:9], 0
                                        ; implicit-def: $vgpr3
                                        ; implicit-def: $vgpr0_vgpr1
	s_cbranch_execnz .LBB148_8
	s_branch .LBB148_17
.LBB148_7:
	s_or_b64 exec, exec, s[16:17]
	s_and_b64 vcc, exec, s[14:15]
	s_cbranch_vccz .LBB148_17
.LBB148_8:
	v_cmp_gt_i32_e32 vcc, s12, v2
                                        ; implicit-def: $vgpr3
                                        ; implicit-def: $vgpr0_vgpr1
	s_and_saveexec_b64 s[0:1], vcc
	s_cbranch_execz .LBB148_16
; %bb.9:
	s_load_dword s14, s[4:5], 0x58
	v_mov_b32_e32 v4, 0
	s_waitcnt lgkmcnt(0)
	s_cmp_ge_i32 s6, s14
	s_cbranch_scc1 .LBB148_12
; %bb.10:
	s_ashr_i32 s13, s12, 31
	s_mul_i32 s15, s12, s6
	s_load_dwordx2 s[4:5], s[4:5], 0x48
	v_add_u32_e32 v0, s15, v2
	s_mul_hi_u32 s15, s12, s10
	s_mul_i32 s16, s13, s10
	s_add_i32 s15, s15, s16
	s_mul_i32 s10, s12, s10
	s_mul_i32 s15, s15, s14
	s_mul_hi_u32 s16, s10, s14
	s_add_i32 s17, s16, s15
	s_mul_i32 s16, s10, s14
	v_ashrrev_i32_e32 v1, 31, v0
	s_lshl_b64 s[16:17], s[16:17], 2
	v_lshlrev_b64 v[0:1], 2, v[0:1]
	s_waitcnt lgkmcnt(0)
	s_add_u32 s4, s4, s16
	s_addc_u32 s5, s5, s17
	v_mov_b32_e32 v3, s5
	v_add_co_u32_e32 v0, vcc, s4, v0
	s_lshl_b64 s[4:5], s[12:13], 2
	v_addc_co_u32_e32 v1, vcc, v3, v1, vcc
	v_mov_b32_e32 v4, 0
	v_mov_b32_e32 v3, s5
.LBB148_11:                             ; =>This Inner Loop Header: Depth=1
	global_load_dword v5, v[0:1], off
	s_add_i32 s6, s6, 1
	v_add_co_u32_e32 v0, vcc, s4, v0
	v_addc_co_u32_e32 v1, vcc, v1, v3, vcc
	s_cmp_ge_i32 s6, s14
	s_waitcnt vmcnt(0)
	v_add_f32_e32 v4, v4, v5
	s_cbranch_scc0 .LBB148_11
.LBB148_12:
	v_ashrrev_i32_e32 v0, 31, v2
	v_mul_lo_u32 v5, s3, v2
	v_mul_lo_u32 v6, s2, v0
	v_cmp_eq_f32_e64 s[4:5], s19, 0
	s_and_b64 vcc, exec, s[4:5]
	s_cbranch_vccz .LBB148_20
; %bb.13:
	v_mad_u64_u32 v[0:1], s[4:5], s2, v2, 0
	v_mul_f32_e32 v3, s7, v4
	v_add3_u32 v1, v1, v6, v5
	s_cbranch_execnz .LBB148_15
.LBB148_14:
	v_mad_u64_u32 v[0:1], s[2:3], s2, v2, 0
	v_mov_b32_e32 v7, s18
	v_add3_u32 v1, v1, v6, v5
	v_lshlrev_b64 v[2:3], 2, v[0:1]
	v_add_co_u32_e32 v2, vcc, s11, v2
	v_addc_co_u32_e32 v3, vcc, v7, v3, vcc
	flat_load_dword v2, v[2:3]
	s_waitcnt vmcnt(0) lgkmcnt(0)
	v_mul_f32_e32 v3, s19, v2
	v_fmac_f32_e32 v3, s7, v4
.LBB148_15:
	s_or_b64 s[8:9], s[8:9], exec
.LBB148_16:
	s_or_b64 exec, exec, s[0:1]
.LBB148_17:
	s_and_saveexec_b64 s[0:1], s[8:9]
	s_cbranch_execz .LBB148_19
; %bb.18:
	v_lshlrev_b64 v[0:1], 2, v[0:1]
	v_mov_b32_e32 v2, s18
	v_add_co_u32_e32 v0, vcc, s11, v0
	v_addc_co_u32_e32 v1, vcc, v2, v1, vcc
	flat_store_dword v[0:1], v3
.LBB148_19:
	s_endpgm
.LBB148_20:
                                        ; implicit-def: $vgpr3
                                        ; implicit-def: $vgpr0_vgpr1
	s_branch .LBB148_14
	.section	.rodata,"a",@progbits
	.p2align	6, 0x0
	.amdhsa_kernel _ZL36rocblas_hemvn_kernel_lower_block_sumILi64ElPKfPKPffEviT1_lS5_lT2_lT0_lPT3_i
		.amdhsa_group_segment_fixed_size 0
		.amdhsa_private_segment_fixed_size 0
		.amdhsa_kernarg_size 344
		.amdhsa_user_sgpr_count 6
		.amdhsa_user_sgpr_private_segment_buffer 1
		.amdhsa_user_sgpr_dispatch_ptr 0
		.amdhsa_user_sgpr_queue_ptr 0
		.amdhsa_user_sgpr_kernarg_segment_ptr 1
		.amdhsa_user_sgpr_dispatch_id 0
		.amdhsa_user_sgpr_flat_scratch_init 0
		.amdhsa_user_sgpr_private_segment_size 0
		.amdhsa_uses_dynamic_stack 0
		.amdhsa_system_sgpr_private_segment_wavefront_offset 0
		.amdhsa_system_sgpr_workgroup_id_x 1
		.amdhsa_system_sgpr_workgroup_id_y 0
		.amdhsa_system_sgpr_workgroup_id_z 1
		.amdhsa_system_sgpr_workgroup_info 0
		.amdhsa_system_vgpr_workitem_id 0
		.amdhsa_next_free_vgpr 8
		.amdhsa_next_free_sgpr 20
		.amdhsa_reserve_vcc 1
		.amdhsa_reserve_flat_scratch 0
		.amdhsa_float_round_mode_32 0
		.amdhsa_float_round_mode_16_64 0
		.amdhsa_float_denorm_mode_32 3
		.amdhsa_float_denorm_mode_16_64 3
		.amdhsa_dx10_clamp 1
		.amdhsa_ieee_mode 1
		.amdhsa_fp16_overflow 0
		.amdhsa_exception_fp_ieee_invalid_op 0
		.amdhsa_exception_fp_denorm_src 0
		.amdhsa_exception_fp_ieee_div_zero 0
		.amdhsa_exception_fp_ieee_overflow 0
		.amdhsa_exception_fp_ieee_underflow 0
		.amdhsa_exception_fp_ieee_inexact 0
		.amdhsa_exception_int_div_zero 0
	.end_amdhsa_kernel
	.section	.text._ZL36rocblas_hemvn_kernel_lower_block_sumILi64ElPKfPKPffEviT1_lS5_lT2_lT0_lPT3_i,"axG",@progbits,_ZL36rocblas_hemvn_kernel_lower_block_sumILi64ElPKfPKPffEviT1_lS5_lT2_lT0_lPT3_i,comdat
.Lfunc_end148:
	.size	_ZL36rocblas_hemvn_kernel_lower_block_sumILi64ElPKfPKPffEviT1_lS5_lT2_lT0_lPT3_i, .Lfunc_end148-_ZL36rocblas_hemvn_kernel_lower_block_sumILi64ElPKfPKPffEviT1_lS5_lT2_lT0_lPT3_i
                                        ; -- End function
	.set _ZL36rocblas_hemvn_kernel_lower_block_sumILi64ElPKfPKPffEviT1_lS5_lT2_lT0_lPT3_i.num_vgpr, 8
	.set _ZL36rocblas_hemvn_kernel_lower_block_sumILi64ElPKfPKPffEviT1_lS5_lT2_lT0_lPT3_i.num_agpr, 0
	.set _ZL36rocblas_hemvn_kernel_lower_block_sumILi64ElPKfPKPffEviT1_lS5_lT2_lT0_lPT3_i.numbered_sgpr, 20
	.set _ZL36rocblas_hemvn_kernel_lower_block_sumILi64ElPKfPKPffEviT1_lS5_lT2_lT0_lPT3_i.num_named_barrier, 0
	.set _ZL36rocblas_hemvn_kernel_lower_block_sumILi64ElPKfPKPffEviT1_lS5_lT2_lT0_lPT3_i.private_seg_size, 0
	.set _ZL36rocblas_hemvn_kernel_lower_block_sumILi64ElPKfPKPffEviT1_lS5_lT2_lT0_lPT3_i.uses_vcc, 1
	.set _ZL36rocblas_hemvn_kernel_lower_block_sumILi64ElPKfPKPffEviT1_lS5_lT2_lT0_lPT3_i.uses_flat_scratch, 0
	.set _ZL36rocblas_hemvn_kernel_lower_block_sumILi64ElPKfPKPffEviT1_lS5_lT2_lT0_lPT3_i.has_dyn_sized_stack, 0
	.set _ZL36rocblas_hemvn_kernel_lower_block_sumILi64ElPKfPKPffEviT1_lS5_lT2_lT0_lPT3_i.has_recursion, 0
	.set _ZL36rocblas_hemvn_kernel_lower_block_sumILi64ElPKfPKPffEviT1_lS5_lT2_lT0_lPT3_i.has_indirect_call, 0
	.section	.AMDGPU.csdata,"",@progbits
; Kernel info:
; codeLenInByte = 716
; TotalNumSgprs: 24
; NumVgprs: 8
; ScratchSize: 0
; MemoryBound: 0
; FloatMode: 240
; IeeeMode: 1
; LDSByteSize: 0 bytes/workgroup (compile time only)
; SGPRBlocks: 2
; VGPRBlocks: 1
; NumSGPRsForWavesPerEU: 24
; NumVGPRsForWavesPerEU: 8
; Occupancy: 10
; WaveLimiterHint : 1
; COMPUTE_PGM_RSRC2:SCRATCH_EN: 0
; COMPUTE_PGM_RSRC2:USER_SGPR: 6
; COMPUTE_PGM_RSRC2:TRAP_HANDLER: 0
; COMPUTE_PGM_RSRC2:TGID_X_EN: 1
; COMPUTE_PGM_RSRC2:TGID_Y_EN: 0
; COMPUTE_PGM_RSRC2:TGID_Z_EN: 1
; COMPUTE_PGM_RSRC2:TIDIG_COMP_CNT: 0
	.section	.text._ZL26rocblas_hemvn_kernel_lowerILb0ELi64ELi4ELi33ELi32ELi16EiPKfPKS1_PfEviT6_lT7_lT5_lS6_lS7_lS5_lT8_i,"axG",@progbits,_ZL26rocblas_hemvn_kernel_lowerILb0ELi64ELi4ELi33ELi32ELi16EiPKfPKS1_PfEviT6_lT7_lT5_lS6_lS7_lS5_lT8_i,comdat
	.globl	_ZL26rocblas_hemvn_kernel_lowerILb0ELi64ELi4ELi33ELi32ELi16EiPKfPKS1_PfEviT6_lT7_lT5_lS6_lS7_lS5_lT8_i ; -- Begin function _ZL26rocblas_hemvn_kernel_lowerILb0ELi64ELi4ELi33ELi32ELi16EiPKfPKS1_PfEviT6_lT7_lT5_lS6_lS7_lS5_lT8_i
	.p2align	8
	.type	_ZL26rocblas_hemvn_kernel_lowerILb0ELi64ELi4ELi33ELi32ELi16EiPKfPKS1_PfEviT6_lT7_lT5_lS6_lS7_lS5_lT8_i,@function
_ZL26rocblas_hemvn_kernel_lowerILb0ELi64ELi4ELi33ELi32ELi16EiPKfPKS1_PfEviT6_lT7_lT5_lS6_lS7_lS5_lT8_i: ; @_ZL26rocblas_hemvn_kernel_lowerILb0ELi64ELi4ELi33ELi32ELi16EiPKfPKS1_PfEviT6_lT7_lT5_lS6_lS7_lS5_lT8_i
; %bb.0:
	s_load_dwordx2 s[2:3], s[4:5], 0x84
	s_add_u32 s0, s4, 0x78
	s_mov_b32 s20, s7
	s_addc_u32 s1, s5, 0
	s_waitcnt lgkmcnt(0)
	s_lshr_b32 s7, s2, 16
	s_and_b32 s2, s2, 0xffff
	s_and_b32 s3, s3, 0xffff
	s_mul_i32 s2, s7, s2
	s_mul_i32 s2, s2, s3
	s_cmpk_lg_i32 s2, 0x100
	s_cbranch_scc1 .LBB149_4
; %bb.1:
	s_load_dwordx8 s[8:15], s[4:5], 0x8
	s_load_dwordx4 s[16:19], s[4:5], 0x58
	s_waitcnt lgkmcnt(0)
	s_mul_i32 s3, s11, s20
	s_mul_hi_u32 s7, s10, s20
	s_mul_i32 s2, s10, s20
	s_add_i32 s3, s7, s3
	s_lshl_b64 s[2:3], s[2:3], 2
	s_add_u32 s2, s8, s2
	s_addc_u32 s3, s9, s3
	s_mul_i32 s10, s19, s20
	s_load_dword s7, s[2:3], 0x0
	s_mul_hi_u32 s2, s18, s20
	s_add_i32 s3, s2, s10
	s_mul_i32 s2, s18, s20
	s_lshl_b64 s[2:3], s[2:3], 2
	s_add_u32 s2, s16, s2
	s_addc_u32 s3, s17, s3
	s_load_dword s8, s[2:3], 0x0
	s_waitcnt lgkmcnt(0)
	v_cmp_eq_f32_e64 s[2:3], s7, 0
	v_cmp_eq_f32_e64 s[8:9], s8, 1.0
	s_and_b64 s[8:9], s[2:3], s[8:9]
	s_and_b64 vcc, exec, s[8:9]
	s_cbranch_vccnz .LBB149_4
; %bb.2:
	v_mov_b32_e32 v2, v1
	s_and_b64 vcc, exec, s[2:3]
	s_cbranch_vccz .LBB149_5
; %bb.3:
	s_cbranch_execz .LBB149_6
.LBB149_4:
	s_endpgm
.LBB149_5:
.LBB149_6:
	s_mov_b32 s21, 0
	s_load_dwordx4 s[8:11], s[4:5], 0x38
	s_load_dword s7, s[4:5], 0x48
	s_lshl_b64 s[2:3], s[20:21], 3
	s_add_u32 s12, s12, s2
	s_addc_u32 s13, s13, s3
	s_waitcnt lgkmcnt(0)
	s_add_u32 s2, s8, s2
	s_addc_u32 s3, s9, s3
	s_load_dwordx2 s[16:17], s[2:3], 0x0
	s_load_dwordx2 s[28:29], s[4:5], 0x68
	s_load_dword s21, s[4:5], 0x0
	s_load_dword s33, s[0:1], 0x0
	s_load_dwordx2 s[8:9], s[12:13], 0x0
	s_lshl_b64 s[0:1], s[10:11], 2
	s_waitcnt lgkmcnt(0)
	s_add_u32 s0, s16, s0
	s_addc_u32 s1, s17, s1
	s_lshl_b32 s26, s6, 6
	v_add_u32_e32 v19, s26, v0
	v_mul_lo_u32 v3, s7, v19
	s_ashr_i32 s42, s21, 31
	s_lshr_b32 s3, s42, 26
	s_add_i32 s3, s21, s3
	v_ashrrev_i32_e32 v4, 31, v3
	s_andn2_b32 s3, s3, 63
	v_lshlrev_b64 v[3:4], 2, v[3:4]
	s_add_i32 s2, s33, -1
	s_sub_i32 s3, s21, s3
	s_cmp_eq_u32 s6, s2
	v_mov_b32_e32 v1, s1
	v_add_co_u32_e32 v7, vcc, s0, v3
	s_cselect_b32 s24, s3, 0
	v_addc_co_u32_e32 v8, vcc, v1, v4, vcc
	v_cmp_ne_u32_e64 s[0:1], 0, v2
	v_cmp_eq_u32_e64 s[2:3], 0, v2
	s_and_saveexec_b64 s[10:11], s[2:3]
	s_cbranch_execz .LBB149_10
; %bb.7:
	s_cmp_eq_u32 s24, 0
	s_cselect_b64 s[12:13], -1, 0
	v_cmp_gt_i32_e32 vcc, s24, v0
	s_or_b64 s[16:17], s[12:13], vcc
	v_mov_b32_e32 v1, 0
	s_and_saveexec_b64 s[12:13], s[16:17]
	s_cbranch_execz .LBB149_9
; %bb.8:
	flat_load_dword v1, v[7:8]
.LBB149_9:
	s_or_b64 exec, exec, s[12:13]
	v_lshlrev_b32_e32 v3, 2, v0
	s_waitcnt vmcnt(0) lgkmcnt(0)
	ds_write_b32 v3, v1 offset:4544
.LBB149_10:
	s_or_b64 exec, exec, s[10:11]
	s_load_dword s22, s[4:5], 0x28
	v_lshl_add_u32 v17, v2, 6, v0
	v_and_b32_e32 v1, 31, v0
	v_lshrrev_b32_e32 v13, 5, v17
	s_lshl_b64 s[10:11], s[14:15], 2
	s_waitcnt lgkmcnt(0)
	v_mad_u64_u32 v[3:4], s[4:5], s22, v13, v[1:2]
	s_add_u32 s8, s8, s10
	s_addc_u32 s9, s9, s11
	s_ashr_i32 s27, s26, 31
	v_ashrrev_i32_e32 v4, 31, v3
	s_lshl_b64 s[4:5], s[26:27], 2
	v_lshlrev_b64 v[9:10], 2, v[3:4]
	s_add_u32 s4, s8, s4
	s_addc_u32 s5, s9, s5
	v_add_co_u32_e32 v4, vcc, s4, v9
	s_mul_i32 s4, s22, s26
	v_mov_b32_e32 v3, s5
	s_ashr_i32 s5, s4, 31
	v_addc_co_u32_e32 v5, vcc, v3, v10, vcc
	s_lshl_b64 s[30:31], s[4:5], 2
	v_mov_b32_e32 v6, s31
	v_add_co_u32_e32 v3, vcc, s30, v4
	s_cmp_lg_u32 s24, 0
	v_addc_co_u32_e32 v4, vcc, v5, v6, vcc
	s_cselect_b64 s[34:35], -1, 0
	s_cmp_eq_u32 s24, 0
	s_cselect_b64 s[16:17], -1, 0
	s_mov_b64 s[4:5], -1
	s_and_b64 vcc, exec, s[34:35]
	s_cbranch_vccnz .LBB149_12
; %bb.11:
	s_lshl_b32 s4, s22, 3
	s_ashr_i32 s5, s4, 31
	s_lshl_b64 s[4:5], s[4:5], 2
	v_mov_b32_e32 v6, s5
	v_add_co_u32_e32 v5, vcc, s4, v3
	s_ashr_i32 s23, s22, 31
	v_addc_co_u32_e32 v6, vcc, v4, v6, vcc
	s_lshl_b64 s[4:5], s[22:23], 5
	v_mov_b32_e32 v15, s5
	v_add_co_u32_e32 v11, vcc, s4, v5
	v_addc_co_u32_e32 v12, vcc, v6, v15, vcc
	v_add_co_u32_e32 v14, vcc, s4, v11
	v_addc_co_u32_e32 v15, vcc, v12, v15, vcc
	flat_load_dword v16, v[3:4]
	flat_load_dword v18, v[5:6]
	;; [unrolled: 1-line block ×4, first 2 shown]
	v_mul_u32_u24_e32 v5, 0x84, v13
	v_lshl_add_u32 v5, v1, 2, v5
	s_mov_b64 s[4:5], 0
	s_waitcnt vmcnt(0) lgkmcnt(0)
	ds_write_b32 v5, v16
	ds_write_b32 v5, v18 offset:1056
	ds_write_b32 v5, v20 offset:2112
	;; [unrolled: 1-line block ×3, first 2 shown]
.LBB149_12:
	s_andn2_b64 vcc, exec, s[4:5]
	v_lshlrev_b32_e32 v14, 2, v1
	s_cbranch_vccnz .LBB149_22
; %bb.13:
	v_sub_co_u32_e32 v5, vcc, v3, v14
	s_ashr_i32 s25, s24, 31
	v_subbrev_co_u32_e32 v6, vcc, 0, v4, vcc
	s_lshl_b64 s[8:9], s[24:25], 2
	v_mov_b32_e32 v11, s9
	v_add_co_u32_e32 v5, vcc, s8, v5
	v_addc_co_u32_e32 v6, vcc, v6, v11, vcc
	v_add_co_u32_e32 v5, vcc, -4, v5
	v_addc_co_u32_e32 v6, vcc, -1, v6, vcc
	v_cmp_gt_i32_e32 vcc, s24, v1
	v_mov_b32_e32 v12, 0
	v_cndmask_b32_e32 v6, v6, v4, vcc
	v_cndmask_b32_e32 v5, v5, v3, vcc
	v_cmp_gt_i32_e64 s[4:5], s24, v13
	v_mov_b32_e32 v15, 0
	s_and_saveexec_b64 s[10:11], s[4:5]
	s_cbranch_execz .LBB149_15
; %bb.14:
	flat_load_dword v15, v[5:6]
.LBB149_15:
	s_or_b64 exec, exec, s[10:11]
	s_movk_i32 s4, 0x84
	v_mad_u32_u24 v16, v13, s4, v14
	s_waitcnt vmcnt(0) lgkmcnt(0)
	ds_write_b32 v16, v15
	v_add_u32_e32 v15, 8, v13
	v_mul_u32_u24_e32 v11, 0x84, v13
	v_cmp_gt_i32_e64 s[4:5], s24, v15
	s_and_saveexec_b64 s[10:11], s[4:5]
	s_cbranch_execz .LBB149_17
; %bb.16:
	s_lshl_b32 s4, s22, 3
	s_ashr_i32 s5, s4, 31
	s_lshl_b64 s[4:5], s[4:5], 2
	v_mov_b32_e32 v12, s5
	v_add_co_u32_e64 v15, s[4:5], s4, v5
	v_addc_co_u32_e64 v16, s[4:5], v6, v12, s[4:5]
	flat_load_dword v12, v[15:16]
.LBB149_17:
	s_or_b64 exec, exec, s[10:11]
	v_add_u32_e32 v11, v11, v14
	s_waitcnt vmcnt(0) lgkmcnt(0)
	ds_write_b32 v11, v12 offset:1056
	v_add_u32_e32 v12, 16, v13
	v_cmp_gt_i32_e64 s[4:5], s24, v12
	v_mov_b32_e32 v12, 0
	v_mov_b32_e32 v15, 0
	s_and_saveexec_b64 s[10:11], s[4:5]
	s_cbranch_execz .LBB149_19
; %bb.18:
	s_lshl_b32 s4, s22, 4
	s_ashr_i32 s5, s4, 31
	s_lshl_b64 s[4:5], s[4:5], 2
	v_mov_b32_e32 v16, s5
	v_add_co_u32_e64 v15, s[4:5], s4, v5
	v_addc_co_u32_e64 v16, s[4:5], v6, v16, s[4:5]
	flat_load_dword v15, v[15:16]
.LBB149_19:
	s_or_b64 exec, exec, s[10:11]
	s_waitcnt vmcnt(0) lgkmcnt(0)
	ds_write_b32 v11, v15 offset:2112
	v_add_u32_e32 v15, 24, v13
	v_cmp_gt_i32_e64 s[4:5], s24, v15
	s_and_saveexec_b64 s[10:11], s[4:5]
	s_cbranch_execz .LBB149_21
; %bb.20:
	s_mul_i32 s4, s22, 24
	s_ashr_i32 s5, s4, 31
	s_lshl_b64 s[4:5], s[4:5], 2
	v_mov_b32_e32 v12, s5
	v_add_co_u32_e64 v15, s[4:5], s4, v5
	v_addc_co_u32_e64 v16, s[4:5], v6, v12, s[4:5]
	flat_load_dword v12, v[15:16]
.LBB149_21:
	s_or_b64 exec, exec, s[10:11]
	v_add_co_u32_e64 v5, s[4:5], v5, v14
	v_addc_co_u32_e64 v6, s[4:5], 0, v6, s[4:5]
	s_waitcnt vmcnt(0) lgkmcnt(0)
	ds_write_b32 v11, v12 offset:3168
	v_mov_b32_e32 v11, s9
	v_subrev_co_u32_e64 v5, s[4:5], s8, v5
	v_subb_co_u32_e64 v6, s[4:5], v6, v11, s[4:5]
	v_add_co_u32_e64 v5, s[4:5], 4, v5
	v_addc_co_u32_e64 v6, s[4:5], 0, v6, s[4:5]
	v_cndmask_b32_e32 v4, v6, v4, vcc
	v_cndmask_b32_e32 v3, v5, v3, vcc
.LBB149_22:
	v_lshlrev_b32_e32 v5, 2, v13
	v_lshl_or_b32 v6, v1, 7, v14
	v_cmp_lt_u32_e64 s[18:19], v5, v1
	s_waitcnt lgkmcnt(0)
	s_barrier
	s_and_saveexec_b64 s[4:5], s[18:19]
	s_cbranch_execz .LBB149_24
; %bb.23:
	s_movk_i32 s8, 0x210
	v_mad_u32_u24 v11, v13, s8, v14
	ds_read_b32 v11, v11
	v_lshl_add_u32 v12, v5, 2, v6
	s_waitcnt lgkmcnt(0)
	ds_write_b32 v12, v11
.LBB149_24:
	s_or_b64 exec, exec, s[4:5]
	v_or_b32_e32 v11, 1, v5
	v_cmp_lt_u32_e64 s[8:9], v11, v1
	s_and_saveexec_b64 s[4:5], s[8:9]
	s_cbranch_execz .LBB149_26
; %bb.25:
	s_movk_i32 s10, 0x84
	v_mad_u32_u24 v12, v11, s10, v14
	ds_read_b32 v12, v12
	v_lshl_add_u32 v15, v5, 2, v6
	s_waitcnt lgkmcnt(0)
	ds_write_b32 v15, v12 offset:4
.LBB149_26:
	s_or_b64 exec, exec, s[4:5]
	v_or_b32_e32 v12, 2, v5
	v_cmp_lt_u32_e64 s[10:11], v12, v1
	s_and_saveexec_b64 s[4:5], s[10:11]
	s_cbranch_execz .LBB149_28
; %bb.27:
	s_movk_i32 s12, 0x84
	v_mad_u32_u24 v12, v12, s12, v14
	ds_read_b32 v12, v12
	v_lshl_add_u32 v15, v5, 2, v6
	s_waitcnt lgkmcnt(0)
	ds_write_b32 v15, v12 offset:8
.LBB149_28:
	s_or_b64 exec, exec, s[4:5]
	v_or_b32_e32 v15, 3, v5
	v_cmp_lt_u32_e64 s[12:13], v15, v1
	v_cmp_ge_u32_e32 vcc, v15, v1
                                        ; implicit-def: $vgpr12
	s_and_saveexec_b64 s[4:5], vcc
	s_xor_b64 s[4:5], exec, s[4:5]
; %bb.29:
	v_mul_u32_u24_e32 v12, 0x84, v15
                                        ; implicit-def: $vgpr6
                                        ; implicit-def: $vgpr15
; %bb.30:
	s_andn2_saveexec_b64 s[4:5], s[4:5]
	s_cbranch_execz .LBB149_32
; %bb.31:
	s_movk_i32 s14, 0x84
	v_mad_u32_u24 v12, v15, s14, v14
	ds_read_b32 v16, v12
	v_lshl_add_u32 v6, v5, 2, v6
	v_mul_u32_u24_e32 v12, 0x84, v15
	s_waitcnt lgkmcnt(0)
	ds_write_b32 v6, v16 offset:12
.LBB149_32:
	s_or_b64 exec, exec, s[4:5]
	s_movk_i32 s4, 0x210
	v_mad_u32_u24 v15, v13, s4, v14
	s_movk_i32 s4, 0x84
	s_waitcnt lgkmcnt(0)
	s_barrier
	v_lshlrev_b32_e32 v6, 2, v5
	ds_read_b32 v18, v15
	ds_read_b128 v[23:26], v6 offset:4544
	v_mad_u32_u24 v15, v11, s4, v14
	ds_read2_b32 v[15:16], v15 offset1:33
	v_add_u32_e32 v12, v14, v12
	ds_read_b32 v20, v12
	s_waitcnt lgkmcnt(2)
	v_fma_f32 v21, v18, v23, 0
	v_mov_b32_e32 v22, 0
	s_waitcnt lgkmcnt(1)
	v_fmac_f32_e32 v21, v15, v24
	v_mul_u32_u24_e32 v15, 33, v1
	v_fmac_f32_e32 v21, v16, v25
	v_lshlrev_b32_e32 v18, 2, v15
	s_waitcnt lgkmcnt(0)
	v_fmac_f32_e32 v21, v20, v26
	v_lshl_add_u32 v20, v13, 2, v18
	v_cmp_gt_u32_e64 s[4:5], 32, v17
	s_barrier
	ds_write_b32 v20, v21
	s_waitcnt lgkmcnt(0)
	s_barrier
	s_and_saveexec_b64 s[14:15], s[4:5]
	s_cbranch_execz .LBB149_34
; %bb.33:
	ds_read2_b32 v[15:16], v18 offset1:1
	ds_read2_b32 v[21:22], v18 offset0:2 offset1:3
	ds_read2_b32 v[23:24], v18 offset0:4 offset1:5
	;; [unrolled: 1-line block ×3, first 2 shown]
	s_waitcnt lgkmcnt(3)
	v_add_f32_e32 v15, v15, v16
	s_waitcnt lgkmcnt(2)
	v_add_f32_e32 v15, v15, v21
	v_add_f32_e32 v15, v15, v22
	s_waitcnt lgkmcnt(1)
	v_add_f32_e32 v15, v15, v23
	;; [unrolled: 3-line block ×3, first 2 shown]
	v_add_f32_e32 v22, v15, v26
.LBB149_34:
	s_or_b64 exec, exec, s[14:15]
	s_lshl_b32 s14, s22, 5
	s_ashr_i32 s15, s14, 31
	s_lshl_b64 s[36:37], s[14:15], 2
	v_mov_b32_e32 v15, s37
	v_add_co_u32_e32 v3, vcc, s36, v3
	v_addc_co_u32_e32 v4, vcc, v4, v15, vcc
	v_add_co_u32_e32 v15, vcc, 0x80, v3
	v_addc_co_u32_e32 v16, vcc, 0, v4, vcc
	v_cndmask_b32_e64 v21, 0, 1, s[16:17]
	v_cmp_ne_u32_e64 s[14:15], 1, v21
	s_andn2_b64 vcc, exec, s[16:17]
	s_mov_b64 s[16:17], -1
	s_barrier
	s_cbranch_vccnz .LBB149_36
; %bb.35:
	s_lshl_b32 s16, s22, 3
	s_ashr_i32 s17, s16, 31
	s_lshl_b64 s[16:17], s[16:17], 2
	v_mov_b32_e32 v21, s17
	v_add_co_u32_e32 v23, vcc, s16, v3
	s_ashr_i32 s23, s22, 31
	v_addc_co_u32_e32 v24, vcc, v4, v21, vcc
	s_lshl_b64 s[16:17], s[22:23], 5
	v_mov_b32_e32 v21, s17
	v_add_co_u32_e32 v25, vcc, s16, v23
	v_addc_co_u32_e32 v26, vcc, v24, v21, vcc
	v_add_co_u32_e32 v27, vcc, s16, v25
	v_addc_co_u32_e32 v28, vcc, v26, v21, vcc
	flat_load_dword v21, v[3:4] offset:128
	flat_load_dword v29, v[23:24] offset:128
	;; [unrolled: 1-line block ×4, first 2 shown]
	s_movk_i32 s16, 0x84
	v_mad_u32_u24 v23, v13, s16, v14
	s_mov_b64 s[16:17], 0
	s_waitcnt vmcnt(0) lgkmcnt(0)
	ds_write_b32 v23, v21
	ds_write_b32 v23, v29 offset:1056
	ds_write_b32 v23, v30 offset:2112
	;; [unrolled: 1-line block ×3, first 2 shown]
.LBB149_36:
	s_andn2_b64 vcc, exec, s[16:17]
	s_cbranch_vccnz .LBB149_46
; %bb.37:
	v_sub_co_u32_e32 v3, vcc, v3, v14
	s_ashr_i32 s25, s24, 31
	v_subbrev_co_u32_e32 v4, vcc, 0, v4, vcc
	s_lshl_b64 s[38:39], s[24:25], 2
	v_mov_b32_e32 v24, s39
	v_add_co_u32_e32 v3, vcc, s38, v3
	v_addc_co_u32_e32 v4, vcc, v4, v24, vcc
	v_or_b32_e32 v21, 32, v1
	v_add_co_u32_e32 v3, vcc, -4, v3
	v_addc_co_u32_e32 v4, vcc, -1, v4, vcc
	v_cmp_gt_i32_e64 s[16:17], s24, v21
	s_sub_i32 s23, s24, 32
	v_mov_b32_e32 v23, 0
	v_cndmask_b32_e64 v4, v4, v16, s[16:17]
	v_cndmask_b32_e64 v3, v3, v15, s[16:17]
	v_cmp_gt_i32_e32 vcc, s23, v13
	v_mov_b32_e32 v24, 0
	s_and_saveexec_b64 s[40:41], vcc
	s_cbranch_execz .LBB149_39
; %bb.38:
	flat_load_dword v24, v[3:4]
.LBB149_39:
	s_or_b64 exec, exec, s[40:41]
	s_movk_i32 s25, 0x84
	v_mad_u32_u24 v25, v13, s25, v14
	s_waitcnt vmcnt(0) lgkmcnt(0)
	ds_write_b32 v25, v24
	v_add_u32_e32 v24, 8, v13
	v_mul_u32_u24_e32 v21, 0x84, v13
	v_cmp_gt_i32_e32 vcc, s23, v24
	s_and_saveexec_b64 s[40:41], vcc
	s_cbranch_execz .LBB149_41
; %bb.40:
	s_lshl_b32 s44, s22, 3
	s_ashr_i32 s45, s44, 31
	s_lshl_b64 s[44:45], s[44:45], 2
	v_mov_b32_e32 v24, s45
	v_add_co_u32_e32 v23, vcc, s44, v3
	v_addc_co_u32_e32 v24, vcc, v4, v24, vcc
	flat_load_dword v23, v[23:24]
.LBB149_41:
	s_or_b64 exec, exec, s[40:41]
	v_add_u32_e32 v21, v21, v14
	s_waitcnt vmcnt(0) lgkmcnt(0)
	ds_write_b32 v21, v23 offset:1056
	v_add_u32_e32 v23, 16, v13
	v_cmp_gt_i32_e32 vcc, s23, v23
	v_mov_b32_e32 v23, 0
	v_mov_b32_e32 v24, 0
	s_and_saveexec_b64 s[40:41], vcc
	s_cbranch_execz .LBB149_43
; %bb.42:
	s_lshl_b32 s44, s22, 4
	s_ashr_i32 s45, s44, 31
	s_lshl_b64 s[44:45], s[44:45], 2
	v_mov_b32_e32 v25, s45
	v_add_co_u32_e32 v24, vcc, s44, v3
	v_addc_co_u32_e32 v25, vcc, v4, v25, vcc
	flat_load_dword v24, v[24:25]
.LBB149_43:
	s_or_b64 exec, exec, s[40:41]
	s_waitcnt vmcnt(0) lgkmcnt(0)
	ds_write_b32 v21, v24 offset:2112
	v_add_u32_e32 v24, 24, v13
	v_cmp_gt_i32_e32 vcc, s23, v24
	s_and_saveexec_b64 s[40:41], vcc
	s_cbranch_execz .LBB149_45
; %bb.44:
	s_mul_i32 s44, s22, 24
	s_ashr_i32 s45, s44, 31
	s_lshl_b64 s[44:45], s[44:45], 2
	v_mov_b32_e32 v24, s45
	v_add_co_u32_e32 v23, vcc, s44, v3
	v_addc_co_u32_e32 v24, vcc, v4, v24, vcc
	flat_load_dword v23, v[23:24]
.LBB149_45:
	s_or_b64 exec, exec, s[40:41]
	v_add_co_u32_e32 v3, vcc, v3, v14
	v_addc_co_u32_e32 v4, vcc, 0, v4, vcc
	s_waitcnt vmcnt(0) lgkmcnt(0)
	ds_write_b32 v21, v23 offset:3168
	v_mov_b32_e32 v21, s39
	v_subrev_co_u32_e32 v3, vcc, s38, v3
	v_subb_co_u32_e32 v4, vcc, v4, v21, vcc
	v_add_co_u32_e32 v3, vcc, 0x84, v3
	v_addc_co_u32_e32 v4, vcc, 0, v4, vcc
	v_cndmask_b32_e64 v16, v4, v16, s[16:17]
	v_cndmask_b32_e64 v15, v3, v15, s[16:17]
.LBB149_46:
	v_mul_u32_u24_e32 v3, 0x210, v13
	v_add_u32_e32 v6, 0x11c0, v6
	v_mul_u32_u24_e32 v4, 0x84, v11
	v_add_u32_e32 v3, v14, v3
	s_waitcnt lgkmcnt(0)
	s_barrier
	s_and_saveexec_b64 s[16:17], s[18:19]
	s_cbranch_execnz .LBB149_55
; %bb.47:
	s_or_b64 exec, exec, s[16:17]
	v_add_u32_e32 v4, v14, v4
	s_and_saveexec_b64 s[16:17], s[8:9]
	s_cbranch_execnz .LBB149_56
.LBB149_48:
	s_or_b64 exec, exec, s[16:17]
	s_and_saveexec_b64 s[8:9], s[10:11]
	s_cbranch_execnz .LBB149_57
.LBB149_49:
	s_or_b64 exec, exec, s[8:9]
	s_and_saveexec_b64 s[8:9], s[12:13]
	s_cbranch_execz .LBB149_51
.LBB149_50:
	ds_read_b32 v11, v12
	v_lshl_add_u32 v21, v5, 2, v18
	s_waitcnt lgkmcnt(0)
	ds_write_b32 v21, v11 offset:12
.LBB149_51:
	s_or_b64 exec, exec, s[8:9]
	s_waitcnt lgkmcnt(0)
	s_barrier
	ds_read_b32 v11, v3
	ds_read_b128 v[23:26], v6 offset:128
	ds_read2_b32 v[3:4], v4 offset1:33
	ds_read_b32 v12, v12
	v_cmp_eq_u32_e64 s[10:11], 1, v13
	s_waitcnt lgkmcnt(0)
	v_fma_f32 v11, v11, v23, 0
	v_fmac_f32_e32 v11, v3, v24
	v_fmac_f32_e32 v11, v4, v25
	;; [unrolled: 1-line block ×3, first 2 shown]
	s_barrier
	ds_write_b32 v20, v11
	s_waitcnt lgkmcnt(0)
	s_barrier
	s_and_saveexec_b64 s[8:9], s[10:11]
	s_cbranch_execz .LBB149_53
; %bb.52:
	ds_read2_b32 v[3:4], v18 offset1:1
	ds_read2_b32 v[11:12], v18 offset0:2 offset1:3
	ds_read2_b32 v[21:22], v18 offset0:4 offset1:5
	;; [unrolled: 1-line block ×3, first 2 shown]
	s_waitcnt lgkmcnt(3)
	v_add_f32_e32 v3, v3, v4
	s_waitcnt lgkmcnt(2)
	v_add_f32_e32 v3, v3, v11
	v_add_f32_e32 v3, v3, v12
	s_waitcnt lgkmcnt(1)
	v_add_f32_e32 v3, v3, v21
	;; [unrolled: 3-line block ×3, first 2 shown]
	v_add_f32_e32 v22, v3, v24
.LBB149_53:
	s_or_b64 exec, exec, s[8:9]
	v_mov_b32_e32 v3, s37
	v_subrev_co_u32_e64 v11, s[8:9], s36, v15
	s_and_b64 vcc, exec, s[14:15]
	v_subb_co_u32_e64 v12, s[8:9], v16, v3, s[8:9]
	s_barrier
	s_cbranch_vccnz .LBB149_58
; %bb.54:
	s_lshl_b32 s8, s22, 3
	s_ashr_i32 s9, s8, 31
	s_lshl_b64 s[8:9], s[8:9], 2
	v_mov_b32_e32 v4, s9
	v_add_co_u32_e32 v3, vcc, s8, v11
	s_ashr_i32 s23, s22, 31
	v_addc_co_u32_e32 v4, vcc, v12, v4, vcc
	s_lshl_b64 s[8:9], s[22:23], 5
	v_mov_b32_e32 v21, s9
	v_add_co_u32_e32 v15, vcc, s8, v3
	v_addc_co_u32_e32 v16, vcc, v4, v21, vcc
	v_add_co_u32_e32 v23, vcc, s8, v15
	v_addc_co_u32_e32 v24, vcc, v16, v21, vcc
	flat_load_dword v27, v[11:12]
	flat_load_dword v28, v[3:4]
	;; [unrolled: 1-line block ×4, first 2 shown]
	s_movk_i32 s8, 0x84
	v_mov_b32_e32 v3, 0x420
	v_mov_b32_e32 v4, 0x840
	;; [unrolled: 1-line block ×3, first 2 shown]
	v_mul_u32_u24_e32 v16, 0x84, v13
	v_add_u32_e32 v15, 8, v13
	v_add_u32_e32 v21, 16, v13
	;; [unrolled: 1-line block ×3, first 2 shown]
	v_mad_u32_u24 v31, v13, s8, v14
	v_mad_u32_u24 v23, v13, s8, v3
	;; [unrolled: 1-line block ×4, first 2 shown]
	v_add_u32_e32 v3, v14, v23
	v_add_u32_e32 v4, v14, v25
	;; [unrolled: 1-line block ×3, first 2 shown]
	s_waitcnt vmcnt(0) lgkmcnt(0)
	ds_write_b32 v31, v27
	ds_write_b32 v3, v28
	;; [unrolled: 1-line block ×4, first 2 shown]
	s_cbranch_execz .LBB149_59
	s_branch .LBB149_68
.LBB149_55:
	ds_read_b32 v11, v3
	v_lshl_add_u32 v21, v5, 2, v18
	s_waitcnt lgkmcnt(0)
	ds_write_b32 v21, v11
	s_or_b64 exec, exec, s[16:17]
	v_add_u32_e32 v4, v14, v4
	s_and_saveexec_b64 s[16:17], s[8:9]
	s_cbranch_execz .LBB149_48
.LBB149_56:
	ds_read_b32 v11, v4
	v_lshl_add_u32 v21, v5, 2, v18
	s_waitcnt lgkmcnt(0)
	ds_write_b32 v21, v11 offset:4
	s_or_b64 exec, exec, s[16:17]
	s_and_saveexec_b64 s[8:9], s[10:11]
	s_cbranch_execz .LBB149_49
.LBB149_57:
	ds_read_b32 v11, v4 offset:132
	v_lshl_add_u32 v21, v5, 2, v18
	s_waitcnt lgkmcnt(0)
	ds_write_b32 v21, v11 offset:8
	s_or_b64 exec, exec, s[8:9]
	s_and_saveexec_b64 s[8:9], s[12:13]
	s_cbranch_execnz .LBB149_50
	s_branch .LBB149_51
.LBB149_58:
                                        ; implicit-def: $vgpr16
                                        ; implicit-def: $vgpr15
                                        ; implicit-def: $vgpr23
                                        ; implicit-def: $vgpr21
                                        ; implicit-def: $vgpr25
                                        ; implicit-def: $vgpr24
                                        ; implicit-def: $vgpr26
.LBB149_59:
	v_or_b32_e32 v3, 32, v1
	v_lshlrev_b32_e32 v4, 2, v3
	v_sub_co_u32_e32 v4, vcc, v11, v4
	s_ashr_i32 s25, s24, 31
	v_subbrev_co_u32_e32 v15, vcc, 0, v12, vcc
	s_lshl_b64 s[12:13], s[24:25], 2
	v_mov_b32_e32 v16, s13
	v_add_co_u32_e32 v4, vcc, s12, v4
	v_addc_co_u32_e32 v15, vcc, v15, v16, vcc
	v_add_co_u32_e32 v16, vcc, -4, v4
	v_addc_co_u32_e32 v4, vcc, -1, v15, vcc
	v_cmp_gt_i32_e64 s[8:9], s24, v3
	v_mov_b32_e32 v1, 0
	v_cndmask_b32_e64 v4, v4, v12, s[8:9]
	v_cndmask_b32_e64 v3, v16, v11, s[8:9]
	v_cmp_gt_i32_e32 vcc, s24, v13
	v_mov_b32_e32 v15, 0
	s_and_saveexec_b64 s[14:15], vcc
	s_cbranch_execz .LBB149_61
; %bb.60:
	flat_load_dword v15, v[3:4]
.LBB149_61:
	s_or_b64 exec, exec, s[14:15]
	s_movk_i32 s14, 0x84
	v_mad_u32_u24 v21, v13, s14, v14
	s_waitcnt vmcnt(0) lgkmcnt(0)
	ds_write_b32 v21, v15
	v_add_u32_e32 v15, 8, v13
	v_mul_u32_u24_e32 v16, 0x84, v13
	v_cmp_gt_i32_e32 vcc, s24, v15
	s_and_saveexec_b64 s[14:15], vcc
	s_cbranch_execz .LBB149_63
; %bb.62:
	s_lshl_b32 s16, s22, 3
	s_ashr_i32 s17, s16, 31
	s_lshl_b64 s[16:17], s[16:17], 2
	v_mov_b32_e32 v1, s17
	v_add_co_u32_e32 v23, vcc, s16, v3
	v_addc_co_u32_e32 v24, vcc, v4, v1, vcc
	flat_load_dword v1, v[23:24]
.LBB149_63:
	s_or_b64 exec, exec, s[14:15]
	v_add_u32_e32 v23, 0x420, v16
	v_add_u32_e32 v21, v14, v23
	s_waitcnt vmcnt(0) lgkmcnt(0)
	ds_write_b32 v21, v1
	v_add_u32_e32 v21, 16, v13
	v_cmp_gt_i32_e32 vcc, s24, v21
	v_mov_b32_e32 v1, 0
	v_mov_b32_e32 v24, 0
	s_and_saveexec_b64 s[14:15], vcc
	s_cbranch_execz .LBB149_65
; %bb.64:
	s_lshl_b32 s16, s22, 4
	s_ashr_i32 s17, s16, 31
	s_lshl_b64 s[16:17], s[16:17], 2
	v_mov_b32_e32 v25, s17
	v_add_co_u32_e32 v24, vcc, s16, v3
	v_addc_co_u32_e32 v25, vcc, v4, v25, vcc
	flat_load_dword v24, v[24:25]
.LBB149_65:
	s_or_b64 exec, exec, s[14:15]
	v_add_u32_e32 v25, 0x420, v23
	v_add_u32_e32 v26, v14, v25
	s_waitcnt vmcnt(0) lgkmcnt(0)
	ds_write_b32 v26, v24
	v_add_u32_e32 v24, 24, v13
	v_cmp_gt_i32_e32 vcc, s24, v24
	s_and_saveexec_b64 s[14:15], vcc
	s_cbranch_execz .LBB149_67
; %bb.66:
	s_mul_i32 s16, s22, 24
	s_ashr_i32 s17, s16, 31
	s_lshl_b64 s[16:17], s[16:17], 2
	v_mov_b32_e32 v1, s17
	v_add_co_u32_e32 v26, vcc, s16, v3
	v_addc_co_u32_e32 v27, vcc, v4, v1, vcc
	flat_load_dword v1, v[26:27]
.LBB149_67:
	s_or_b64 exec, exec, s[14:15]
	v_add_u32_e32 v26, 0x420, v25
	v_add_u32_e32 v13, v14, v26
	s_waitcnt vmcnt(0) lgkmcnt(0)
	ds_write_b32 v13, v1
	v_add_co_u32_e32 v1, vcc, v3, v14
	v_addc_co_u32_e32 v3, vcc, 0, v4, vcc
	v_mov_b32_e32 v4, s13
	v_subrev_co_u32_e32 v1, vcc, s12, v1
	v_subb_co_u32_e32 v3, vcc, v3, v4, vcc
	v_add_co_u32_e32 v1, vcc, 0x84, v1
	v_addc_co_u32_e32 v3, vcc, 0, v3, vcc
	v_cndmask_b32_e64 v12, v3, v12, s[8:9]
	v_cndmask_b32_e64 v11, v1, v11, s[8:9]
.LBB149_68:
	v_add_u32_e32 v1, v14, v16
	s_waitcnt lgkmcnt(0)
	s_barrier
	v_add_u32_e32 v3, v14, v23
	ds_read_b32 v1, v1
	ds_read_b32 v23, v5 offset:4544
	ds_read_b32 v27, v3
	v_lshlrev_b32_e32 v3, 2, v15
	v_add_u32_e32 v4, v14, v25
	v_lshlrev_b32_e32 v13, 2, v21
	v_add_u32_e32 v14, v14, v26
	v_lshlrev_b32_e32 v15, 2, v24
	s_waitcnt lgkmcnt(1)
	v_fma_f32 v1, v1, v23, 0
	v_lshl_add_u32 v21, v5, 2, v18
	ds_read_b32 v24, v3 offset:4544
	ds_read_b32 v25, v4
	ds_read_b32 v26, v13 offset:4544
	ds_read_b32 v28, v14
	ds_read_b32 v29, v15 offset:4544
	ds_read2_b32 v[15:16], v21 offset1:1
	ds_read_b128 v[3:6], v6 offset:128
	ds_read2_b32 v[13:14], v21 offset0:2 offset1:3
	s_waitcnt lgkmcnt(7)
	v_fmac_f32_e32 v1, v27, v24
	s_waitcnt lgkmcnt(5)
	v_fmac_f32_e32 v1, v25, v26
	;; [unrolled: 2-line block ×3, first 2 shown]
	s_waitcnt lgkmcnt(0)
	s_barrier
	ds_write_b32 v20, v1
	s_waitcnt lgkmcnt(0)
	s_barrier
	s_and_saveexec_b64 s[8:9], s[10:11]
	s_cbranch_execz .LBB149_70
; %bb.69:
	ds_read2_b32 v[23:24], v18 offset1:1
	ds_read2_b32 v[25:26], v18 offset0:2 offset1:3
	ds_read2_b32 v[27:28], v18 offset0:4 offset1:5
	;; [unrolled: 1-line block ×3, first 2 shown]
	s_waitcnt lgkmcnt(3)
	v_add_f32_e32 v1, v22, v23
	v_add_f32_e32 v1, v1, v24
	s_waitcnt lgkmcnt(2)
	v_add_f32_e32 v1, v1, v25
	v_add_f32_e32 v1, v1, v26
	;; [unrolled: 3-line block ×4, first 2 shown]
.LBB149_70:
	s_or_b64 exec, exec, s[8:9]
	v_fma_f32 v1, v15, v3, 0
	v_fmac_f32_e32 v1, v16, v4
	v_fmac_f32_e32 v1, v13, v5
	;; [unrolled: 1-line block ×3, first 2 shown]
	s_barrier
	ds_write_b32 v20, v1
	s_waitcnt lgkmcnt(0)
	s_barrier
	s_and_saveexec_b64 s[8:9], s[4:5]
	s_cbranch_execz .LBB149_72
; %bb.71:
	ds_read2_b32 v[3:4], v18 offset1:1
	ds_read2_b32 v[5:6], v18 offset0:2 offset1:3
	ds_read2_b32 v[13:14], v18 offset0:4 offset1:5
	;; [unrolled: 1-line block ×3, first 2 shown]
	s_waitcnt lgkmcnt(3)
	v_add_f32_e32 v1, v22, v3
	v_add_f32_e32 v1, v1, v4
	s_waitcnt lgkmcnt(2)
	v_add_f32_e32 v1, v1, v5
	v_add_f32_e32 v1, v1, v6
	;; [unrolled: 3-line block ×4, first 2 shown]
.LBB149_72:
	s_or_b64 exec, exec, s[8:9]
	s_mul_hi_u32 s4, s21, s20
	s_mul_i32 s42, s42, s20
	s_add_i32 s4, s4, s42
	s_mul_i32 s8, s21, s20
	s_mul_i32 s4, s4, s33
	s_mul_hi_u32 s5, s8, s33
	s_add_i32 s5, s5, s4
	s_mul_i32 s4, s8, s33
	s_lshl_b64 s[4:5], s[4:5], 2
	s_add_u32 s8, s28, s4
	s_mul_i32 s4, s21, s6
	s_addc_u32 s9, s29, s5
	s_ashr_i32 s5, s4, 31
	s_lshl_b64 s[4:5], s[4:5], 2
	s_add_u32 s27, s8, s4
	v_cmp_le_i32_e32 vcc, s24, v0
	s_addc_u32 s28, s9, s5
	s_and_b64 s[4:5], s[34:35], vcc
	s_cmp_lt_i32 s6, 1
	v_lshlrev_b32_e32 v23, 2, v0
	s_barrier
	s_cbranch_scc1 .LBB149_79
; %bb.73:
	s_mul_i32 s8, s7, s26
	s_ashr_i32 s9, s8, 31
	s_lshl_b64 s[8:9], s[8:9], 2
	v_mov_b32_e32 v1, s9
	v_subrev_co_u32_e32 v24, vcc, s8, v7
	v_subb_co_u32_e32 v25, vcc, v8, v1, vcc
	v_mov_b32_e32 v1, s31
	v_subrev_co_u32_e32 v3, vcc, s30, v11
	v_mul_lo_u32 v4, v2, s22
	v_subb_co_u32_e32 v1, vcc, v12, v1, vcc
	v_add_co_u32_e32 v3, vcc, 0xffffff80, v3
	v_addc_co_u32_e32 v1, vcc, -1, v1, vcc
	v_sub_co_u32_e32 v6, vcc, v3, v9
	v_lshl_add_u32 v3, v4, 2, v0
	v_ashrrev_i32_e32 v4, 31, v3
	v_lshlrev_b64 v[3:4], 2, v[3:4]
	v_subb_co_u32_e32 v1, vcc, v1, v10, vcc
	v_add_co_u32_e32 v3, vcc, v6, v3
	v_addc_co_u32_e32 v4, vcc, v1, v4, vcc
	v_sub_co_u32_e32 v6, vcc, v3, v23
	s_ashr_i32 s25, s24, 31
	v_subbrev_co_u32_e32 v7, vcc, 0, v4, vcc
	s_lshl_b64 s[8:9], s[24:25], 2
	v_mov_b32_e32 v8, s9
	v_add_co_u32_e32 v6, vcc, s8, v6
	v_addc_co_u32_e32 v7, vcc, v7, v8, vcc
	v_add_co_u32_e32 v6, vcc, -4, v6
	v_cndmask_b32_e64 v20, v3, v6, s[4:5]
	s_movk_i32 s8, 0x430
	v_lshrrev_b32_e32 v6, 2, v17
	v_and_b32_e32 v5, 15, v0
	v_mad_u32_u24 v29, v2, s8, v23
	s_movk_i32 s8, 0x10c
	v_and_b32_e32 v6, 0x1ffc, v6
	v_mad_u32_u24 v30, v5, s8, v6
	v_and_b32_e32 v6, 48, v0
	v_lshlrev_b32_e32 v6, 2, v6
	v_addc_co_u32_e32 v7, vcc, -1, v7, vcc
	v_mov_b32_e32 v3, 0x10c0
	v_mad_u32_u24 v31, v5, s8, v6
	v_or_b32_e32 v6, 60, v23
	s_ashr_i32 s23, s22, 31
	v_cndmask_b32_e64 v21, v4, v7, s[4:5]
	v_lshl_add_u32 v27, v2, 4, v3
	v_mul_u32_u24_e32 v3, 0x10c, v5
	v_and_b32_e32 v4, 0x7ff0, v17
	v_mad_u32_u24 v32, v5, s8, v6
	s_lshl_b64 s[10:11], s[22:23], 2
	s_lshl_b64 s[12:13], s[22:23], 3
	;; [unrolled: 1-line block ×3, first 2 shown]
	s_mul_hi_i32 s8, s22, 12
	s_lshl_b64 s[16:17], s[22:23], 6
	s_mul_hi_i32 s9, s22, 0x48
	s_mul_hi_i32 s21, s22, 0x4c
	s_lshl_b64 s[18:19], s[22:23], 7
	s_mul_hi_i32 s23, s22, 0x88
	s_mul_hi_i32 s38, s22, 0x8c
	;; [unrolled: 1-line block ×8, first 2 shown]
	v_mov_b32_e32 v1, 0
	s_lshl_b32 s7, s7, 6
	v_add_u32_e32 v26, 0x10c0, v23
	v_add_u32_e32 v28, 0x11c0, v23
	v_cmp_gt_u32_e32 vcc, 64, v17
	s_mul_i32 s24, s22, 12
	s_mul_i32 s25, s22, 0x48
	s_mul_i32 s26, s22, 0x4c
	s_mul_i32 s29, s22, 0x88
	s_mul_i32 s30, s22, 0x8c
	s_mul_i32 s31, s22, 0xc0
	s_mul_i32 s33, s22, 0xc8
	s_mul_i32 s34, s22, 0xcc
	s_mul_i32 s35, s22, 0xc4
	s_mul_i32 s36, s22, 0x84
	s_mul_i32 s37, s22, 0x44
	s_mov_b32 s20, 0
	v_mov_b32_e32 v33, s11
	v_mov_b32_e32 v34, s13
	;; [unrolled: 1-line block ×3, first 2 shown]
	v_add_u32_e32 v36, v3, v4
	v_mov_b32_e32 v37, s17
	v_mov_b32_e32 v38, s44
	;; [unrolled: 1-line block ×12, first 2 shown]
	s_branch .LBB149_75
.LBB149_74:                             ;   in Loop: Header=BB149_75 Depth=1
	s_or_b64 exec, exec, s[22:23]
	v_fmac_f32_e32 v22, v52, v3
	v_fmac_f32_e32 v22, v50, v4
	;; [unrolled: 1-line block ×15, first 2 shown]
	v_mov_b32_e32 v3, s15
	v_add_co_u32_e64 v20, s[8:9], s14, v20
	s_add_i32 s6, s6, -1
	s_add_i32 s20, s20, s7
	v_fmac_f32_e32 v22, v61, v18
	v_addc_co_u32_e64 v21, s[8:9], v21, v3, s[8:9]
	s_cmp_eq_u32 s6, 0
	v_add_u32_e32 v0, 64, v0
	s_waitcnt vmcnt(0)
	s_barrier
	s_cbranch_scc1 .LBB149_79
.LBB149_75:                             ; =>This Inner Loop Header: Depth=1
	s_and_saveexec_b64 s[22:23], s[2:3]
	s_cbranch_execz .LBB149_77
; %bb.76:                               ;   in Loop: Header=BB149_75 Depth=1
	s_ashr_i32 s21, s20, 31
	s_lshl_b64 s[8:9], s[20:21], 2
	v_mov_b32_e32 v4, s9
	v_add_co_u32_e64 v3, s[8:9], s8, v24
	v_addc_co_u32_e64 v4, s[8:9], v25, v4, s[8:9]
	flat_load_dword v3, v[3:4]
	s_waitcnt vmcnt(0) lgkmcnt(0)
	ds_write_b32 v26, v3
.LBB149_77:                             ;   in Loop: Header=BB149_75 Depth=1
	s_or_b64 exec, exec, s[22:23]
	v_add_co_u32_e64 v3, s[8:9], s10, v20
	v_addc_co_u32_e64 v4, s[8:9], v21, v33, s[8:9]
	v_add_co_u32_e64 v5, s[8:9], s12, v20
	v_addc_co_u32_e64 v6, s[8:9], v21, v34, s[8:9]
	v_add_co_u32_e64 v7, s[8:9], s24, v20
	s_waitcnt lgkmcnt(0)
	s_barrier
	v_addc_co_u32_e64 v8, s[8:9], v21, v35, s[8:9]
	flat_load_dword v52, v[20:21]
	flat_load_dword v50, v[3:4]
	;; [unrolled: 1-line block ×4, first 2 shown]
	v_add_co_u32_e64 v7, s[8:9], s16, v20
	v_addc_co_u32_e64 v8, s[8:9], v21, v37, s[8:9]
	ds_read_b32 v15, v28
	ds_read_b128 v[3:6], v27
	v_add_co_u32_e64 v9, s[8:9], s37, v20
	v_addc_co_u32_e64 v10, s[8:9], v21, v38, s[8:9]
	v_add_co_u32_e64 v11, s[8:9], s25, v20
	v_addc_co_u32_e64 v12, s[8:9], v21, v39, s[8:9]
	;; [unrolled: 2-line block ×3, first 2 shown]
	s_waitcnt vmcnt(0) lgkmcnt(0)
	v_mul_f32_e32 v16, v52, v15
	v_mul_f32_e32 v17, v50, v15
	;; [unrolled: 1-line block ×4, first 2 shown]
	ds_write2_b32 v29, v16, v17 offset1:67
	ds_write2_b32 v29, v18, v15 offset0:134 offset1:201
	s_waitcnt lgkmcnt(0)
	s_barrier
	ds_read2_b32 v[15:16], v36 offset1:1
	ds_read2_b32 v[17:18], v36 offset0:2 offset1:3
	s_waitcnt lgkmcnt(0)
	s_barrier
	flat_load_dword v56, v[7:8]
	flat_load_dword v54, v[9:10]
	;; [unrolled: 1-line block ×4, first 2 shown]
	v_add_co_u32_e64 v11, s[8:9], s18, v20
	v_addc_co_u32_e64 v12, s[8:9], v21, v41, s[8:9]
	ds_read_b32 v57, v28
	ds_read_b128 v[7:10], v27 offset:64
	v_add_co_u32_e64 v13, s[8:9], s36, v20
	v_addc_co_u32_e64 v14, s[8:9], v21, v42, s[8:9]
	v_add_co_u32_e64 v61, s[8:9], s29, v20
	v_addc_co_u32_e64 v62, s[8:9], v21, v43, s[8:9]
	;; [unrolled: 2-line block ×7, first 2 shown]
	v_add_f32_e32 v15, 0, v15
	v_add_f32_e32 v15, v15, v16
	;; [unrolled: 1-line block ×3, first 2 shown]
	s_waitcnt vmcnt(0) lgkmcnt(0)
	v_mul_f32_e32 v58, v56, v57
	v_mul_f32_e32 v59, v54, v57
	;; [unrolled: 1-line block ×4, first 2 shown]
	ds_write2_b32 v29, v58, v59 offset1:67
	ds_write2_b32 v29, v60, v57 offset0:134 offset1:201
	s_waitcnt lgkmcnt(0)
	s_barrier
	ds_read2_b32 v[65:66], v36 offset1:1
	ds_read2_b32 v[67:68], v36 offset0:2 offset1:3
	s_waitcnt lgkmcnt(0)
	s_barrier
	flat_load_dword v60, v[11:12]
	flat_load_dword v58, v[13:14]
	;; [unrolled: 1-line block ×4, first 2 shown]
	ds_read_b32 v61, v28
	ds_read_b128 v[11:14], v27 offset:128
	s_waitcnt vmcnt(0) lgkmcnt(0)
	v_mul_f32_e32 v62, v60, v61
	v_mul_f32_e32 v63, v58, v61
	;; [unrolled: 1-line block ×4, first 2 shown]
	ds_write2_b32 v29, v62, v63 offset1:67
	ds_write2_b32 v29, v64, v61 offset0:134 offset1:201
	s_waitcnt lgkmcnt(0)
	s_barrier
	ds_read2_b32 v[77:78], v36 offset1:1
	ds_read2_b32 v[79:80], v36 offset0:2 offset1:3
	s_waitcnt lgkmcnt(0)
	s_barrier
	flat_load_dword v64, v[69:70]
	flat_load_dword v63, v[71:72]
	;; [unrolled: 1-line block ×4, first 2 shown]
	v_add_f32_e32 v69, v15, v18
	v_add_f32_e32 v15, 0, v65
	;; [unrolled: 1-line block ×5, first 2 shown]
	ds_read_b32 v65, v28
	ds_read_b128 v[15:18], v27 offset:192
	v_add_f32_e32 v66, 0, v77
	v_add_f32_e32 v66, v66, v78
	;; [unrolled: 1-line block ×4, first 2 shown]
	s_waitcnt vmcnt(0) lgkmcnt(0)
	v_mul_f32_e32 v66, v64, v65
	v_mul_f32_e32 v67, v63, v65
	v_mul_f32_e32 v68, v62, v65
	v_mul_f32_e32 v65, v61, v65
	ds_write2_b32 v29, v66, v67 offset1:67
	ds_write2_b32 v29, v68, v65 offset0:134 offset1:201
	s_waitcnt lgkmcnt(0)
	s_barrier
	ds_read2_b32 v[65:66], v36 offset1:1
	ds_read2_b32 v[67:68], v36 offset0:2 offset1:3
	s_waitcnt lgkmcnt(0)
	s_barrier
	v_add_f32_e32 v65, 0, v65
	v_add_f32_e32 v65, v65, v66
	;; [unrolled: 1-line block ×4, first 2 shown]
	ds_write2_b32 v30, v69, v70 offset1:16
	ds_write2_b32 v30, v71, v65 offset0:32 offset1:48
	s_waitcnt lgkmcnt(0)
	s_barrier
	s_and_saveexec_b64 s[22:23], vcc
	s_cbranch_execz .LBB149_74
; %bb.78:                               ;   in Loop: Header=BB149_75 Depth=1
	ds_read2_b32 v[65:66], v31 offset1:1
	ds_read2_b32 v[67:68], v31 offset0:2 offset1:3
	ds_read2_b32 v[69:70], v31 offset0:4 offset1:5
	;; [unrolled: 1-line block ×4, first 2 shown]
	s_waitcnt lgkmcnt(4)
	v_add_f32_e32 v65, v65, v66
	s_waitcnt lgkmcnt(3)
	v_add_f32_e32 v65, v65, v67
	v_add_f32_e32 v65, v65, v68
	s_waitcnt lgkmcnt(2)
	v_add_f32_e32 v65, v65, v69
	;; [unrolled: 3-line block ×3, first 2 shown]
	v_add_f32_e32 v69, v65, v72
	ds_read2_b32 v[65:66], v31 offset0:10 offset1:11
	ds_read2_b32 v[67:68], v31 offset0:12 offset1:13
	ds_read_b32 v70, v31 offset:56
	s_waitcnt lgkmcnt(3)
	v_add_f32_e32 v69, v69, v73
	v_add_f32_e32 v69, v69, v74
	s_waitcnt lgkmcnt(2)
	v_add_f32_e32 v65, v69, v65
	ds_read_b32 v69, v32
	v_add_f32_e32 v65, v65, v66
	s_waitcnt lgkmcnt(2)
	v_add_f32_e32 v65, v65, v67
	v_add_f32_e32 v65, v65, v68
	s_waitcnt lgkmcnt(1)
	v_add_f32_e32 v65, v65, v70
	s_waitcnt lgkmcnt(0)
	v_add_f32_e32 v67, v65, v69
	v_lshlrev_b64 v[65:66], 2, v[0:1]
	v_mov_b32_e32 v68, s28
	v_add_co_u32_e64 v65, s[8:9], s27, v65
	v_addc_co_u32_e64 v66, s[8:9], v68, v66, s[8:9]
	global_store_dword v[65:66], v67, off
	s_branch .LBB149_74
.LBB149_79:
	s_movk_i32 s2, 0x10c
	v_mad_u32_u24 v0, v2, s2, v23
	s_nor_b64 s[0:1], s[0:1], s[4:5]
	ds_write_b32 v0, v22
	s_waitcnt lgkmcnt(0)
	s_barrier
	s_and_saveexec_b64 s[2:3], s[0:1]
	s_cbranch_execz .LBB149_4
; %bb.80:
	ds_read2_b32 v[0:1], v23 offset1:67
	ds_read2_b32 v[2:3], v23 offset0:134 offset1:201
	v_ashrrev_i32_e32 v20, 31, v19
	v_lshlrev_b64 v[4:5], 2, v[19:20]
	v_mov_b32_e32 v6, s28
	s_waitcnt lgkmcnt(1)
	v_add_f32_e32 v0, v0, v1
	s_waitcnt lgkmcnt(0)
	v_add_f32_e32 v0, v0, v2
	v_add_f32_e32 v2, v0, v3
	v_add_co_u32_e32 v0, vcc, s27, v4
	v_addc_co_u32_e32 v1, vcc, v6, v5, vcc
	global_store_dword v[0:1], v2, off
	s_endpgm
	.section	.rodata,"a",@progbits
	.p2align	6, 0x0
	.amdhsa_kernel _ZL26rocblas_hemvn_kernel_lowerILb0ELi64ELi4ELi33ELi32ELi16EiPKfPKS1_PfEviT6_lT7_lT5_lS6_lS7_lS5_lT8_i
		.amdhsa_group_segment_fixed_size 4800
		.amdhsa_private_segment_fixed_size 0
		.amdhsa_kernarg_size 376
		.amdhsa_user_sgpr_count 6
		.amdhsa_user_sgpr_private_segment_buffer 1
		.amdhsa_user_sgpr_dispatch_ptr 0
		.amdhsa_user_sgpr_queue_ptr 0
		.amdhsa_user_sgpr_kernarg_segment_ptr 1
		.amdhsa_user_sgpr_dispatch_id 0
		.amdhsa_user_sgpr_flat_scratch_init 0
		.amdhsa_user_sgpr_private_segment_size 0
		.amdhsa_uses_dynamic_stack 0
		.amdhsa_system_sgpr_private_segment_wavefront_offset 0
		.amdhsa_system_sgpr_workgroup_id_x 1
		.amdhsa_system_sgpr_workgroup_id_y 0
		.amdhsa_system_sgpr_workgroup_id_z 1
		.amdhsa_system_sgpr_workgroup_info 0
		.amdhsa_system_vgpr_workitem_id 1
		.amdhsa_next_free_vgpr 81
		.amdhsa_next_free_sgpr 46
		.amdhsa_reserve_vcc 1
		.amdhsa_reserve_flat_scratch 0
		.amdhsa_float_round_mode_32 0
		.amdhsa_float_round_mode_16_64 0
		.amdhsa_float_denorm_mode_32 3
		.amdhsa_float_denorm_mode_16_64 3
		.amdhsa_dx10_clamp 1
		.amdhsa_ieee_mode 1
		.amdhsa_fp16_overflow 0
		.amdhsa_exception_fp_ieee_invalid_op 0
		.amdhsa_exception_fp_denorm_src 0
		.amdhsa_exception_fp_ieee_div_zero 0
		.amdhsa_exception_fp_ieee_overflow 0
		.amdhsa_exception_fp_ieee_underflow 0
		.amdhsa_exception_fp_ieee_inexact 0
		.amdhsa_exception_int_div_zero 0
	.end_amdhsa_kernel
	.section	.text._ZL26rocblas_hemvn_kernel_lowerILb0ELi64ELi4ELi33ELi32ELi16EiPKfPKS1_PfEviT6_lT7_lT5_lS6_lS7_lS5_lT8_i,"axG",@progbits,_ZL26rocblas_hemvn_kernel_lowerILb0ELi64ELi4ELi33ELi32ELi16EiPKfPKS1_PfEviT6_lT7_lT5_lS6_lS7_lS5_lT8_i,comdat
.Lfunc_end149:
	.size	_ZL26rocblas_hemvn_kernel_lowerILb0ELi64ELi4ELi33ELi32ELi16EiPKfPKS1_PfEviT6_lT7_lT5_lS6_lS7_lS5_lT8_i, .Lfunc_end149-_ZL26rocblas_hemvn_kernel_lowerILb0ELi64ELi4ELi33ELi32ELi16EiPKfPKS1_PfEviT6_lT7_lT5_lS6_lS7_lS5_lT8_i
                                        ; -- End function
	.set _ZL26rocblas_hemvn_kernel_lowerILb0ELi64ELi4ELi33ELi32ELi16EiPKfPKS1_PfEviT6_lT7_lT5_lS6_lS7_lS5_lT8_i.num_vgpr, 81
	.set _ZL26rocblas_hemvn_kernel_lowerILb0ELi64ELi4ELi33ELi32ELi16EiPKfPKS1_PfEviT6_lT7_lT5_lS6_lS7_lS5_lT8_i.num_agpr, 0
	.set _ZL26rocblas_hemvn_kernel_lowerILb0ELi64ELi4ELi33ELi32ELi16EiPKfPKS1_PfEviT6_lT7_lT5_lS6_lS7_lS5_lT8_i.numbered_sgpr, 46
	.set _ZL26rocblas_hemvn_kernel_lowerILb0ELi64ELi4ELi33ELi32ELi16EiPKfPKS1_PfEviT6_lT7_lT5_lS6_lS7_lS5_lT8_i.num_named_barrier, 0
	.set _ZL26rocblas_hemvn_kernel_lowerILb0ELi64ELi4ELi33ELi32ELi16EiPKfPKS1_PfEviT6_lT7_lT5_lS6_lS7_lS5_lT8_i.private_seg_size, 0
	.set _ZL26rocblas_hemvn_kernel_lowerILb0ELi64ELi4ELi33ELi32ELi16EiPKfPKS1_PfEviT6_lT7_lT5_lS6_lS7_lS5_lT8_i.uses_vcc, 1
	.set _ZL26rocblas_hemvn_kernel_lowerILb0ELi64ELi4ELi33ELi32ELi16EiPKfPKS1_PfEviT6_lT7_lT5_lS6_lS7_lS5_lT8_i.uses_flat_scratch, 0
	.set _ZL26rocblas_hemvn_kernel_lowerILb0ELi64ELi4ELi33ELi32ELi16EiPKfPKS1_PfEviT6_lT7_lT5_lS6_lS7_lS5_lT8_i.has_dyn_sized_stack, 0
	.set _ZL26rocblas_hemvn_kernel_lowerILb0ELi64ELi4ELi33ELi32ELi16EiPKfPKS1_PfEviT6_lT7_lT5_lS6_lS7_lS5_lT8_i.has_recursion, 0
	.set _ZL26rocblas_hemvn_kernel_lowerILb0ELi64ELi4ELi33ELi32ELi16EiPKfPKS1_PfEviT6_lT7_lT5_lS6_lS7_lS5_lT8_i.has_indirect_call, 0
	.section	.AMDGPU.csdata,"",@progbits
; Kernel info:
; codeLenInByte = 5744
; TotalNumSgprs: 50
; NumVgprs: 81
; ScratchSize: 0
; MemoryBound: 0
; FloatMode: 240
; IeeeMode: 1
; LDSByteSize: 4800 bytes/workgroup (compile time only)
; SGPRBlocks: 6
; VGPRBlocks: 20
; NumSGPRsForWavesPerEU: 50
; NumVGPRsForWavesPerEU: 81
; Occupancy: 3
; WaveLimiterHint : 1
; COMPUTE_PGM_RSRC2:SCRATCH_EN: 0
; COMPUTE_PGM_RSRC2:USER_SGPR: 6
; COMPUTE_PGM_RSRC2:TRAP_HANDLER: 0
; COMPUTE_PGM_RSRC2:TGID_X_EN: 1
; COMPUTE_PGM_RSRC2:TGID_Y_EN: 0
; COMPUTE_PGM_RSRC2:TGID_Z_EN: 1
; COMPUTE_PGM_RSRC2:TIDIG_COMP_CNT: 1
	.section	.text._ZL36rocblas_hemvn_kernel_lower_block_sumILi64EiPKfPKPffEviT1_lS5_lT2_lT0_lPT3_i,"axG",@progbits,_ZL36rocblas_hemvn_kernel_lower_block_sumILi64EiPKfPKPffEviT1_lS5_lT2_lT0_lPT3_i,comdat
	.globl	_ZL36rocblas_hemvn_kernel_lower_block_sumILi64EiPKfPKPffEviT1_lS5_lT2_lT0_lPT3_i ; -- Begin function _ZL36rocblas_hemvn_kernel_lower_block_sumILi64EiPKfPKPffEviT1_lS5_lT2_lT0_lPT3_i
	.p2align	8
	.type	_ZL36rocblas_hemvn_kernel_lower_block_sumILi64EiPKfPKPffEviT1_lS5_lT2_lT0_lPT3_i,@function
_ZL36rocblas_hemvn_kernel_lower_block_sumILi64EiPKfPKPffEviT1_lS5_lT2_lT0_lPT3_i: ; @_ZL36rocblas_hemvn_kernel_lower_block_sumILi64EiPKfPKPffEviT1_lS5_lT2_lT0_lPT3_i
; %bb.0:
	s_load_dwordx8 s[12:19], s[4:5], 0x8
	s_mov_b32 s8, s7
	s_waitcnt lgkmcnt(0)
	s_mul_i32 s0, s15, s7
	s_mul_hi_u32 s1, s14, s7
	s_add_i32 s1, s1, s0
	s_mul_i32 s0, s14, s7
	s_lshl_b64 s[0:1], s[0:1], 2
	s_add_u32 s0, s12, s0
	s_addc_u32 s1, s13, s1
	s_load_dword s7, s[0:1], 0x0
	s_mul_i32 s0, s19, s8
	s_mul_hi_u32 s1, s18, s8
	s_add_i32 s1, s1, s0
	s_mul_i32 s0, s18, s8
	s_lshl_b64 s[0:1], s[0:1], 2
	s_add_u32 s0, s16, s0
	s_addc_u32 s1, s17, s1
	s_load_dword s17, s[0:1], 0x0
	s_waitcnt lgkmcnt(0)
	v_cmp_eq_f32_e64 s[0:1], s7, 0
	v_cmp_eq_f32_e64 s[2:3], s17, 1.0
	s_and_b64 s[0:1], s[0:1], s[2:3]
	s_and_b64 vcc, exec, s[0:1]
	s_cbranch_vccnz .LBB150_19
; %bb.1:
	s_load_dwordx4 s[0:3], s[4:5], 0x28
	s_mov_b32 s9, 0
	s_lshl_b64 s[12:13], s[8:9], 3
	s_load_dword s18, s[4:5], 0x38
	s_load_dword s10, s[4:5], 0x0
	v_lshl_or_b32 v2, s6, 6, v0
	s_waitcnt lgkmcnt(0)
	s_add_u32 s0, s0, s12
	s_addc_u32 s1, s1, s13
	s_load_dwordx2 s[0:1], s[0:1], 0x0
	s_lshl_b64 s[2:3], s[2:3], 2
	v_cmp_neq_f32_e64 s[12:13], s7, 0
	s_waitcnt lgkmcnt(0)
	s_add_u32 s9, s0, s2
	s_addc_u32 s16, s1, s3
	s_and_b64 vcc, exec, s[12:13]
	v_cmp_gt_i32_e64 s[0:1], s10, v2
	s_cbranch_vccnz .LBB150_6
; %bb.2:
	s_mov_b64 s[12:13], 0
	s_mov_b64 s[2:3], 0
                                        ; implicit-def: $vgpr3
                                        ; implicit-def: $vgpr0_vgpr1
	s_and_saveexec_b64 s[14:15], s[0:1]
	s_cbranch_execz .LBB150_7
; %bb.3:
	v_mul_lo_u32 v0, s18, v2
	v_cmp_eq_f32_e64 s[0:1], s17, 0
	v_mov_b32_e32 v3, 0
	s_and_b64 vcc, exec, s[0:1]
	v_ashrrev_i32_e32 v1, 31, v0
	s_cbranch_vccnz .LBB150_5
; %bb.4:
	v_lshlrev_b64 v[3:4], 2, v[0:1]
	v_mov_b32_e32 v5, s16
	v_add_co_u32_e32 v3, vcc, s9, v3
	v_addc_co_u32_e32 v4, vcc, v5, v4, vcc
	flat_load_dword v3, v[3:4]
	s_waitcnt vmcnt(0) lgkmcnt(0)
	v_mul_f32_e32 v3, s17, v3
.LBB150_5:
	s_mov_b64 s[2:3], exec
	s_or_b64 exec, exec, s[14:15]
	s_and_b64 vcc, exec, s[12:13]
	s_cbranch_vccnz .LBB150_8
	s_branch .LBB150_17
.LBB150_6:
	s_mov_b64 s[2:3], 0
                                        ; implicit-def: $vgpr3
                                        ; implicit-def: $vgpr0_vgpr1
	s_cbranch_execnz .LBB150_8
	s_branch .LBB150_17
.LBB150_7:
	s_or_b64 exec, exec, s[14:15]
	s_and_b64 vcc, exec, s[12:13]
	s_cbranch_vccz .LBB150_17
.LBB150_8:
	v_cmp_gt_i32_e32 vcc, s10, v2
                                        ; implicit-def: $vgpr3
                                        ; implicit-def: $vgpr0_vgpr1
	s_and_saveexec_b64 s[0:1], vcc
	s_cbranch_execz .LBB150_16
; %bb.9:
	s_load_dword s12, s[4:5], 0x58
	v_mov_b32_e32 v4, 0
	s_waitcnt lgkmcnt(0)
	s_cmp_ge_i32 s6, s12
	s_cbranch_scc1 .LBB150_12
; %bb.10:
	s_ashr_i32 s11, s10, 31
	s_mul_i32 s13, s10, s6
	s_load_dwordx2 s[4:5], s[4:5], 0x48
	v_add_u32_e32 v0, s13, v2
	s_mul_hi_u32 s13, s10, s8
	s_mul_i32 s14, s11, s8
	s_add_i32 s13, s13, s14
	s_mul_i32 s8, s10, s8
	s_mul_i32 s13, s13, s12
	s_mul_hi_u32 s14, s8, s12
	s_add_i32 s15, s14, s13
	s_mul_i32 s14, s8, s12
	v_ashrrev_i32_e32 v1, 31, v0
	s_lshl_b64 s[14:15], s[14:15], 2
	v_lshlrev_b64 v[0:1], 2, v[0:1]
	s_waitcnt lgkmcnt(0)
	s_add_u32 s4, s4, s14
	s_addc_u32 s5, s5, s15
	v_mov_b32_e32 v3, s5
	v_add_co_u32_e32 v0, vcc, s4, v0
	s_lshl_b64 s[4:5], s[10:11], 2
	v_addc_co_u32_e32 v1, vcc, v3, v1, vcc
	v_mov_b32_e32 v4, 0
	v_mov_b32_e32 v3, s5
.LBB150_11:                             ; =>This Inner Loop Header: Depth=1
	global_load_dword v5, v[0:1], off
	s_add_i32 s6, s6, 1
	v_add_co_u32_e32 v0, vcc, s4, v0
	v_addc_co_u32_e32 v1, vcc, v1, v3, vcc
	s_cmp_ge_i32 s6, s12
	s_waitcnt vmcnt(0)
	v_add_f32_e32 v4, v4, v5
	s_cbranch_scc0 .LBB150_11
.LBB150_12:
	v_mul_lo_u32 v0, s18, v2
	v_cmp_eq_f32_e64 s[4:5], s17, 0
	s_and_b64 vcc, exec, s[4:5]
	v_ashrrev_i32_e32 v1, 31, v0
	s_cbranch_vccz .LBB150_20
; %bb.13:
	v_mul_f32_e32 v3, s7, v4
	s_cbranch_execnz .LBB150_15
.LBB150_14:
	v_lshlrev_b64 v[2:3], 2, v[0:1]
	v_mov_b32_e32 v5, s16
	v_add_co_u32_e32 v2, vcc, s9, v2
	v_addc_co_u32_e32 v3, vcc, v5, v3, vcc
	flat_load_dword v2, v[2:3]
	s_waitcnt vmcnt(0) lgkmcnt(0)
	v_mul_f32_e32 v3, s17, v2
	v_fmac_f32_e32 v3, s7, v4
.LBB150_15:
	s_or_b64 s[2:3], s[2:3], exec
.LBB150_16:
	s_or_b64 exec, exec, s[0:1]
.LBB150_17:
	s_and_saveexec_b64 s[0:1], s[2:3]
	s_cbranch_execz .LBB150_19
; %bb.18:
	v_lshlrev_b64 v[0:1], 2, v[0:1]
	v_mov_b32_e32 v2, s16
	v_add_co_u32_e32 v0, vcc, s9, v0
	v_addc_co_u32_e32 v1, vcc, v2, v1, vcc
	flat_store_dword v[0:1], v3
.LBB150_19:
	s_endpgm
.LBB150_20:
                                        ; implicit-def: $vgpr3
	s_branch .LBB150_14
	.section	.rodata,"a",@progbits
	.p2align	6, 0x0
	.amdhsa_kernel _ZL36rocblas_hemvn_kernel_lower_block_sumILi64EiPKfPKPffEviT1_lS5_lT2_lT0_lPT3_i
		.amdhsa_group_segment_fixed_size 0
		.amdhsa_private_segment_fixed_size 0
		.amdhsa_kernarg_size 344
		.amdhsa_user_sgpr_count 6
		.amdhsa_user_sgpr_private_segment_buffer 1
		.amdhsa_user_sgpr_dispatch_ptr 0
		.amdhsa_user_sgpr_queue_ptr 0
		.amdhsa_user_sgpr_kernarg_segment_ptr 1
		.amdhsa_user_sgpr_dispatch_id 0
		.amdhsa_user_sgpr_flat_scratch_init 0
		.amdhsa_user_sgpr_private_segment_size 0
		.amdhsa_uses_dynamic_stack 0
		.amdhsa_system_sgpr_private_segment_wavefront_offset 0
		.amdhsa_system_sgpr_workgroup_id_x 1
		.amdhsa_system_sgpr_workgroup_id_y 0
		.amdhsa_system_sgpr_workgroup_id_z 1
		.amdhsa_system_sgpr_workgroup_info 0
		.amdhsa_system_vgpr_workitem_id 0
		.amdhsa_next_free_vgpr 6
		.amdhsa_next_free_sgpr 20
		.amdhsa_reserve_vcc 1
		.amdhsa_reserve_flat_scratch 0
		.amdhsa_float_round_mode_32 0
		.amdhsa_float_round_mode_16_64 0
		.amdhsa_float_denorm_mode_32 3
		.amdhsa_float_denorm_mode_16_64 3
		.amdhsa_dx10_clamp 1
		.amdhsa_ieee_mode 1
		.amdhsa_fp16_overflow 0
		.amdhsa_exception_fp_ieee_invalid_op 0
		.amdhsa_exception_fp_denorm_src 0
		.amdhsa_exception_fp_ieee_div_zero 0
		.amdhsa_exception_fp_ieee_overflow 0
		.amdhsa_exception_fp_ieee_underflow 0
		.amdhsa_exception_fp_ieee_inexact 0
		.amdhsa_exception_int_div_zero 0
	.end_amdhsa_kernel
	.section	.text._ZL36rocblas_hemvn_kernel_lower_block_sumILi64EiPKfPKPffEviT1_lS5_lT2_lT0_lPT3_i,"axG",@progbits,_ZL36rocblas_hemvn_kernel_lower_block_sumILi64EiPKfPKPffEviT1_lS5_lT2_lT0_lPT3_i,comdat
.Lfunc_end150:
	.size	_ZL36rocblas_hemvn_kernel_lower_block_sumILi64EiPKfPKPffEviT1_lS5_lT2_lT0_lPT3_i, .Lfunc_end150-_ZL36rocblas_hemvn_kernel_lower_block_sumILi64EiPKfPKPffEviT1_lS5_lT2_lT0_lPT3_i
                                        ; -- End function
	.set _ZL36rocblas_hemvn_kernel_lower_block_sumILi64EiPKfPKPffEviT1_lS5_lT2_lT0_lPT3_i.num_vgpr, 6
	.set _ZL36rocblas_hemvn_kernel_lower_block_sumILi64EiPKfPKPffEviT1_lS5_lT2_lT0_lPT3_i.num_agpr, 0
	.set _ZL36rocblas_hemvn_kernel_lower_block_sumILi64EiPKfPKPffEviT1_lS5_lT2_lT0_lPT3_i.numbered_sgpr, 20
	.set _ZL36rocblas_hemvn_kernel_lower_block_sumILi64EiPKfPKPffEviT1_lS5_lT2_lT0_lPT3_i.num_named_barrier, 0
	.set _ZL36rocblas_hemvn_kernel_lower_block_sumILi64EiPKfPKPffEviT1_lS5_lT2_lT0_lPT3_i.private_seg_size, 0
	.set _ZL36rocblas_hemvn_kernel_lower_block_sumILi64EiPKfPKPffEviT1_lS5_lT2_lT0_lPT3_i.uses_vcc, 1
	.set _ZL36rocblas_hemvn_kernel_lower_block_sumILi64EiPKfPKPffEviT1_lS5_lT2_lT0_lPT3_i.uses_flat_scratch, 0
	.set _ZL36rocblas_hemvn_kernel_lower_block_sumILi64EiPKfPKPffEviT1_lS5_lT2_lT0_lPT3_i.has_dyn_sized_stack, 0
	.set _ZL36rocblas_hemvn_kernel_lower_block_sumILi64EiPKfPKPffEviT1_lS5_lT2_lT0_lPT3_i.has_recursion, 0
	.set _ZL36rocblas_hemvn_kernel_lower_block_sumILi64EiPKfPKPffEviT1_lS5_lT2_lT0_lPT3_i.has_indirect_call, 0
	.section	.AMDGPU.csdata,"",@progbits
; Kernel info:
; codeLenInByte = 652
; TotalNumSgprs: 24
; NumVgprs: 6
; ScratchSize: 0
; MemoryBound: 0
; FloatMode: 240
; IeeeMode: 1
; LDSByteSize: 0 bytes/workgroup (compile time only)
; SGPRBlocks: 2
; VGPRBlocks: 1
; NumSGPRsForWavesPerEU: 24
; NumVGPRsForWavesPerEU: 6
; Occupancy: 10
; WaveLimiterHint : 1
; COMPUTE_PGM_RSRC2:SCRATCH_EN: 0
; COMPUTE_PGM_RSRC2:USER_SGPR: 6
; COMPUTE_PGM_RSRC2:TRAP_HANDLER: 0
; COMPUTE_PGM_RSRC2:TGID_X_EN: 1
; COMPUTE_PGM_RSRC2:TGID_Y_EN: 0
; COMPUTE_PGM_RSRC2:TGID_Z_EN: 1
; COMPUTE_PGM_RSRC2:TIDIG_COMP_CNT: 0
	.section	.text._ZL26rocblas_hemvn_kernel_lowerILb0ELi64ELi4ELi33ELi32ELi16ElfPKPKfPfEviT6_lT7_lT5_lS6_lS7_lS5_lT8_i,"axG",@progbits,_ZL26rocblas_hemvn_kernel_lowerILb0ELi64ELi4ELi33ELi32ELi16ElfPKPKfPfEviT6_lT7_lT5_lS6_lS7_lS5_lT8_i,comdat
	.globl	_ZL26rocblas_hemvn_kernel_lowerILb0ELi64ELi4ELi33ELi32ELi16ElfPKPKfPfEviT6_lT7_lT5_lS6_lS7_lS5_lT8_i ; -- Begin function _ZL26rocblas_hemvn_kernel_lowerILb0ELi64ELi4ELi33ELi32ELi16ElfPKPKfPfEviT6_lT7_lT5_lS6_lS7_lS5_lT8_i
	.p2align	8
	.type	_ZL26rocblas_hemvn_kernel_lowerILb0ELi64ELi4ELi33ELi32ELi16ElfPKPKfPfEviT6_lT7_lT5_lS6_lS7_lS5_lT8_i,@function
_ZL26rocblas_hemvn_kernel_lowerILb0ELi64ELi4ELi33ELi32ELi16ElfPKPKfPfEviT6_lT7_lT5_lS6_lS7_lS5_lT8_i: ; @_ZL26rocblas_hemvn_kernel_lowerILb0ELi64ELi4ELi33ELi32ELi16ElfPKPKfPfEviT6_lT7_lT5_lS6_lS7_lS5_lT8_i
; %bb.0:
	s_load_dwordx2 s[2:3], s[4:5], 0x7c
	s_add_u32 s0, s4, 0x70
	s_mov_b32 s28, s7
	s_addc_u32 s1, s5, 0
	s_waitcnt lgkmcnt(0)
	s_lshr_b32 s7, s2, 16
	s_and_b32 s2, s2, 0xffff
	s_and_b32 s3, s3, 0xffff
	s_mul_i32 s2, s7, s2
	s_mul_i32 s2, s2, s3
	s_cmpk_lg_i32 s2, 0x100
	s_cbranch_scc1 .LBB151_4
; %bb.1:
	s_load_dwordx2 s[30:31], s[4:5], 0x0
	s_load_dword s7, s[4:5], 0x50
	s_waitcnt lgkmcnt(0)
	v_cmp_eq_f32_e64 s[2:3], s31, 0
	v_cmp_eq_f32_e64 s[8:9], s7, 1.0
	s_and_b64 s[8:9], s[2:3], s[8:9]
	s_and_b64 vcc, exec, s[8:9]
	s_cbranch_vccnz .LBB151_4
; %bb.2:
	s_and_b64 vcc, exec, s[2:3]
	s_cbranch_vccz .LBB151_5
; %bb.3:
	s_cbranch_execz .LBB151_6
.LBB151_4:
	s_endpgm
.LBB151_5:
.LBB151_6:
	s_load_dwordx4 s[8:11], s[4:5], 0x10
	s_load_dwordx2 s[26:27], s[4:5], 0x20
	s_load_dwordx4 s[12:15], s[4:5], 0x30
	s_load_dwordx2 s[22:23], s[4:5], 0x40
	s_mov_b32 s29, 0
	s_lshl_b64 s[2:3], s[28:29], 3
	s_waitcnt lgkmcnt(0)
	s_add_u32 s16, s8, s2
	s_addc_u32 s17, s9, s3
	s_add_u32 s2, s12, s2
	s_addc_u32 s3, s13, s3
	s_load_dwordx2 s[12:13], s[2:3], 0x0
	s_load_dword s7, s[0:1], 0x0
	s_load_dwordx2 s[8:9], s[16:17], 0x0
	s_lshl_b64 s[0:1], s[14:15], 2
	s_waitcnt lgkmcnt(0)
	s_add_u32 s2, s12, s0
	s_addc_u32 s3, s13, s1
	s_lshl_b32 s36, s6, 6
	s_ashr_i32 s29, s30, 31
	s_lshr_b32 s0, s29, 26
	v_add_u32_e32 v18, s36, v0
	s_add_i32 s0, s30, s0
	v_ashrrev_i32_e32 v19, 31, v18
	s_and_b32 s13, s0, 0xffffffc0
	v_mul_lo_u32 v4, s22, v19
	v_mul_lo_u32 v5, s23, v18
	v_mad_u64_u32 v[2:3], s[0:1], s22, v18, 0
	s_add_i32 s12, s7, -1
	s_sub_i32 s0, s30, s13
	v_add3_u32 v3, v3, v4, v5
	v_lshlrev_b64 v[2:3], 2, v[2:3]
	s_cmp_eq_u32 s6, s12
	v_mov_b32_e32 v4, s3
	v_add_co_u32_e32 v6, vcc, s2, v2
	s_cselect_b32 s34, s0, 0
	v_addc_co_u32_e32 v7, vcc, v4, v3, vcc
	v_cmp_ne_u32_e64 s[0:1], 0, v1
	v_cmp_eq_u32_e64 s[2:3], 0, v1
	s_and_saveexec_b64 s[12:13], s[2:3]
	s_cbranch_execz .LBB151_10
; %bb.7:
	s_cmp_eq_u32 s34, 0
	s_cselect_b64 s[14:15], -1, 0
	v_cmp_gt_i32_e32 vcc, s34, v0
	s_or_b64 s[16:17], s[14:15], vcc
	v_mov_b32_e32 v2, 0
	s_and_saveexec_b64 s[14:15], s[16:17]
	s_cbranch_execz .LBB151_9
; %bb.8:
	flat_load_dword v2, v[6:7]
.LBB151_9:
	s_or_b64 exec, exec, s[14:15]
	v_lshlrev_b32_e32 v3, 2, v0
	s_waitcnt vmcnt(0) lgkmcnt(0)
	ds_write_b32 v3, v2 offset:4544
.LBB151_10:
	s_or_b64 exec, exec, s[12:13]
	v_lshl_add_u32 v16, v1, 6, v0
	v_and_b32_e32 v2, 31, v0
	v_lshrrev_b32_e32 v5, 5, v16
	v_mov_b32_e32 v3, 0
	v_mad_u64_u32 v[3:4], s[12:13], s26, v5, v[2:3]
	s_lshl_b64 s[10:11], s[10:11], 2
	s_add_u32 s10, s8, s10
	s_addc_u32 s11, s9, s11
	v_mad_u64_u32 v[8:9], s[8:9], s27, v5, v[4:5]
	s_ashr_i32 s37, s36, 31
	s_lshl_b64 s[8:9], s[36:37], 2
	v_mov_b32_e32 v4, v8
	s_add_u32 s8, s10, s8
	v_lshlrev_b64 v[8:9], 2, v[3:4]
	s_addc_u32 s9, s11, s9
	v_mov_b32_e32 v3, s9
	v_add_co_u32_e32 v4, vcc, s8, v8
	s_mul_hi_u32 s8, s26, s36
	s_mul_i32 s9, s26, s37
	s_add_i32 s8, s8, s9
	s_mul_i32 s9, s27, s36
	s_add_i32 s9, s8, s9
	s_mul_i32 s8, s26, s36
	v_addc_co_u32_e32 v10, vcc, v3, v9, vcc
	s_lshl_b64 s[38:39], s[8:9], 2
	v_mov_b32_e32 v11, s39
	v_add_co_u32_e32 v3, vcc, s38, v4
	s_cmp_lg_u32 s34, 0
	v_addc_co_u32_e32 v4, vcc, v10, v11, vcc
	s_cselect_b64 s[40:41], -1, 0
	s_cmp_eq_u32 s34, 0
	s_cselect_b64 s[18:19], -1, 0
	s_mov_b64 s[8:9], -1
	s_and_b64 vcc, exec, s[40:41]
	s_cbranch_vccnz .LBB151_12
; %bb.11:
	s_lshl_b64 s[8:9], s[26:27], 5
	v_mov_b32_e32 v15, s9
	v_add_co_u32_e32 v10, vcc, s8, v3
	v_addc_co_u32_e32 v11, vcc, v4, v15, vcc
	v_add_co_u32_e32 v12, vcc, s8, v10
	v_addc_co_u32_e32 v13, vcc, v11, v15, vcc
	;; [unrolled: 2-line block ×3, first 2 shown]
	flat_load_dword v17, v[3:4]
	flat_load_dword v20, v[10:11]
	;; [unrolled: 1-line block ×4, first 2 shown]
	v_mul_u32_u24_e32 v10, 0x84, v5
	v_lshl_add_u32 v10, v2, 2, v10
	s_mov_b64 s[8:9], 0
	s_waitcnt vmcnt(0) lgkmcnt(0)
	ds_write_b32 v10, v17
	ds_write_b32 v10, v20 offset:1056
	ds_write_b32 v10, v21 offset:2112
	;; [unrolled: 1-line block ×3, first 2 shown]
.LBB151_12:
	s_andn2_b64 vcc, exec, s[8:9]
	s_cbranch_vccnz .LBB151_22
; %bb.13:
	v_lshlrev_b32_e32 v12, 2, v2
	v_sub_co_u32_e32 v10, vcc, v3, v12
	s_ashr_i32 s35, s34, 31
	v_subbrev_co_u32_e32 v11, vcc, 0, v4, vcc
	s_lshl_b64 s[10:11], s[34:35], 2
	v_mov_b32_e32 v14, s11
	v_add_co_u32_e32 v10, vcc, s10, v10
	v_addc_co_u32_e32 v11, vcc, v11, v14, vcc
	v_add_co_u32_e32 v10, vcc, -4, v10
	v_addc_co_u32_e32 v11, vcc, -1, v11, vcc
	v_cmp_gt_i32_e32 vcc, s34, v2
	v_mov_b32_e32 v13, 0
	v_cndmask_b32_e32 v11, v11, v4, vcc
	v_cndmask_b32_e32 v10, v10, v3, vcc
	v_cmp_gt_i32_e64 s[8:9], s34, v5
	v_mov_b32_e32 v17, 0
	s_and_saveexec_b64 s[12:13], s[8:9]
	s_cbranch_execz .LBB151_15
; %bb.14:
	flat_load_dword v17, v[10:11]
.LBB151_15:
	s_or_b64 exec, exec, s[12:13]
	v_lshlrev_b32_e32 v14, 2, v2
	s_movk_i32 s8, 0x84
	v_mad_u32_u24 v20, v5, s8, v14
	s_waitcnt vmcnt(0) lgkmcnt(0)
	ds_write_b32 v20, v17
	v_add_u32_e32 v17, 8, v5
	v_mul_u32_u24_e32 v15, 0x84, v5
	v_cmp_gt_i32_e64 s[8:9], s34, v17
	s_and_saveexec_b64 s[12:13], s[8:9]
	s_cbranch_execz .LBB151_17
; %bb.16:
	s_lshl_b64 s[8:9], s[26:27], 5
	v_mov_b32_e32 v13, s9
	v_add_co_u32_e64 v20, s[8:9], s8, v10
	v_addc_co_u32_e64 v21, s[8:9], v11, v13, s[8:9]
	flat_load_dword v13, v[20:21]
.LBB151_17:
	s_or_b64 exec, exec, s[12:13]
	v_add_u32_e32 v14, v15, v14
	s_waitcnt vmcnt(0) lgkmcnt(0)
	ds_write_b32 v14, v13 offset:1056
	v_add_u32_e32 v13, 16, v5
	v_cmp_gt_i32_e64 s[8:9], s34, v13
	v_mov_b32_e32 v13, 0
	v_mov_b32_e32 v15, 0
	s_and_saveexec_b64 s[12:13], s[8:9]
	s_cbranch_execz .LBB151_19
; %bb.18:
	s_lshl_b64 s[8:9], s[26:27], 6
	v_mov_b32_e32 v15, s9
	v_add_co_u32_e64 v20, s[8:9], s8, v10
	v_addc_co_u32_e64 v21, s[8:9], v11, v15, s[8:9]
	flat_load_dword v15, v[20:21]
.LBB151_19:
	s_or_b64 exec, exec, s[12:13]
	s_waitcnt vmcnt(0) lgkmcnt(0)
	ds_write_b32 v14, v15 offset:2112
	v_add_u32_e32 v15, 24, v5
	v_cmp_gt_i32_e64 s[8:9], s34, v15
	s_and_saveexec_b64 s[12:13], s[8:9]
	s_cbranch_execz .LBB151_21
; %bb.20:
	v_mov_b32_e32 v13, 0x60
	v_mad_u64_u32 v[20:21], s[8:9], s26, v13, v[10:11]
	s_mul_i32 s8, s27, 0x60
	v_add_u32_e32 v21, s8, v21
	flat_load_dword v13, v[20:21]
.LBB151_21:
	s_or_b64 exec, exec, s[12:13]
	v_add_co_u32_e64 v10, s[8:9], v10, v12
	v_addc_co_u32_e64 v11, s[8:9], 0, v11, s[8:9]
	v_mov_b32_e32 v12, s11
	v_subrev_co_u32_e64 v10, s[8:9], s10, v10
	v_subb_co_u32_e64 v11, s[8:9], v11, v12, s[8:9]
	v_add_co_u32_e64 v10, s[8:9], 4, v10
	v_addc_co_u32_e64 v11, s[8:9], 0, v11, s[8:9]
	v_cndmask_b32_e32 v4, v11, v4, vcc
	v_cndmask_b32_e32 v3, v10, v3, vcc
	s_waitcnt vmcnt(0) lgkmcnt(0)
	ds_write_b32 v14, v13 offset:3168
.LBB151_22:
	v_lshlrev_b32_e32 v12, 2, v5
	v_lshlrev_b32_e32 v13, 2, v2
	v_lshl_or_b32 v11, v2, 7, v13
	v_cmp_lt_u32_e64 s[8:9], v12, v2
	s_waitcnt lgkmcnt(0)
	s_barrier
	s_and_saveexec_b64 s[10:11], s[8:9]
	s_cbranch_execz .LBB151_24
; %bb.23:
	s_movk_i32 s12, 0x210
	v_mad_u32_u24 v10, v5, s12, v13
	ds_read_b32 v10, v10
	v_lshl_add_u32 v14, v12, 2, v11
	s_waitcnt lgkmcnt(0)
	ds_write_b32 v14, v10
.LBB151_24:
	s_or_b64 exec, exec, s[10:11]
	v_or_b32_e32 v10, 1, v12
	v_cmp_lt_u32_e64 s[10:11], v10, v2
	s_and_saveexec_b64 s[12:13], s[10:11]
	s_cbranch_execz .LBB151_26
; %bb.25:
	s_movk_i32 s14, 0x84
	v_mad_u32_u24 v14, v10, s14, v13
	ds_read_b32 v14, v14
	v_lshl_add_u32 v15, v12, 2, v11
	s_waitcnt lgkmcnt(0)
	ds_write_b32 v15, v14 offset:4
.LBB151_26:
	s_or_b64 exec, exec, s[12:13]
	v_or_b32_e32 v14, 2, v12
	v_cmp_lt_u32_e64 s[12:13], v14, v2
	s_and_saveexec_b64 s[14:15], s[12:13]
	s_cbranch_execz .LBB151_28
; %bb.27:
	s_movk_i32 s16, 0x84
	v_mad_u32_u24 v14, v14, s16, v13
	ds_read_b32 v14, v14
	v_lshl_add_u32 v15, v12, 2, v11
	s_waitcnt lgkmcnt(0)
	ds_write_b32 v15, v14 offset:8
.LBB151_28:
	s_or_b64 exec, exec, s[14:15]
	v_or_b32_e32 v15, 3, v12
	v_cmp_lt_u32_e64 s[14:15], v15, v2
	v_cmp_ge_u32_e32 vcc, v15, v2
                                        ; implicit-def: $vgpr14
	s_and_saveexec_b64 s[16:17], vcc
	s_xor_b64 s[16:17], exec, s[16:17]
; %bb.29:
	v_mul_u32_u24_e32 v14, 0x84, v15
                                        ; implicit-def: $vgpr11
                                        ; implicit-def: $vgpr15
; %bb.30:
	s_andn2_saveexec_b64 s[16:17], s[16:17]
	s_cbranch_execz .LBB151_32
; %bb.31:
	s_movk_i32 s20, 0x84
	v_mad_u32_u24 v14, v15, s20, v13
	ds_read_b32 v17, v14
	v_lshl_add_u32 v11, v12, 2, v11
	v_mul_u32_u24_e32 v14, 0x84, v15
	s_waitcnt lgkmcnt(0)
	ds_write_b32 v11, v17 offset:12
.LBB151_32:
	s_or_b64 exec, exec, s[16:17]
	s_movk_i32 s16, 0x210
	v_mad_u32_u24 v11, v5, s16, v13
	s_movk_i32 s16, 0x84
	s_waitcnt lgkmcnt(0)
	s_barrier
	v_lshlrev_b32_e32 v21, 2, v12
	ds_read_b32 v15, v11
	ds_read_b128 v[25:28], v21 offset:4544
	v_mad_u32_u24 v11, v10, s16, v13
	ds_read2_b32 v[22:23], v11 offset1:33
	v_add_u32_e32 v11, v13, v14
	ds_read_b32 v14, v11
	s_waitcnt lgkmcnt(2)
	v_fma_f32 v15, v15, v25, 0
	v_mov_b32_e32 v24, 0
	s_waitcnt lgkmcnt(1)
	v_fmac_f32_e32 v15, v22, v26
	v_fmac_f32_e32 v15, v23, v27
	s_waitcnt lgkmcnt(0)
	v_fmac_f32_e32 v15, v14, v28
	v_mul_u32_u24_e32 v14, 33, v2
	v_lshlrev_b32_e32 v17, 2, v14
	v_lshl_add_u32 v20, v5, 2, v17
	v_cmp_gt_u32_e64 s[20:21], 32, v16
	s_barrier
	ds_write_b32 v20, v15
	s_waitcnt lgkmcnt(0)
	s_barrier
	s_and_saveexec_b64 s[16:17], s[20:21]
	s_cbranch_execz .LBB151_34
; %bb.33:
	ds_read2_b32 v[14:15], v17 offset1:1
	ds_read2_b32 v[22:23], v17 offset0:2 offset1:3
	ds_read2_b32 v[24:25], v17 offset0:4 offset1:5
	;; [unrolled: 1-line block ×3, first 2 shown]
	s_waitcnt lgkmcnt(3)
	v_add_f32_e32 v14, v14, v15
	s_waitcnt lgkmcnt(2)
	v_add_f32_e32 v14, v14, v22
	v_add_f32_e32 v14, v14, v23
	s_waitcnt lgkmcnt(1)
	v_add_f32_e32 v14, v14, v24
	;; [unrolled: 3-line block ×3, first 2 shown]
	v_add_f32_e32 v24, v14, v27
.LBB151_34:
	s_or_b64 exec, exec, s[16:17]
	s_lshl_b64 s[24:25], s[26:27], 7
	v_mov_b32_e32 v14, s25
	v_add_co_u32_e32 v3, vcc, s24, v3
	v_addc_co_u32_e32 v4, vcc, v4, v14, vcc
	v_add_co_u32_e32 v14, vcc, 0x80, v3
	v_addc_co_u32_e32 v15, vcc, 0, v4, vcc
	v_cndmask_b32_e64 v22, 0, 1, s[18:19]
	s_lshl_b64 s[42:43], s[26:27], 5
	v_cmp_ne_u32_e64 s[16:17], 1, v22
	s_andn2_b64 vcc, exec, s[18:19]
	s_mov_b64 s[18:19], -1
	s_barrier
	s_cbranch_vccnz .LBB151_36
; %bb.35:
	v_mov_b32_e32 v28, s43
	v_add_co_u32_e32 v22, vcc, s42, v3
	v_addc_co_u32_e32 v23, vcc, v4, v28, vcc
	v_add_co_u32_e32 v25, vcc, s42, v22
	v_addc_co_u32_e32 v26, vcc, v23, v28, vcc
	v_add_co_u32_e32 v27, vcc, s42, v25
	v_addc_co_u32_e32 v28, vcc, v26, v28, vcc
	flat_load_dword v29, v[3:4] offset:128
	flat_load_dword v30, v[22:23] offset:128
	;; [unrolled: 1-line block ×4, first 2 shown]
	s_movk_i32 s18, 0x84
	v_mad_u32_u24 v22, v5, s18, v13
	s_mov_b64 s[18:19], 0
	s_waitcnt vmcnt(0) lgkmcnt(0)
	ds_write_b32 v22, v29
	ds_write_b32 v22, v30 offset:1056
	ds_write_b32 v22, v31 offset:2112
	;; [unrolled: 1-line block ×3, first 2 shown]
.LBB151_36:
	s_andn2_b64 vcc, exec, s[18:19]
	s_cbranch_vccnz .LBB151_46
; %bb.37:
	v_lshlrev_b32_e32 v22, 2, v2
	v_sub_co_u32_e32 v3, vcc, v3, v22
	s_ashr_i32 s35, s34, 31
	v_subbrev_co_u32_e32 v4, vcc, 0, v4, vcc
	s_lshl_b64 s[44:45], s[34:35], 2
	v_mov_b32_e32 v26, s45
	v_add_co_u32_e32 v3, vcc, s44, v3
	v_addc_co_u32_e32 v4, vcc, v4, v26, vcc
	v_or_b32_e32 v25, 32, v2
	v_add_co_u32_e32 v3, vcc, -4, v3
	v_addc_co_u32_e32 v4, vcc, -1, v4, vcc
	v_cmp_gt_i32_e64 s[18:19], s34, v25
	s_sub_i32 s31, s34, 32
	v_mov_b32_e32 v23, 0
	v_cndmask_b32_e64 v4, v4, v15, s[18:19]
	v_cndmask_b32_e64 v3, v3, v14, s[18:19]
	v_cmp_gt_i32_e32 vcc, s31, v5
	v_mov_b32_e32 v26, 0
	s_and_saveexec_b64 s[46:47], vcc
	s_cbranch_execz .LBB151_39
; %bb.38:
	flat_load_dword v26, v[3:4]
.LBB151_39:
	s_or_b64 exec, exec, s[46:47]
	s_movk_i32 s33, 0x84
	v_mad_u32_u24 v27, v5, s33, v13
	s_waitcnt vmcnt(0) lgkmcnt(0)
	ds_write_b32 v27, v26
	v_add_u32_e32 v26, 8, v5
	v_mul_u32_u24_e32 v25, 0x84, v5
	v_cmp_gt_i32_e32 vcc, s31, v26
	s_and_saveexec_b64 s[46:47], vcc
	s_cbranch_execz .LBB151_41
; %bb.40:
	v_mov_b32_e32 v23, s43
	v_add_co_u32_e32 v26, vcc, s42, v3
	v_addc_co_u32_e32 v27, vcc, v4, v23, vcc
	flat_load_dword v23, v[26:27]
.LBB151_41:
	s_or_b64 exec, exec, s[46:47]
	v_add_u32_e32 v25, v25, v13
	s_waitcnt vmcnt(0) lgkmcnt(0)
	ds_write_b32 v25, v23 offset:1056
	v_add_u32_e32 v23, 16, v5
	v_cmp_gt_i32_e32 vcc, s31, v23
	v_mov_b32_e32 v23, 0
	v_mov_b32_e32 v26, 0
	s_and_saveexec_b64 s[46:47], vcc
	s_cbranch_execz .LBB151_43
; %bb.42:
	s_lshl_b64 s[48:49], s[26:27], 6
	v_mov_b32_e32 v27, s49
	v_add_co_u32_e32 v26, vcc, s48, v3
	v_addc_co_u32_e32 v27, vcc, v4, v27, vcc
	flat_load_dword v26, v[26:27]
.LBB151_43:
	s_or_b64 exec, exec, s[46:47]
	s_waitcnt vmcnt(0) lgkmcnt(0)
	ds_write_b32 v25, v26 offset:2112
	v_add_u32_e32 v26, 24, v5
	v_cmp_gt_i32_e32 vcc, s31, v26
	s_and_saveexec_b64 s[46:47], vcc
	s_cbranch_execz .LBB151_45
; %bb.44:
	v_mov_b32_e32 v23, 0x60
	v_mad_u64_u32 v[26:27], s[48:49], s26, v23, v[3:4]
	s_mul_i32 s31, s27, 0x60
	v_add_u32_e32 v27, s31, v27
	flat_load_dword v23, v[26:27]
.LBB151_45:
	s_or_b64 exec, exec, s[46:47]
	v_add_co_u32_e32 v3, vcc, v3, v22
	v_addc_co_u32_e32 v4, vcc, 0, v4, vcc
	v_mov_b32_e32 v22, s45
	v_subrev_co_u32_e32 v3, vcc, s44, v3
	v_subb_co_u32_e32 v4, vcc, v4, v22, vcc
	v_add_co_u32_e32 v3, vcc, 0x84, v3
	v_addc_co_u32_e32 v4, vcc, 0, v4, vcc
	v_cndmask_b32_e64 v15, v4, v15, s[18:19]
	v_cndmask_b32_e64 v14, v3, v14, s[18:19]
	s_waitcnt vmcnt(0) lgkmcnt(0)
	ds_write_b32 v25, v23 offset:3168
.LBB151_46:
	v_mul_u32_u24_e32 v3, 0x210, v5
	v_add_u32_e32 v21, 0x11c0, v21
	v_mul_u32_u24_e32 v4, 0x84, v10
	v_add_u32_e32 v3, v13, v3
	s_waitcnt lgkmcnt(0)
	s_barrier
	s_and_saveexec_b64 s[18:19], s[8:9]
	s_cbranch_execnz .LBB151_55
; %bb.47:
	s_or_b64 exec, exec, s[18:19]
	v_add_u32_e32 v4, v13, v4
	s_and_saveexec_b64 s[8:9], s[10:11]
	s_cbranch_execnz .LBB151_56
.LBB151_48:
	s_or_b64 exec, exec, s[8:9]
	s_and_saveexec_b64 s[8:9], s[12:13]
	s_cbranch_execnz .LBB151_57
.LBB151_49:
	s_or_b64 exec, exec, s[8:9]
	s_and_saveexec_b64 s[8:9], s[14:15]
	s_cbranch_execz .LBB151_51
.LBB151_50:
	ds_read_b32 v10, v11
	v_lshl_add_u32 v22, v12, 2, v17
	s_waitcnt lgkmcnt(0)
	ds_write_b32 v22, v10 offset:12
.LBB151_51:
	s_or_b64 exec, exec, s[8:9]
	s_waitcnt lgkmcnt(0)
	s_barrier
	ds_read_b32 v10, v3
	ds_read_b128 v[25:28], v21 offset:128
	ds_read2_b32 v[3:4], v4 offset1:33
	ds_read_b32 v11, v11
	v_cmp_eq_u32_e64 s[8:9], 1, v5
	s_waitcnt lgkmcnt(0)
	v_fma_f32 v10, v10, v25, 0
	v_fmac_f32_e32 v10, v3, v26
	v_fmac_f32_e32 v10, v4, v27
	;; [unrolled: 1-line block ×3, first 2 shown]
	s_barrier
	ds_write_b32 v20, v10
	s_waitcnt lgkmcnt(0)
	s_barrier
	s_and_saveexec_b64 s[10:11], s[8:9]
	s_cbranch_execz .LBB151_53
; %bb.52:
	ds_read2_b32 v[3:4], v17 offset1:1
	ds_read2_b32 v[10:11], v17 offset0:2 offset1:3
	ds_read2_b32 v[22:23], v17 offset0:4 offset1:5
	ds_read2_b32 v[24:25], v17 offset0:6 offset1:7
	s_waitcnt lgkmcnt(3)
	v_add_f32_e32 v3, v3, v4
	s_waitcnt lgkmcnt(2)
	v_add_f32_e32 v3, v3, v10
	v_add_f32_e32 v3, v3, v11
	s_waitcnt lgkmcnt(1)
	v_add_f32_e32 v3, v3, v22
	;; [unrolled: 3-line block ×3, first 2 shown]
	v_add_f32_e32 v24, v3, v25
.LBB151_53:
	s_or_b64 exec, exec, s[10:11]
	s_lshl_b64 s[10:11], s[42:43], 2
	v_mov_b32_e32 v3, s11
	v_subrev_co_u32_e64 v10, s[10:11], s10, v14
	s_and_b64 vcc, exec, s[16:17]
	v_subb_co_u32_e64 v11, s[10:11], v15, v3, s[10:11]
	s_barrier
	s_cbranch_vccnz .LBB151_58
; %bb.54:
	v_mov_b32_e32 v23, s43
	v_add_co_u32_e32 v3, vcc, s42, v10
	v_addc_co_u32_e32 v4, vcc, v11, v23, vcc
	v_add_co_u32_e32 v14, vcc, s42, v3
	v_addc_co_u32_e32 v15, vcc, v4, v23, vcc
	v_add_co_u32_e32 v22, vcc, s42, v14
	v_addc_co_u32_e32 v23, vcc, v15, v23, vcc
	flat_load_dword v28, v[10:11]
	flat_load_dword v29, v[3:4]
	;; [unrolled: 1-line block ×4, first 2 shown]
	s_movk_i32 s10, 0x84
	v_mov_b32_e32 v3, 0x420
	v_mov_b32_e32 v4, 0x840
	;; [unrolled: 1-line block ×3, first 2 shown]
	v_mul_u32_u24_e32 v15, 0x84, v5
	v_add_u32_e32 v14, 8, v5
	v_add_u32_e32 v22, 16, v5
	v_add_u32_e32 v25, 24, v5
	v_mad_u32_u24 v32, v5, s10, v13
	v_mad_u32_u24 v23, v5, s10, v3
	;; [unrolled: 1-line block ×4, first 2 shown]
	v_add_u32_e32 v3, v13, v23
	v_add_u32_e32 v4, v13, v26
	;; [unrolled: 1-line block ×3, first 2 shown]
	s_waitcnt vmcnt(0) lgkmcnt(0)
	ds_write_b32 v32, v28
	ds_write_b32 v3, v29
	;; [unrolled: 1-line block ×4, first 2 shown]
	s_cbranch_execz .LBB151_59
	s_branch .LBB151_68
.LBB151_55:
	ds_read_b32 v10, v3
	v_lshl_add_u32 v22, v12, 2, v17
	s_waitcnt lgkmcnt(0)
	ds_write_b32 v22, v10
	s_or_b64 exec, exec, s[18:19]
	v_add_u32_e32 v4, v13, v4
	s_and_saveexec_b64 s[8:9], s[10:11]
	s_cbranch_execz .LBB151_48
.LBB151_56:
	ds_read_b32 v10, v4
	v_lshl_add_u32 v22, v12, 2, v17
	s_waitcnt lgkmcnt(0)
	ds_write_b32 v22, v10 offset:4
	s_or_b64 exec, exec, s[8:9]
	s_and_saveexec_b64 s[8:9], s[12:13]
	s_cbranch_execz .LBB151_49
.LBB151_57:
	ds_read_b32 v10, v4 offset:132
	v_lshl_add_u32 v22, v12, 2, v17
	s_waitcnt lgkmcnt(0)
	ds_write_b32 v22, v10 offset:8
	s_or_b64 exec, exec, s[8:9]
	s_and_saveexec_b64 s[8:9], s[14:15]
	s_cbranch_execnz .LBB151_50
	s_branch .LBB151_51
.LBB151_58:
                                        ; implicit-def: $vgpr15
                                        ; implicit-def: $vgpr14
                                        ; implicit-def: $vgpr23
                                        ; implicit-def: $vgpr22
                                        ; implicit-def: $vgpr26
                                        ; implicit-def: $vgpr25
                                        ; implicit-def: $vgpr27
.LBB151_59:
	v_or_b32_e32 v3, 32, v2
	v_lshlrev_b32_e32 v4, 2, v3
	v_sub_co_u32_e32 v4, vcc, v10, v4
	s_ashr_i32 s35, s34, 31
	v_subbrev_co_u32_e32 v14, vcc, 0, v11, vcc
	s_lshl_b64 s[12:13], s[34:35], 2
	v_mov_b32_e32 v15, s13
	v_add_co_u32_e32 v4, vcc, s12, v4
	v_addc_co_u32_e32 v14, vcc, v14, v15, vcc
	v_add_co_u32_e32 v15, vcc, -4, v4
	v_addc_co_u32_e32 v4, vcc, -1, v14, vcc
	v_cmp_gt_i32_e64 s[10:11], s34, v3
	v_mov_b32_e32 v22, 0
	v_cndmask_b32_e64 v4, v4, v11, s[10:11]
	v_cndmask_b32_e64 v3, v15, v10, s[10:11]
	v_cmp_gt_i32_e32 vcc, s34, v5
	v_mov_b32_e32 v14, 0
	s_and_saveexec_b64 s[14:15], vcc
	s_cbranch_execz .LBB151_61
; %bb.60:
	flat_load_dword v14, v[3:4]
.LBB151_61:
	s_or_b64 exec, exec, s[14:15]
	s_movk_i32 s14, 0x84
	v_mad_u32_u24 v23, v5, s14, v13
	s_waitcnt vmcnt(0) lgkmcnt(0)
	ds_write_b32 v23, v14
	v_add_u32_e32 v14, 8, v5
	v_mul_u32_u24_e32 v15, 0x84, v5
	v_cmp_gt_i32_e32 vcc, s34, v14
	s_and_saveexec_b64 s[14:15], vcc
	s_cbranch_execz .LBB151_63
; %bb.62:
	v_mov_b32_e32 v23, s43
	v_add_co_u32_e32 v22, vcc, s42, v3
	v_addc_co_u32_e32 v23, vcc, v4, v23, vcc
	flat_load_dword v22, v[22:23]
.LBB151_63:
	s_or_b64 exec, exec, s[14:15]
	v_add_u32_e32 v23, 0x420, v15
	v_add_u32_e32 v25, v13, v23
	s_waitcnt vmcnt(0) lgkmcnt(0)
	ds_write_b32 v25, v22
	v_add_u32_e32 v22, 16, v5
	v_cmp_gt_i32_e32 vcc, s34, v22
	v_mov_b32_e32 v28, 0
	v_mov_b32_e32 v25, 0
	s_and_saveexec_b64 s[14:15], vcc
	s_cbranch_execz .LBB151_65
; %bb.64:
	s_lshl_b64 s[16:17], s[26:27], 6
	v_mov_b32_e32 v26, s17
	v_add_co_u32_e32 v25, vcc, s16, v3
	v_addc_co_u32_e32 v26, vcc, v4, v26, vcc
	flat_load_dword v25, v[25:26]
.LBB151_65:
	s_or_b64 exec, exec, s[14:15]
	v_add_u32_e32 v26, 0x420, v23
	v_add_u32_e32 v27, v13, v26
	s_waitcnt vmcnt(0) lgkmcnt(0)
	ds_write_b32 v27, v25
	v_add_u32_e32 v25, 24, v5
	v_cmp_gt_i32_e32 vcc, s34, v25
	s_and_saveexec_b64 s[14:15], vcc
	s_cbranch_execz .LBB151_67
; %bb.66:
	v_mov_b32_e32 v5, 0x60
	v_mad_u64_u32 v[27:28], s[16:17], s26, v5, v[3:4]
	s_mul_i32 s16, s27, 0x60
	v_add_u32_e32 v28, s16, v28
	flat_load_dword v28, v[27:28]
.LBB151_67:
	s_or_b64 exec, exec, s[14:15]
	v_lshlrev_b32_e32 v2, 2, v2
	v_add_co_u32_e32 v2, vcc, v3, v2
	v_addc_co_u32_e32 v3, vcc, 0, v4, vcc
	v_mov_b32_e32 v4, s13
	v_subrev_co_u32_e32 v2, vcc, s12, v2
	v_subb_co_u32_e32 v3, vcc, v3, v4, vcc
	v_add_co_u32_e32 v2, vcc, 0x84, v2
	v_add_u32_e32 v27, 0x420, v26
	v_addc_co_u32_e32 v3, vcc, 0, v3, vcc
	v_add_u32_e32 v5, v13, v27
	v_cndmask_b32_e64 v11, v3, v11, s[10:11]
	v_cndmask_b32_e64 v10, v2, v10, s[10:11]
	s_waitcnt vmcnt(0) lgkmcnt(0)
	ds_write_b32 v5, v28
.LBB151_68:
	v_add_u32_e32 v2, v13, v15
	s_waitcnt lgkmcnt(0)
	s_barrier
	v_add_u32_e32 v3, v13, v23
	ds_read_b32 v23, v2
	ds_read_b32 v28, v12 offset:4544
	ds_read_b32 v29, v3
	v_lshlrev_b32_e32 v2, 2, v14
	v_add_u32_e32 v3, v13, v26
	v_lshlrev_b32_e32 v4, 2, v22
	v_add_u32_e32 v5, v13, v27
	v_lshlrev_b32_e32 v13, 2, v25
	v_lshl_add_u32 v12, v12, 2, v17
	ds_read_b32 v22, v2 offset:4544
	ds_read_b32 v25, v3
	ds_read_b32 v26, v4 offset:4544
	ds_read_b32 v27, v5
	ds_read_b32 v30, v13 offset:4544
	ds_read2_b32 v[14:15], v12 offset1:1
	ds_read_b128 v[2:5], v21 offset:128
	ds_read2_b32 v[12:13], v12 offset0:2 offset1:3
	s_waitcnt lgkmcnt(9)
	v_fma_f32 v21, v23, v28, 0
	s_waitcnt lgkmcnt(7)
	v_fmac_f32_e32 v21, v29, v22
	s_waitcnt lgkmcnt(5)
	v_fmac_f32_e32 v21, v25, v26
	;; [unrolled: 2-line block ×3, first 2 shown]
	s_waitcnt lgkmcnt(0)
	s_barrier
	ds_write_b32 v20, v21
	s_waitcnt lgkmcnt(0)
	s_barrier
	s_and_saveexec_b64 s[10:11], s[8:9]
	s_cbranch_execz .LBB151_70
; %bb.69:
	ds_read2_b32 v[21:22], v17 offset1:1
	ds_read2_b32 v[25:26], v17 offset0:2 offset1:3
	ds_read2_b32 v[27:28], v17 offset0:4 offset1:5
	;; [unrolled: 1-line block ×3, first 2 shown]
	s_waitcnt lgkmcnt(3)
	v_add_f32_e32 v21, v24, v21
	v_add_f32_e32 v21, v21, v22
	s_waitcnt lgkmcnt(2)
	v_add_f32_e32 v21, v21, v25
	v_add_f32_e32 v21, v21, v26
	;; [unrolled: 3-line block ×4, first 2 shown]
.LBB151_70:
	s_or_b64 exec, exec, s[10:11]
	v_fma_f32 v2, v14, v2, 0
	v_fmac_f32_e32 v2, v15, v3
	v_fmac_f32_e32 v2, v12, v4
	;; [unrolled: 1-line block ×3, first 2 shown]
	s_barrier
	ds_write_b32 v20, v2
	s_waitcnt lgkmcnt(0)
	s_barrier
	s_and_saveexec_b64 s[8:9], s[20:21]
	s_cbranch_execz .LBB151_72
; %bb.71:
	ds_read2_b32 v[2:3], v17 offset1:1
	ds_read2_b32 v[4:5], v17 offset0:2 offset1:3
	ds_read2_b32 v[12:13], v17 offset0:4 offset1:5
	;; [unrolled: 1-line block ×3, first 2 shown]
	s_waitcnt lgkmcnt(3)
	v_add_f32_e32 v2, v24, v2
	v_add_f32_e32 v2, v2, v3
	s_waitcnt lgkmcnt(2)
	v_add_f32_e32 v2, v2, v4
	v_add_f32_e32 v2, v2, v5
	;; [unrolled: 3-line block ×4, first 2 shown]
.LBB151_72:
	s_or_b64 exec, exec, s[8:9]
	s_load_dwordx2 s[4:5], s[4:5], 0x60
	s_mul_hi_u32 s8, s30, s28
	s_mul_i32 s29, s29, s28
	s_add_i32 s8, s8, s29
	s_mul_i32 s10, s30, s28
	s_mul_i32 s8, s8, s7
	s_mul_hi_u32 s9, s10, s7
	s_add_i32 s9, s9, s8
	s_mul_i32 s8, s10, s7
	s_lshl_b64 s[8:9], s[8:9], 2
	s_waitcnt lgkmcnt(0)
	s_add_u32 s7, s4, s8
	s_mul_i32 s4, s30, s6
	s_addc_u32 s8, s5, s9
	s_ashr_i32 s5, s4, 31
	s_lshl_b64 s[4:5], s[4:5], 2
	s_add_u32 s7, s7, s4
	v_cmp_le_i32_e32 vcc, s34, v0
	s_addc_u32 s20, s8, s5
	s_and_b64 s[4:5], s[40:41], vcc
	s_cmp_lt_i32 s6, 1
	v_lshlrev_b32_e32 v25, 2, v0
	s_barrier
	s_cbranch_scc1 .LBB151_79
; %bb.73:
	s_mul_i32 s8, s22, s37
	s_mul_hi_u32 s9, s22, s36
	s_add_i32 s8, s9, s8
	s_mul_i32 s9, s23, s36
	s_add_i32 s9, s8, s9
	s_mul_i32 s8, s22, s36
	s_lshl_b64 s[8:9], s[8:9], 2
	v_mov_b32_e32 v2, s9
	v_subrev_co_u32_e32 v26, vcc, s8, v6
	v_subb_co_u32_e32 v27, vcc, v7, v2, vcc
	v_mov_b32_e32 v2, s39
	v_subrev_co_u32_e32 v3, vcc, s38, v10
	v_subb_co_u32_e32 v4, vcc, v11, v2, vcc
	s_movk_i32 s8, 0xff80
	v_lshlrev_b32_e32 v7, 2, v1
	v_add_co_u32_e32 v6, vcc, s8, v3
	v_mad_u64_u32 v[2:3], s[8:9], s26, v7, 0
	v_addc_co_u32_e32 v10, vcc, -1, v4, vcc
	v_mad_u64_u32 v[3:4], s[8:9], s27, v7, v[3:4]
	v_sub_co_u32_e32 v4, vcc, v6, v8
	v_lshlrev_b64 v[2:3], 2, v[2:3]
	v_subb_co_u32_e32 v6, vcc, v10, v9, vcc
	v_add_co_u32_e32 v2, vcc, v4, v2
	s_ashr_i32 s35, s34, 31
	v_addc_co_u32_e32 v3, vcc, v6, v3, vcc
	s_lshl_b64 s[8:9], s[34:35], 2
	v_mov_b32_e32 v4, s9
	v_add_co_u32_e32 v6, vcc, s8, v2
	v_addc_co_u32_e32 v4, vcc, v3, v4, vcc
	v_add_co_u32_e32 v6, vcc, -4, v6
	v_addc_co_u32_e32 v4, vcc, -1, v4, vcc
	v_add_co_u32_e32 v2, vcc, v2, v25
	v_addc_co_u32_e32 v3, vcc, 0, v3, vcc
	v_cndmask_b32_e64 v23, v3, v4, s[4:5]
	s_movk_i32 s8, 0x430
	v_lshrrev_b32_e32 v4, 2, v16
	v_and_b32_e32 v5, 15, v0
	v_mad_u32_u24 v31, v1, s8, v25
	s_movk_i32 s8, 0x10c
	v_and_b32_e32 v4, 0x1ffc, v4
	v_mad_u32_u24 v32, v5, s8, v4
	v_and_b32_e32 v4, 48, v0
	v_lshlrev_b32_e32 v4, 2, v4
	s_mul_i32 s31, s27, 0x8c
	s_mul_hi_u32 s33, s26, 0x8c
	v_mad_u32_u24 v33, v5, s8, v4
	v_or_b32_e32 v4, 60, v25
	s_add_i32 s38, s33, s31
	s_mul_i32 s33, s27, 0xc0
	s_mul_hi_u32 s34, s26, 0xc0
	v_mad_u32_u24 v34, v5, s8, v4
	s_mul_i32 s8, s27, 12
	s_mul_hi_u32 s9, s26, 12
	s_add_i32 s39, s34, s33
	s_mul_i32 s34, s27, 0xc8
	s_mul_hi_u32 s35, s26, 0xc8
	s_add_i32 s8, s9, s8
	;; [unrolled: 3-line block ×5, first 2 shown]
	s_mul_i32 s36, s27, 0xc4
	s_mul_hi_u32 s37, s26, 0xc4
	v_cndmask_b32_e64 v22, v2, v6, s[4:5]
	v_mov_b32_e32 v2, 0x10c0
	s_lshl_b64 s[10:11], s[26:27], 2
	s_lshl_b64 s[12:13], s[26:27], 3
	;; [unrolled: 1-line block ×4, first 2 shown]
	s_add_i32 s18, s19, s18
	s_mul_i32 s19, s27, 0x88
	s_mul_hi_u32 s30, s26, 0x88
	s_add_i32 s42, s37, s36
	s_mul_i32 s37, s27, 0x84
	s_mul_hi_u32 s43, s26, 0x84
	s_mulk_i32 s27, 0x44
	s_mul_hi_u32 s44, s26, 0x44
	v_lshl_add_u32 v29, v1, 4, v2
	v_mul_u32_u24_e32 v2, 0x10c, v5
	v_and_b32_e32 v3, 0x7ff0, v16
	s_add_i32 s19, s30, s19
	s_add_i32 s43, s43, s37
	;; [unrolled: 1-line block ×3, first 2 shown]
	v_mov_b32_e32 v21, 0
	v_add_u32_e32 v28, 0x10c0, v25
	v_add_u32_e32 v30, 0x11c0, v25
	v_cmp_gt_u32_e32 vcc, 64, v16
	s_mul_i32 s21, s26, 12
	s_mul_i32 s28, s26, 0x48
	;; [unrolled: 1-line block ×10, first 2 shown]
	s_mulk_i32 s26, 0x44
	s_mov_b32 s27, 0
	v_mov_b32_e32 v35, s11
	v_mov_b32_e32 v36, s13
	;; [unrolled: 1-line block ×3, first 2 shown]
	v_add_u32_e32 v38, v2, v3
	v_mov_b32_e32 v39, s17
	v_mov_b32_e32 v40, s44
	;; [unrolled: 1-line block ×12, first 2 shown]
	s_branch .LBB151_75
.LBB151_74:                             ;   in Loop: Header=BB151_75 Depth=1
	s_or_b64 exec, exec, s[18:19]
	v_fmac_f32_e32 v24, v54, v2
	v_fmac_f32_e32 v24, v52, v3
	;; [unrolled: 1-line block ×15, first 2 shown]
	v_mov_b32_e32 v2, s15
	s_add_i32 s27, s27, 64
	s_add_i32 s6, s6, -1
	v_add_co_u32_e64 v22, s[8:9], s14, v22
	v_fmac_f32_e32 v24, v63, v17
	s_cmp_eq_u32 s6, 0
	v_addc_co_u32_e64 v23, s[8:9], v23, v2, s[8:9]
	s_waitcnt vmcnt(0)
	s_barrier
	s_cbranch_scc1 .LBB151_79
.LBB151_75:                             ; =>This Inner Loop Header: Depth=1
	s_and_saveexec_b64 s[18:19], s[2:3]
	s_cbranch_execz .LBB151_77
; %bb.76:                               ;   in Loop: Header=BB151_75 Depth=1
	s_mul_i32 s8, s23, s27
	s_mul_hi_u32 s9, s22, s27
	s_add_i32 s9, s9, s8
	s_mul_i32 s8, s22, s27
	s_lshl_b64 s[8:9], s[8:9], 2
	v_mov_b32_e32 v3, s9
	v_add_co_u32_e64 v2, s[8:9], s8, v26
	v_addc_co_u32_e64 v3, s[8:9], v27, v3, s[8:9]
	flat_load_dword v2, v[2:3]
	s_waitcnt vmcnt(0) lgkmcnt(0)
	ds_write_b32 v28, v2
.LBB151_77:                             ;   in Loop: Header=BB151_75 Depth=1
	s_or_b64 exec, exec, s[18:19]
	v_add_co_u32_e64 v2, s[8:9], s10, v22
	v_addc_co_u32_e64 v3, s[8:9], v23, v35, s[8:9]
	v_add_co_u32_e64 v4, s[8:9], s12, v22
	v_addc_co_u32_e64 v5, s[8:9], v23, v36, s[8:9]
	v_add_co_u32_e64 v6, s[8:9], s21, v22
	s_waitcnt lgkmcnt(0)
	s_barrier
	v_addc_co_u32_e64 v7, s[8:9], v23, v37, s[8:9]
	flat_load_dword v54, v[22:23]
	flat_load_dword v52, v[2:3]
	;; [unrolled: 1-line block ×4, first 2 shown]
	v_add_co_u32_e64 v6, s[8:9], s16, v22
	v_addc_co_u32_e64 v7, s[8:9], v23, v39, s[8:9]
	ds_read_b32 v14, v30
	ds_read_b128 v[2:5], v29
	v_add_co_u32_e64 v8, s[8:9], s26, v22
	v_addc_co_u32_e64 v9, s[8:9], v23, v40, s[8:9]
	v_add_co_u32_e64 v10, s[8:9], s28, v22
	v_addc_co_u32_e64 v11, s[8:9], v23, v41, s[8:9]
	;; [unrolled: 2-line block ×3, first 2 shown]
	s_waitcnt vmcnt(0) lgkmcnt(0)
	v_mul_f32_e32 v15, v54, v14
	v_mul_f32_e32 v16, v52, v14
	;; [unrolled: 1-line block ×4, first 2 shown]
	ds_write2_b32 v31, v15, v16 offset1:67
	ds_write2_b32 v31, v17, v14 offset0:134 offset1:201
	s_waitcnt lgkmcnt(0)
	s_barrier
	ds_read2_b32 v[14:15], v38 offset1:1
	ds_read2_b32 v[16:17], v38 offset0:2 offset1:3
	s_waitcnt lgkmcnt(0)
	s_barrier
	flat_load_dword v58, v[6:7]
	flat_load_dword v56, v[8:9]
	;; [unrolled: 1-line block ×4, first 2 shown]
	v_add_co_u32_e64 v10, s[8:9], s24, v22
	v_addc_co_u32_e64 v11, s[8:9], v23, v43, s[8:9]
	ds_read_b32 v20, v30
	ds_read_b128 v[6:9], v29 offset:64
	v_add_co_u32_e64 v12, s[8:9], s37, v22
	v_addc_co_u32_e64 v13, s[8:9], v23, v44, s[8:9]
	v_add_co_u32_e64 v63, s[8:9], s30, v22
	v_addc_co_u32_e64 v64, s[8:9], v23, v45, s[8:9]
	;; [unrolled: 2-line block ×7, first 2 shown]
	v_add_f32_e32 v14, 0, v14
	v_add_f32_e32 v14, v14, v15
	;; [unrolled: 1-line block ×3, first 2 shown]
	s_waitcnt vmcnt(0) lgkmcnt(0)
	v_mul_f32_e32 v59, v58, v20
	v_mul_f32_e32 v60, v56, v20
	;; [unrolled: 1-line block ×4, first 2 shown]
	ds_write2_b32 v31, v59, v60 offset1:67
	ds_write2_b32 v31, v61, v20 offset0:134 offset1:201
	s_waitcnt lgkmcnt(0)
	s_barrier
	ds_read2_b32 v[67:68], v38 offset1:1
	ds_read2_b32 v[69:70], v38 offset0:2 offset1:3
	s_waitcnt lgkmcnt(0)
	s_barrier
	flat_load_dword v62, v[10:11]
	flat_load_dword v60, v[12:13]
	;; [unrolled: 1-line block ×4, first 2 shown]
	ds_read_b32 v20, v30
	ds_read_b128 v[10:13], v29 offset:128
	s_waitcnt vmcnt(0) lgkmcnt(0)
	v_mul_f32_e32 v63, v62, v20
	v_mul_f32_e32 v64, v60, v20
	;; [unrolled: 1-line block ×4, first 2 shown]
	ds_write2_b32 v31, v63, v64 offset1:67
	ds_write2_b32 v31, v65, v20 offset0:134 offset1:201
	s_waitcnt lgkmcnt(0)
	s_barrier
	ds_read2_b32 v[79:80], v38 offset1:1
	ds_read2_b32 v[81:82], v38 offset0:2 offset1:3
	s_waitcnt lgkmcnt(0)
	s_barrier
	flat_load_dword v66, v[71:72]
	flat_load_dword v65, v[73:74]
	;; [unrolled: 1-line block ×4, first 2 shown]
	v_add_f32_e32 v20, v14, v17
	v_add_f32_e32 v14, 0, v67
	;; [unrolled: 1-line block ×5, first 2 shown]
	ds_read_b32 v67, v30
	ds_read_b128 v[14:17], v29 offset:192
	v_add_f32_e32 v68, 0, v79
	v_add_f32_e32 v68, v68, v80
	;; [unrolled: 1-line block ×4, first 2 shown]
	s_waitcnt vmcnt(0) lgkmcnt(0)
	v_mul_f32_e32 v68, v66, v67
	v_mul_f32_e32 v69, v65, v67
	;; [unrolled: 1-line block ×4, first 2 shown]
	ds_write2_b32 v31, v68, v69 offset1:67
	ds_write2_b32 v31, v70, v67 offset0:134 offset1:201
	s_waitcnt lgkmcnt(0)
	s_barrier
	ds_read2_b32 v[67:68], v38 offset1:1
	ds_read2_b32 v[69:70], v38 offset0:2 offset1:3
	s_waitcnt lgkmcnt(0)
	s_barrier
	ds_write2_b32 v32, v20, v71 offset1:16
	v_add_f32_e32 v20, 0, v67
	v_add_f32_e32 v20, v20, v68
	;; [unrolled: 1-line block ×4, first 2 shown]
	ds_write2_b32 v32, v72, v20 offset0:32 offset1:48
	s_waitcnt lgkmcnt(0)
	s_barrier
	s_and_saveexec_b64 s[18:19], vcc
	s_cbranch_execz .LBB151_74
; %bb.78:                               ;   in Loop: Header=BB151_75 Depth=1
	ds_read2_b32 v[67:68], v33 offset1:1
	ds_read2_b32 v[69:70], v33 offset0:2 offset1:3
	ds_read2_b32 v[71:72], v33 offset0:4 offset1:5
	;; [unrolled: 1-line block ×4, first 2 shown]
	s_waitcnt lgkmcnt(4)
	v_add_f32_e32 v20, v67, v68
	s_waitcnt lgkmcnt(3)
	v_add_f32_e32 v20, v20, v69
	v_add_f32_e32 v20, v20, v70
	s_waitcnt lgkmcnt(2)
	v_add_f32_e32 v20, v20, v71
	;; [unrolled: 3-line block ×3, first 2 shown]
	v_add_f32_e32 v20, v20, v74
	ds_read2_b32 v[67:68], v33 offset0:10 offset1:11
	ds_read2_b32 v[69:70], v33 offset0:12 offset1:13
	ds_read_b32 v71, v33 offset:56
	s_waitcnt lgkmcnt(3)
	v_add_f32_e32 v20, v20, v75
	v_add_f32_e32 v20, v20, v76
	s_waitcnt lgkmcnt(2)
	v_add_f32_e32 v20, v20, v67
	ds_read_b32 v67, v34
	v_add_f32_e32 v20, v20, v68
	s_waitcnt lgkmcnt(2)
	v_add_f32_e32 v20, v20, v69
	v_add_f32_e32 v20, v20, v70
	s_waitcnt lgkmcnt(1)
	v_add_f32_e32 v20, v20, v71
	s_waitcnt lgkmcnt(0)
	v_add_f32_e32 v69, v20, v67
	v_add_u32_e32 v20, s27, v0
	v_lshlrev_b64 v[67:68], 2, v[20:21]
	v_mov_b32_e32 v20, s20
	v_add_co_u32_e64 v67, s[8:9], s7, v67
	v_addc_co_u32_e64 v68, s[8:9], v20, v68, s[8:9]
	global_store_dword v[67:68], v69, off
	s_branch .LBB151_74
.LBB151_79:
	s_movk_i32 s2, 0x10c
	v_mad_u32_u24 v0, v1, s2, v25
	s_nor_b64 s[0:1], s[0:1], s[4:5]
	ds_write_b32 v0, v24
	s_waitcnt lgkmcnt(0)
	s_barrier
	s_and_saveexec_b64 s[2:3], s[0:1]
	s_cbranch_execz .LBB151_4
; %bb.80:
	ds_read2_b32 v[0:1], v25 offset1:67
	ds_read2_b32 v[2:3], v25 offset0:134 offset1:201
	v_lshlrev_b64 v[4:5], 2, v[18:19]
	v_mov_b32_e32 v6, s20
	s_waitcnt lgkmcnt(1)
	v_add_f32_e32 v0, v0, v1
	s_waitcnt lgkmcnt(0)
	v_add_f32_e32 v0, v0, v2
	v_add_f32_e32 v2, v0, v3
	v_add_co_u32_e32 v0, vcc, s7, v4
	v_addc_co_u32_e32 v1, vcc, v6, v5, vcc
	global_store_dword v[0:1], v2, off
	s_endpgm
	.section	.rodata,"a",@progbits
	.p2align	6, 0x0
	.amdhsa_kernel _ZL26rocblas_hemvn_kernel_lowerILb0ELi64ELi4ELi33ELi32ELi16ElfPKPKfPfEviT6_lT7_lT5_lS6_lS7_lS5_lT8_i
		.amdhsa_group_segment_fixed_size 4800
		.amdhsa_private_segment_fixed_size 0
		.amdhsa_kernarg_size 368
		.amdhsa_user_sgpr_count 6
		.amdhsa_user_sgpr_private_segment_buffer 1
		.amdhsa_user_sgpr_dispatch_ptr 0
		.amdhsa_user_sgpr_queue_ptr 0
		.amdhsa_user_sgpr_kernarg_segment_ptr 1
		.amdhsa_user_sgpr_dispatch_id 0
		.amdhsa_user_sgpr_flat_scratch_init 0
		.amdhsa_user_sgpr_private_segment_size 0
		.amdhsa_uses_dynamic_stack 0
		.amdhsa_system_sgpr_private_segment_wavefront_offset 0
		.amdhsa_system_sgpr_workgroup_id_x 1
		.amdhsa_system_sgpr_workgroup_id_y 0
		.amdhsa_system_sgpr_workgroup_id_z 1
		.amdhsa_system_sgpr_workgroup_info 0
		.amdhsa_system_vgpr_workitem_id 1
		.amdhsa_next_free_vgpr 83
		.amdhsa_next_free_sgpr 50
		.amdhsa_reserve_vcc 1
		.amdhsa_reserve_flat_scratch 0
		.amdhsa_float_round_mode_32 0
		.amdhsa_float_round_mode_16_64 0
		.amdhsa_float_denorm_mode_32 3
		.amdhsa_float_denorm_mode_16_64 3
		.amdhsa_dx10_clamp 1
		.amdhsa_ieee_mode 1
		.amdhsa_fp16_overflow 0
		.amdhsa_exception_fp_ieee_invalid_op 0
		.amdhsa_exception_fp_denorm_src 0
		.amdhsa_exception_fp_ieee_div_zero 0
		.amdhsa_exception_fp_ieee_overflow 0
		.amdhsa_exception_fp_ieee_underflow 0
		.amdhsa_exception_fp_ieee_inexact 0
		.amdhsa_exception_int_div_zero 0
	.end_amdhsa_kernel
	.section	.text._ZL26rocblas_hemvn_kernel_lowerILb0ELi64ELi4ELi33ELi32ELi16ElfPKPKfPfEviT6_lT7_lT5_lS6_lS7_lS5_lT8_i,"axG",@progbits,_ZL26rocblas_hemvn_kernel_lowerILb0ELi64ELi4ELi33ELi32ELi16ElfPKPKfPfEviT6_lT7_lT5_lS6_lS7_lS5_lT8_i,comdat
.Lfunc_end151:
	.size	_ZL26rocblas_hemvn_kernel_lowerILb0ELi64ELi4ELi33ELi32ELi16ElfPKPKfPfEviT6_lT7_lT5_lS6_lS7_lS5_lT8_i, .Lfunc_end151-_ZL26rocblas_hemvn_kernel_lowerILb0ELi64ELi4ELi33ELi32ELi16ElfPKPKfPfEviT6_lT7_lT5_lS6_lS7_lS5_lT8_i
                                        ; -- End function
	.set _ZL26rocblas_hemvn_kernel_lowerILb0ELi64ELi4ELi33ELi32ELi16ElfPKPKfPfEviT6_lT7_lT5_lS6_lS7_lS5_lT8_i.num_vgpr, 83
	.set _ZL26rocblas_hemvn_kernel_lowerILb0ELi64ELi4ELi33ELi32ELi16ElfPKPKfPfEviT6_lT7_lT5_lS6_lS7_lS5_lT8_i.num_agpr, 0
	.set _ZL26rocblas_hemvn_kernel_lowerILb0ELi64ELi4ELi33ELi32ELi16ElfPKPKfPfEviT6_lT7_lT5_lS6_lS7_lS5_lT8_i.numbered_sgpr, 50
	.set _ZL26rocblas_hemvn_kernel_lowerILb0ELi64ELi4ELi33ELi32ELi16ElfPKPKfPfEviT6_lT7_lT5_lS6_lS7_lS5_lT8_i.num_named_barrier, 0
	.set _ZL26rocblas_hemvn_kernel_lowerILb0ELi64ELi4ELi33ELi32ELi16ElfPKPKfPfEviT6_lT7_lT5_lS6_lS7_lS5_lT8_i.private_seg_size, 0
	.set _ZL26rocblas_hemvn_kernel_lowerILb0ELi64ELi4ELi33ELi32ELi16ElfPKPKfPfEviT6_lT7_lT5_lS6_lS7_lS5_lT8_i.uses_vcc, 1
	.set _ZL26rocblas_hemvn_kernel_lowerILb0ELi64ELi4ELi33ELi32ELi16ElfPKPKfPfEviT6_lT7_lT5_lS6_lS7_lS5_lT8_i.uses_flat_scratch, 0
	.set _ZL26rocblas_hemvn_kernel_lowerILb0ELi64ELi4ELi33ELi32ELi16ElfPKPKfPfEviT6_lT7_lT5_lS6_lS7_lS5_lT8_i.has_dyn_sized_stack, 0
	.set _ZL26rocblas_hemvn_kernel_lowerILb0ELi64ELi4ELi33ELi32ELi16ElfPKPKfPfEviT6_lT7_lT5_lS6_lS7_lS5_lT8_i.has_recursion, 0
	.set _ZL26rocblas_hemvn_kernel_lowerILb0ELi64ELi4ELi33ELi32ELi16ElfPKPKfPfEviT6_lT7_lT5_lS6_lS7_lS5_lT8_i.has_indirect_call, 0
	.section	.AMDGPU.csdata,"",@progbits
; Kernel info:
; codeLenInByte = 5748
; TotalNumSgprs: 54
; NumVgprs: 83
; ScratchSize: 0
; MemoryBound: 0
; FloatMode: 240
; IeeeMode: 1
; LDSByteSize: 4800 bytes/workgroup (compile time only)
; SGPRBlocks: 6
; VGPRBlocks: 20
; NumSGPRsForWavesPerEU: 54
; NumVGPRsForWavesPerEU: 83
; Occupancy: 3
; WaveLimiterHint : 1
; COMPUTE_PGM_RSRC2:SCRATCH_EN: 0
; COMPUTE_PGM_RSRC2:USER_SGPR: 6
; COMPUTE_PGM_RSRC2:TRAP_HANDLER: 0
; COMPUTE_PGM_RSRC2:TGID_X_EN: 1
; COMPUTE_PGM_RSRC2:TGID_Y_EN: 0
; COMPUTE_PGM_RSRC2:TGID_Z_EN: 1
; COMPUTE_PGM_RSRC2:TIDIG_COMP_CNT: 1
	.section	.text._ZL36rocblas_hemvn_kernel_lower_block_sumILi64ElfPKPffEviT1_lS3_lT2_lT0_lPT3_i,"axG",@progbits,_ZL36rocblas_hemvn_kernel_lower_block_sumILi64ElfPKPffEviT1_lS3_lT2_lT0_lPT3_i,comdat
	.globl	_ZL36rocblas_hemvn_kernel_lower_block_sumILi64ElfPKPffEviT1_lS3_lT2_lT0_lPT3_i ; -- Begin function _ZL36rocblas_hemvn_kernel_lower_block_sumILi64ElfPKPffEviT1_lS3_lT2_lT0_lPT3_i
	.p2align	8
	.type	_ZL36rocblas_hemvn_kernel_lower_block_sumILi64ElfPKPffEviT1_lS3_lT2_lT0_lPT3_i,@function
_ZL36rocblas_hemvn_kernel_lower_block_sumILi64ElfPKPffEviT1_lS3_lT2_lT0_lPT3_i: ; @_ZL36rocblas_hemvn_kernel_lower_block_sumILi64ElfPKPffEviT1_lS3_lT2_lT0_lPT3_i
; %bb.0:
	s_load_dwordx2 s[8:9], s[4:5], 0x0
	s_load_dword s18, s[4:5], 0x10
	s_mov_b32 s13, 0
	s_waitcnt lgkmcnt(0)
	v_cmp_eq_f32_e64 s[0:1], s9, 0
	v_cmp_eq_f32_e64 s[2:3], s18, 1.0
	s_and_b64 s[0:1], s[0:1], s[2:3]
	s_and_b64 vcc, exec, s[0:1]
	s_cbranch_vccnz .LBB152_19
; %bb.1:
	s_load_dwordx2 s[10:11], s[4:5], 0x20
	s_load_dwordx4 s[0:3], s[4:5], 0x28
	s_mov_b32 s12, s7
	s_lshl_b64 s[14:15], s[12:13], 3
	v_lshl_or_b32 v2, s6, 6, v0
	s_waitcnt lgkmcnt(0)
	s_add_u32 s10, s10, s14
	s_addc_u32 s11, s11, s15
	s_load_dwordx2 s[10:11], s[10:11], 0x0
	s_lshl_b64 s[0:1], s[0:1], 2
	v_cmp_neq_f32_e64 s[14:15], s9, 0
	s_waitcnt lgkmcnt(0)
	s_add_u32 s7, s10, s0
	s_addc_u32 s13, s11, s1
	s_and_b64 vcc, exec, s[14:15]
	v_cmp_gt_i32_e64 s[0:1], s8, v2
	s_cbranch_vccnz .LBB152_6
; %bb.2:
	s_mov_b64 s[14:15], 0
	s_mov_b64 s[10:11], 0
                                        ; implicit-def: $vgpr3
                                        ; implicit-def: $vgpr0_vgpr1
	s_and_saveexec_b64 s[16:17], s[0:1]
	s_cbranch_execz .LBB152_7
; %bb.3:
	v_ashrrev_i32_e32 v0, 31, v2
	v_mul_lo_u32 v4, s3, v2
	v_mul_lo_u32 v5, s2, v0
	v_mad_u64_u32 v[0:1], s[0:1], s2, v2, 0
	v_cmp_eq_f32_e64 s[0:1], s18, 0
	v_mov_b32_e32 v3, 0
	v_add3_u32 v1, v1, v5, v4
	s_and_b64 vcc, exec, s[0:1]
	s_cbranch_vccnz .LBB152_5
; %bb.4:
	v_lshlrev_b64 v[3:4], 2, v[0:1]
	v_mov_b32_e32 v5, s13
	v_add_co_u32_e32 v3, vcc, s7, v3
	v_addc_co_u32_e32 v4, vcc, v5, v4, vcc
	flat_load_dword v3, v[3:4]
	s_waitcnt vmcnt(0) lgkmcnt(0)
	v_mul_f32_e32 v3, s18, v3
.LBB152_5:
	s_mov_b64 s[10:11], exec
	s_or_b64 exec, exec, s[16:17]
	s_and_b64 vcc, exec, s[14:15]
	s_cbranch_vccnz .LBB152_8
	s_branch .LBB152_17
.LBB152_6:
	s_mov_b64 s[10:11], 0
                                        ; implicit-def: $vgpr3
                                        ; implicit-def: $vgpr0_vgpr1
	s_cbranch_execnz .LBB152_8
	s_branch .LBB152_17
.LBB152_7:
	s_or_b64 exec, exec, s[16:17]
	s_and_b64 vcc, exec, s[14:15]
	s_cbranch_vccz .LBB152_17
.LBB152_8:
	v_cmp_gt_i32_e32 vcc, s8, v2
                                        ; implicit-def: $vgpr3
                                        ; implicit-def: $vgpr0_vgpr1
	s_and_saveexec_b64 s[0:1], vcc
	s_cbranch_execz .LBB152_16
; %bb.9:
	s_load_dword s14, s[4:5], 0x50
	v_mov_b32_e32 v4, 0
	s_waitcnt lgkmcnt(0)
	s_cmp_ge_i32 s6, s14
	s_cbranch_scc1 .LBB152_12
; %bb.10:
	s_ashr_i32 s17, s8, 31
	s_mul_i32 s15, s8, s6
	s_load_dwordx2 s[4:5], s[4:5], 0x40
	v_add_u32_e32 v0, s15, v2
	s_mul_hi_u32 s15, s8, s12
	s_mul_i32 s19, s17, s12
	s_mov_b32 s16, s8
	s_add_i32 s15, s15, s19
	s_mul_i32 s8, s8, s12
	s_mul_i32 s15, s15, s14
	s_mul_hi_u32 s12, s8, s14
	s_add_i32 s21, s12, s15
	s_mul_i32 s20, s8, s14
	v_ashrrev_i32_e32 v1, 31, v0
	s_lshl_b64 s[20:21], s[20:21], 2
	v_lshlrev_b64 v[0:1], 2, v[0:1]
	s_waitcnt lgkmcnt(0)
	s_add_u32 s4, s4, s20
	s_addc_u32 s5, s5, s21
	v_mov_b32_e32 v3, s5
	v_add_co_u32_e32 v0, vcc, s4, v0
	s_lshl_b64 s[4:5], s[16:17], 2
	v_addc_co_u32_e32 v1, vcc, v3, v1, vcc
	v_mov_b32_e32 v4, 0
	v_mov_b32_e32 v3, s5
.LBB152_11:                             ; =>This Inner Loop Header: Depth=1
	global_load_dword v5, v[0:1], off
	s_add_i32 s6, s6, 1
	v_add_co_u32_e32 v0, vcc, s4, v0
	v_addc_co_u32_e32 v1, vcc, v1, v3, vcc
	s_cmp_ge_i32 s6, s14
	s_waitcnt vmcnt(0)
	v_add_f32_e32 v4, v4, v5
	s_cbranch_scc0 .LBB152_11
.LBB152_12:
	v_ashrrev_i32_e32 v0, 31, v2
	v_mul_lo_u32 v5, s3, v2
	v_mul_lo_u32 v6, s2, v0
	v_cmp_eq_f32_e64 s[4:5], s18, 0
	s_and_b64 vcc, exec, s[4:5]
	s_cbranch_vccz .LBB152_20
; %bb.13:
	v_mad_u64_u32 v[0:1], s[4:5], s2, v2, 0
	v_mul_f32_e32 v3, s9, v4
	v_add3_u32 v1, v1, v6, v5
	s_cbranch_execnz .LBB152_15
.LBB152_14:
	v_mad_u64_u32 v[0:1], s[2:3], s2, v2, 0
	v_mov_b32_e32 v7, s13
	v_add3_u32 v1, v1, v6, v5
	v_lshlrev_b64 v[2:3], 2, v[0:1]
	v_add_co_u32_e32 v2, vcc, s7, v2
	v_addc_co_u32_e32 v3, vcc, v7, v3, vcc
	flat_load_dword v2, v[2:3]
	s_waitcnt vmcnt(0) lgkmcnt(0)
	v_mul_f32_e32 v3, s18, v2
	v_fmac_f32_e32 v3, s9, v4
.LBB152_15:
	s_or_b64 s[10:11], s[10:11], exec
.LBB152_16:
	s_or_b64 exec, exec, s[0:1]
.LBB152_17:
	s_and_saveexec_b64 s[0:1], s[10:11]
	s_cbranch_execz .LBB152_19
; %bb.18:
	v_lshlrev_b64 v[0:1], 2, v[0:1]
	v_mov_b32_e32 v2, s13
	v_add_co_u32_e32 v0, vcc, s7, v0
	v_addc_co_u32_e32 v1, vcc, v2, v1, vcc
	flat_store_dword v[0:1], v3
.LBB152_19:
	s_endpgm
.LBB152_20:
                                        ; implicit-def: $vgpr3
                                        ; implicit-def: $vgpr0_vgpr1
	s_branch .LBB152_14
	.section	.rodata,"a",@progbits
	.p2align	6, 0x0
	.amdhsa_kernel _ZL36rocblas_hemvn_kernel_lower_block_sumILi64ElfPKPffEviT1_lS3_lT2_lT0_lPT3_i
		.amdhsa_group_segment_fixed_size 0
		.amdhsa_private_segment_fixed_size 0
		.amdhsa_kernarg_size 336
		.amdhsa_user_sgpr_count 6
		.amdhsa_user_sgpr_private_segment_buffer 1
		.amdhsa_user_sgpr_dispatch_ptr 0
		.amdhsa_user_sgpr_queue_ptr 0
		.amdhsa_user_sgpr_kernarg_segment_ptr 1
		.amdhsa_user_sgpr_dispatch_id 0
		.amdhsa_user_sgpr_flat_scratch_init 0
		.amdhsa_user_sgpr_private_segment_size 0
		.amdhsa_uses_dynamic_stack 0
		.amdhsa_system_sgpr_private_segment_wavefront_offset 0
		.amdhsa_system_sgpr_workgroup_id_x 1
		.amdhsa_system_sgpr_workgroup_id_y 0
		.amdhsa_system_sgpr_workgroup_id_z 1
		.amdhsa_system_sgpr_workgroup_info 0
		.amdhsa_system_vgpr_workitem_id 0
		.amdhsa_next_free_vgpr 8
		.amdhsa_next_free_sgpr 22
		.amdhsa_reserve_vcc 1
		.amdhsa_reserve_flat_scratch 0
		.amdhsa_float_round_mode_32 0
		.amdhsa_float_round_mode_16_64 0
		.amdhsa_float_denorm_mode_32 3
		.amdhsa_float_denorm_mode_16_64 3
		.amdhsa_dx10_clamp 1
		.amdhsa_ieee_mode 1
		.amdhsa_fp16_overflow 0
		.amdhsa_exception_fp_ieee_invalid_op 0
		.amdhsa_exception_fp_denorm_src 0
		.amdhsa_exception_fp_ieee_div_zero 0
		.amdhsa_exception_fp_ieee_overflow 0
		.amdhsa_exception_fp_ieee_underflow 0
		.amdhsa_exception_fp_ieee_inexact 0
		.amdhsa_exception_int_div_zero 0
	.end_amdhsa_kernel
	.section	.text._ZL36rocblas_hemvn_kernel_lower_block_sumILi64ElfPKPffEviT1_lS3_lT2_lT0_lPT3_i,"axG",@progbits,_ZL36rocblas_hemvn_kernel_lower_block_sumILi64ElfPKPffEviT1_lS3_lT2_lT0_lPT3_i,comdat
.Lfunc_end152:
	.size	_ZL36rocblas_hemvn_kernel_lower_block_sumILi64ElfPKPffEviT1_lS3_lT2_lT0_lPT3_i, .Lfunc_end152-_ZL36rocblas_hemvn_kernel_lower_block_sumILi64ElfPKPffEviT1_lS3_lT2_lT0_lPT3_i
                                        ; -- End function
	.set _ZL36rocblas_hemvn_kernel_lower_block_sumILi64ElfPKPffEviT1_lS3_lT2_lT0_lPT3_i.num_vgpr, 8
	.set _ZL36rocblas_hemvn_kernel_lower_block_sumILi64ElfPKPffEviT1_lS3_lT2_lT0_lPT3_i.num_agpr, 0
	.set _ZL36rocblas_hemvn_kernel_lower_block_sumILi64ElfPKPffEviT1_lS3_lT2_lT0_lPT3_i.numbered_sgpr, 22
	.set _ZL36rocblas_hemvn_kernel_lower_block_sumILi64ElfPKPffEviT1_lS3_lT2_lT0_lPT3_i.num_named_barrier, 0
	.set _ZL36rocblas_hemvn_kernel_lower_block_sumILi64ElfPKPffEviT1_lS3_lT2_lT0_lPT3_i.private_seg_size, 0
	.set _ZL36rocblas_hemvn_kernel_lower_block_sumILi64ElfPKPffEviT1_lS3_lT2_lT0_lPT3_i.uses_vcc, 1
	.set _ZL36rocblas_hemvn_kernel_lower_block_sumILi64ElfPKPffEviT1_lS3_lT2_lT0_lPT3_i.uses_flat_scratch, 0
	.set _ZL36rocblas_hemvn_kernel_lower_block_sumILi64ElfPKPffEviT1_lS3_lT2_lT0_lPT3_i.has_dyn_sized_stack, 0
	.set _ZL36rocblas_hemvn_kernel_lower_block_sumILi64ElfPKPffEviT1_lS3_lT2_lT0_lPT3_i.has_recursion, 0
	.set _ZL36rocblas_hemvn_kernel_lower_block_sumILi64ElfPKPffEviT1_lS3_lT2_lT0_lPT3_i.has_indirect_call, 0
	.section	.AMDGPU.csdata,"",@progbits
; Kernel info:
; codeLenInByte = 644
; TotalNumSgprs: 26
; NumVgprs: 8
; ScratchSize: 0
; MemoryBound: 0
; FloatMode: 240
; IeeeMode: 1
; LDSByteSize: 0 bytes/workgroup (compile time only)
; SGPRBlocks: 3
; VGPRBlocks: 1
; NumSGPRsForWavesPerEU: 26
; NumVGPRsForWavesPerEU: 8
; Occupancy: 10
; WaveLimiterHint : 1
; COMPUTE_PGM_RSRC2:SCRATCH_EN: 0
; COMPUTE_PGM_RSRC2:USER_SGPR: 6
; COMPUTE_PGM_RSRC2:TRAP_HANDLER: 0
; COMPUTE_PGM_RSRC2:TGID_X_EN: 1
; COMPUTE_PGM_RSRC2:TGID_Y_EN: 0
; COMPUTE_PGM_RSRC2:TGID_Z_EN: 1
; COMPUTE_PGM_RSRC2:TIDIG_COMP_CNT: 0
	.section	.text._ZL26rocblas_hemvn_kernel_lowerILb0ELi64ELi4ELi33ELi32ELi16EifPKPKfPfEviT6_lT7_lT5_lS6_lS7_lS5_lT8_i,"axG",@progbits,_ZL26rocblas_hemvn_kernel_lowerILb0ELi64ELi4ELi33ELi32ELi16EifPKPKfPfEviT6_lT7_lT5_lS6_lS7_lS5_lT8_i,comdat
	.globl	_ZL26rocblas_hemvn_kernel_lowerILb0ELi64ELi4ELi33ELi32ELi16EifPKPKfPfEviT6_lT7_lT5_lS6_lS7_lS5_lT8_i ; -- Begin function _ZL26rocblas_hemvn_kernel_lowerILb0ELi64ELi4ELi33ELi32ELi16EifPKPKfPfEviT6_lT7_lT5_lS6_lS7_lS5_lT8_i
	.p2align	8
	.type	_ZL26rocblas_hemvn_kernel_lowerILb0ELi64ELi4ELi33ELi32ELi16EifPKPKfPfEviT6_lT7_lT5_lS6_lS7_lS5_lT8_i,@function
_ZL26rocblas_hemvn_kernel_lowerILb0ELi64ELi4ELi33ELi32ELi16EifPKPKfPfEviT6_lT7_lT5_lS6_lS7_lS5_lT8_i: ; @_ZL26rocblas_hemvn_kernel_lowerILb0ELi64ELi4ELi33ELi32ELi16EifPKPKfPfEviT6_lT7_lT5_lS6_lS7_lS5_lT8_i
; %bb.0:
	s_load_dwordx2 s[2:3], s[4:5], 0x7c
	s_add_u32 s0, s4, 0x70
	s_mov_b32 s22, s7
	s_addc_u32 s1, s5, 0
	s_waitcnt lgkmcnt(0)
	s_lshr_b32 s7, s2, 16
	s_and_b32 s2, s2, 0xffff
	s_and_b32 s3, s3, 0xffff
	s_mul_i32 s2, s7, s2
	s_mul_i32 s2, s2, s3
	s_cmpk_lg_i32 s2, 0x100
	s_cbranch_scc1 .LBB153_4
; %bb.1:
	s_load_dwordx2 s[26:27], s[4:5], 0x0
	s_load_dword s7, s[4:5], 0x50
	s_waitcnt lgkmcnt(0)
	v_cmp_eq_f32_e64 s[2:3], s27, 0
	v_cmp_eq_f32_e64 s[8:9], s7, 1.0
	s_and_b64 s[8:9], s[2:3], s[8:9]
	s_and_b64 vcc, exec, s[8:9]
	s_cbranch_vccnz .LBB153_4
; %bb.2:
	v_mov_b32_e32 v2, v1
	s_and_b64 vcc, exec, s[2:3]
	s_cbranch_vccz .LBB153_5
; %bb.3:
	s_cbranch_execz .LBB153_6
.LBB153_4:
	s_endpgm
.LBB153_5:
.LBB153_6:
	s_load_dwordx4 s[8:11], s[4:5], 0x10
	s_load_dwordx4 s[12:15], s[4:5], 0x30
	s_mov_b32 s23, 0
	s_lshl_b64 s[2:3], s[22:23], 3
	s_waitcnt lgkmcnt(0)
	s_add_u32 s16, s8, s2
	s_addc_u32 s17, s9, s3
	s_add_u32 s2, s12, s2
	s_addc_u32 s3, s13, s3
	s_load_dwordx2 s[12:13], s[2:3], 0x0
	s_load_dword s23, s[0:1], 0x0
	s_load_dword s7, s[4:5], 0x40
	s_load_dwordx2 s[8:9], s[16:17], 0x0
	s_lshl_b64 s[0:1], s[14:15], 2
	s_waitcnt lgkmcnt(0)
	s_add_u32 s0, s12, s0
	s_addc_u32 s1, s13, s1
	s_lshl_b32 s30, s6, 6
	v_add_u32_e32 v19, s30, v0
	v_mul_lo_u32 v3, s7, v19
	s_ashr_i32 s27, s26, 31
	s_lshr_b32 s3, s27, 26
	s_add_i32 s3, s26, s3
	v_ashrrev_i32_e32 v4, 31, v3
	s_andn2_b32 s3, s3, 63
	v_lshlrev_b64 v[3:4], 2, v[3:4]
	s_add_i32 s2, s23, -1
	s_sub_i32 s3, s26, s3
	s_cmp_eq_u32 s6, s2
	v_mov_b32_e32 v1, s1
	v_add_co_u32_e32 v7, vcc, s0, v3
	s_cselect_b32 s28, s3, 0
	v_addc_co_u32_e32 v8, vcc, v1, v4, vcc
	v_cmp_ne_u32_e64 s[0:1], 0, v2
	v_cmp_eq_u32_e64 s[2:3], 0, v2
	s_and_saveexec_b64 s[12:13], s[2:3]
	s_cbranch_execz .LBB153_10
; %bb.7:
	s_cmp_eq_u32 s28, 0
	s_cselect_b64 s[14:15], -1, 0
	v_cmp_gt_i32_e32 vcc, s28, v0
	s_or_b64 s[16:17], s[14:15], vcc
	v_mov_b32_e32 v1, 0
	s_and_saveexec_b64 s[14:15], s[16:17]
	s_cbranch_execz .LBB153_9
; %bb.8:
	flat_load_dword v1, v[7:8]
.LBB153_9:
	s_or_b64 exec, exec, s[14:15]
	v_lshlrev_b32_e32 v3, 2, v0
	s_waitcnt vmcnt(0) lgkmcnt(0)
	ds_write_b32 v3, v1 offset:4544
.LBB153_10:
	s_or_b64 exec, exec, s[12:13]
	s_load_dword s24, s[4:5], 0x20
	s_lshl_b64 s[10:11], s[10:11], 2
	v_lshl_add_u32 v17, v2, 6, v0
	s_add_u32 s10, s8, s10
	v_and_b32_e32 v1, 31, v0
	v_lshrrev_b32_e32 v13, 5, v17
	s_addc_u32 s11, s9, s11
	s_waitcnt lgkmcnt(0)
	v_mad_u64_u32 v[3:4], s[8:9], s24, v13, v[1:2]
	s_ashr_i32 s31, s30, 31
	s_lshl_b64 s[8:9], s[30:31], 2
	v_ashrrev_i32_e32 v4, 31, v3
	v_lshlrev_b64 v[9:10], 2, v[3:4]
	s_add_u32 s8, s10, s8
	s_addc_u32 s9, s11, s9
	v_add_co_u32_e32 v4, vcc, s8, v9
	s_mul_i32 s8, s24, s30
	v_mov_b32_e32 v3, s9
	s_ashr_i32 s9, s8, 31
	v_addc_co_u32_e32 v5, vcc, v3, v10, vcc
	s_lshl_b64 s[34:35], s[8:9], 2
	v_mov_b32_e32 v6, s35
	v_add_co_u32_e32 v3, vcc, s34, v4
	s_cmp_lg_u32 s28, 0
	v_addc_co_u32_e32 v4, vcc, v5, v6, vcc
	s_cselect_b64 s[36:37], -1, 0
	s_cmp_eq_u32 s28, 0
	s_cselect_b64 s[18:19], -1, 0
	s_mov_b64 s[8:9], -1
	s_and_b64 vcc, exec, s[36:37]
	s_cbranch_vccnz .LBB153_12
; %bb.11:
	s_lshl_b32 s8, s24, 3
	s_ashr_i32 s9, s8, 31
	s_lshl_b64 s[8:9], s[8:9], 2
	v_mov_b32_e32 v6, s9
	v_add_co_u32_e32 v5, vcc, s8, v3
	s_ashr_i32 s25, s24, 31
	v_addc_co_u32_e32 v6, vcc, v4, v6, vcc
	s_lshl_b64 s[8:9], s[24:25], 5
	v_mov_b32_e32 v15, s9
	v_add_co_u32_e32 v11, vcc, s8, v5
	v_addc_co_u32_e32 v12, vcc, v6, v15, vcc
	v_add_co_u32_e32 v14, vcc, s8, v11
	v_addc_co_u32_e32 v15, vcc, v12, v15, vcc
	flat_load_dword v16, v[3:4]
	flat_load_dword v18, v[5:6]
	;; [unrolled: 1-line block ×4, first 2 shown]
	v_mul_u32_u24_e32 v5, 0x84, v13
	v_lshl_add_u32 v5, v1, 2, v5
	s_mov_b64 s[8:9], 0
	s_waitcnt vmcnt(0) lgkmcnt(0)
	ds_write_b32 v5, v16
	ds_write_b32 v5, v18 offset:1056
	ds_write_b32 v5, v20 offset:2112
	;; [unrolled: 1-line block ×3, first 2 shown]
.LBB153_12:
	s_andn2_b64 vcc, exec, s[8:9]
	v_lshlrev_b32_e32 v14, 2, v1
	s_cbranch_vccnz .LBB153_22
; %bb.13:
	v_sub_co_u32_e32 v5, vcc, v3, v14
	s_ashr_i32 s29, s28, 31
	v_subbrev_co_u32_e32 v6, vcc, 0, v4, vcc
	s_lshl_b64 s[10:11], s[28:29], 2
	v_mov_b32_e32 v11, s11
	v_add_co_u32_e32 v5, vcc, s10, v5
	v_addc_co_u32_e32 v6, vcc, v6, v11, vcc
	v_add_co_u32_e32 v5, vcc, -4, v5
	v_addc_co_u32_e32 v6, vcc, -1, v6, vcc
	v_cmp_gt_i32_e32 vcc, s28, v1
	v_mov_b32_e32 v12, 0
	v_cndmask_b32_e32 v6, v6, v4, vcc
	v_cndmask_b32_e32 v5, v5, v3, vcc
	v_cmp_gt_i32_e64 s[8:9], s28, v13
	v_mov_b32_e32 v15, 0
	s_and_saveexec_b64 s[12:13], s[8:9]
	s_cbranch_execz .LBB153_15
; %bb.14:
	flat_load_dword v15, v[5:6]
.LBB153_15:
	s_or_b64 exec, exec, s[12:13]
	s_movk_i32 s8, 0x84
	v_mad_u32_u24 v16, v13, s8, v14
	s_waitcnt vmcnt(0) lgkmcnt(0)
	ds_write_b32 v16, v15
	v_add_u32_e32 v15, 8, v13
	v_mul_u32_u24_e32 v11, 0x84, v13
	v_cmp_gt_i32_e64 s[8:9], s28, v15
	s_and_saveexec_b64 s[12:13], s[8:9]
	s_cbranch_execz .LBB153_17
; %bb.16:
	s_lshl_b32 s8, s24, 3
	s_ashr_i32 s9, s8, 31
	s_lshl_b64 s[8:9], s[8:9], 2
	v_mov_b32_e32 v12, s9
	v_add_co_u32_e64 v15, s[8:9], s8, v5
	v_addc_co_u32_e64 v16, s[8:9], v6, v12, s[8:9]
	flat_load_dword v12, v[15:16]
.LBB153_17:
	s_or_b64 exec, exec, s[12:13]
	v_add_u32_e32 v11, v11, v14
	s_waitcnt vmcnt(0) lgkmcnt(0)
	ds_write_b32 v11, v12 offset:1056
	v_add_u32_e32 v12, 16, v13
	v_cmp_gt_i32_e64 s[8:9], s28, v12
	v_mov_b32_e32 v12, 0
	v_mov_b32_e32 v15, 0
	s_and_saveexec_b64 s[12:13], s[8:9]
	s_cbranch_execz .LBB153_19
; %bb.18:
	s_lshl_b32 s8, s24, 4
	s_ashr_i32 s9, s8, 31
	s_lshl_b64 s[8:9], s[8:9], 2
	v_mov_b32_e32 v16, s9
	v_add_co_u32_e64 v15, s[8:9], s8, v5
	v_addc_co_u32_e64 v16, s[8:9], v6, v16, s[8:9]
	flat_load_dword v15, v[15:16]
.LBB153_19:
	s_or_b64 exec, exec, s[12:13]
	s_waitcnt vmcnt(0) lgkmcnt(0)
	ds_write_b32 v11, v15 offset:2112
	v_add_u32_e32 v15, 24, v13
	v_cmp_gt_i32_e64 s[8:9], s28, v15
	s_and_saveexec_b64 s[12:13], s[8:9]
	s_cbranch_execz .LBB153_21
; %bb.20:
	s_mul_i32 s8, s24, 24
	s_ashr_i32 s9, s8, 31
	s_lshl_b64 s[8:9], s[8:9], 2
	v_mov_b32_e32 v12, s9
	v_add_co_u32_e64 v15, s[8:9], s8, v5
	v_addc_co_u32_e64 v16, s[8:9], v6, v12, s[8:9]
	flat_load_dword v12, v[15:16]
.LBB153_21:
	s_or_b64 exec, exec, s[12:13]
	v_add_co_u32_e64 v5, s[8:9], v5, v14
	v_addc_co_u32_e64 v6, s[8:9], 0, v6, s[8:9]
	s_waitcnt vmcnt(0) lgkmcnt(0)
	ds_write_b32 v11, v12 offset:3168
	v_mov_b32_e32 v11, s11
	v_subrev_co_u32_e64 v5, s[8:9], s10, v5
	v_subb_co_u32_e64 v6, s[8:9], v6, v11, s[8:9]
	v_add_co_u32_e64 v5, s[8:9], 4, v5
	v_addc_co_u32_e64 v6, s[8:9], 0, v6, s[8:9]
	v_cndmask_b32_e32 v4, v6, v4, vcc
	v_cndmask_b32_e32 v3, v5, v3, vcc
.LBB153_22:
	v_lshlrev_b32_e32 v5, 2, v13
	v_lshl_or_b32 v6, v1, 7, v14
	v_cmp_lt_u32_e64 s[8:9], v5, v1
	s_waitcnt lgkmcnt(0)
	s_barrier
	s_and_saveexec_b64 s[10:11], s[8:9]
	s_cbranch_execz .LBB153_24
; %bb.23:
	s_movk_i32 s12, 0x210
	v_mad_u32_u24 v11, v13, s12, v14
	ds_read_b32 v11, v11
	v_lshl_add_u32 v12, v5, 2, v6
	s_waitcnt lgkmcnt(0)
	ds_write_b32 v12, v11
.LBB153_24:
	s_or_b64 exec, exec, s[10:11]
	v_or_b32_e32 v11, 1, v5
	v_cmp_lt_u32_e64 s[10:11], v11, v1
	s_and_saveexec_b64 s[12:13], s[10:11]
	s_cbranch_execz .LBB153_26
; %bb.25:
	s_movk_i32 s14, 0x84
	v_mad_u32_u24 v12, v11, s14, v14
	ds_read_b32 v12, v12
	v_lshl_add_u32 v15, v5, 2, v6
	s_waitcnt lgkmcnt(0)
	ds_write_b32 v15, v12 offset:4
.LBB153_26:
	s_or_b64 exec, exec, s[12:13]
	v_or_b32_e32 v12, 2, v5
	v_cmp_lt_u32_e64 s[12:13], v12, v1
	s_and_saveexec_b64 s[14:15], s[12:13]
	s_cbranch_execz .LBB153_28
; %bb.27:
	s_movk_i32 s16, 0x84
	v_mad_u32_u24 v12, v12, s16, v14
	ds_read_b32 v12, v12
	v_lshl_add_u32 v15, v5, 2, v6
	s_waitcnt lgkmcnt(0)
	ds_write_b32 v15, v12 offset:8
.LBB153_28:
	s_or_b64 exec, exec, s[14:15]
	v_or_b32_e32 v15, 3, v5
	v_cmp_lt_u32_e64 s[14:15], v15, v1
	v_cmp_ge_u32_e32 vcc, v15, v1
                                        ; implicit-def: $vgpr12
	s_and_saveexec_b64 s[16:17], vcc
	s_xor_b64 s[16:17], exec, s[16:17]
; %bb.29:
	v_mul_u32_u24_e32 v12, 0x84, v15
                                        ; implicit-def: $vgpr6
                                        ; implicit-def: $vgpr15
; %bb.30:
	s_andn2_saveexec_b64 s[16:17], s[16:17]
	s_cbranch_execz .LBB153_32
; %bb.31:
	s_movk_i32 s20, 0x84
	v_mad_u32_u24 v12, v15, s20, v14
	ds_read_b32 v16, v12
	v_lshl_add_u32 v6, v5, 2, v6
	v_mul_u32_u24_e32 v12, 0x84, v15
	s_waitcnt lgkmcnt(0)
	ds_write_b32 v6, v16 offset:12
.LBB153_32:
	s_or_b64 exec, exec, s[16:17]
	s_movk_i32 s16, 0x210
	v_mad_u32_u24 v15, v13, s16, v14
	s_movk_i32 s16, 0x84
	s_waitcnt lgkmcnt(0)
	s_barrier
	v_lshlrev_b32_e32 v6, 2, v5
	ds_read_b32 v18, v15
	ds_read_b128 v[23:26], v6 offset:4544
	v_mad_u32_u24 v15, v11, s16, v14
	ds_read2_b32 v[15:16], v15 offset1:33
	v_add_u32_e32 v12, v14, v12
	ds_read_b32 v20, v12
	s_waitcnt lgkmcnt(2)
	v_fma_f32 v21, v18, v23, 0
	v_mov_b32_e32 v22, 0
	s_waitcnt lgkmcnt(1)
	v_fmac_f32_e32 v21, v15, v24
	v_mul_u32_u24_e32 v15, 33, v1
	v_fmac_f32_e32 v21, v16, v25
	v_lshlrev_b32_e32 v18, 2, v15
	s_waitcnt lgkmcnt(0)
	v_fmac_f32_e32 v21, v20, v26
	v_lshl_add_u32 v20, v13, 2, v18
	v_cmp_gt_u32_e64 s[20:21], 32, v17
	s_barrier
	ds_write_b32 v20, v21
	s_waitcnt lgkmcnt(0)
	s_barrier
	s_and_saveexec_b64 s[16:17], s[20:21]
	s_cbranch_execz .LBB153_34
; %bb.33:
	ds_read2_b32 v[15:16], v18 offset1:1
	ds_read2_b32 v[21:22], v18 offset0:2 offset1:3
	ds_read2_b32 v[23:24], v18 offset0:4 offset1:5
	;; [unrolled: 1-line block ×3, first 2 shown]
	s_waitcnt lgkmcnt(3)
	v_add_f32_e32 v15, v15, v16
	s_waitcnt lgkmcnt(2)
	v_add_f32_e32 v15, v15, v21
	v_add_f32_e32 v15, v15, v22
	s_waitcnt lgkmcnt(1)
	v_add_f32_e32 v15, v15, v23
	;; [unrolled: 3-line block ×3, first 2 shown]
	v_add_f32_e32 v22, v15, v26
.LBB153_34:
	s_or_b64 exec, exec, s[16:17]
	s_lshl_b32 s16, s24, 5
	s_ashr_i32 s17, s16, 31
	s_lshl_b64 s[38:39], s[16:17], 2
	v_mov_b32_e32 v15, s39
	v_add_co_u32_e32 v3, vcc, s38, v3
	v_addc_co_u32_e32 v4, vcc, v4, v15, vcc
	v_add_co_u32_e32 v15, vcc, 0x80, v3
	v_addc_co_u32_e32 v16, vcc, 0, v4, vcc
	v_cndmask_b32_e64 v21, 0, 1, s[18:19]
	v_cmp_ne_u32_e64 s[16:17], 1, v21
	s_andn2_b64 vcc, exec, s[18:19]
	s_mov_b64 s[18:19], -1
	s_barrier
	s_cbranch_vccnz .LBB153_36
; %bb.35:
	s_lshl_b32 s18, s24, 3
	s_ashr_i32 s19, s18, 31
	s_lshl_b64 s[18:19], s[18:19], 2
	v_mov_b32_e32 v21, s19
	v_add_co_u32_e32 v23, vcc, s18, v3
	s_ashr_i32 s25, s24, 31
	v_addc_co_u32_e32 v24, vcc, v4, v21, vcc
	s_lshl_b64 s[18:19], s[24:25], 5
	v_mov_b32_e32 v21, s19
	v_add_co_u32_e32 v25, vcc, s18, v23
	v_addc_co_u32_e32 v26, vcc, v24, v21, vcc
	v_add_co_u32_e32 v27, vcc, s18, v25
	v_addc_co_u32_e32 v28, vcc, v26, v21, vcc
	flat_load_dword v21, v[3:4] offset:128
	flat_load_dword v29, v[23:24] offset:128
	;; [unrolled: 1-line block ×4, first 2 shown]
	s_movk_i32 s18, 0x84
	v_mad_u32_u24 v23, v13, s18, v14
	s_mov_b64 s[18:19], 0
	s_waitcnt vmcnt(0) lgkmcnt(0)
	ds_write_b32 v23, v21
	ds_write_b32 v23, v29 offset:1056
	ds_write_b32 v23, v30 offset:2112
	;; [unrolled: 1-line block ×3, first 2 shown]
.LBB153_36:
	s_andn2_b64 vcc, exec, s[18:19]
	s_cbranch_vccnz .LBB153_46
; %bb.37:
	v_sub_co_u32_e32 v3, vcc, v3, v14
	s_ashr_i32 s29, s28, 31
	v_subbrev_co_u32_e32 v4, vcc, 0, v4, vcc
	s_lshl_b64 s[40:41], s[28:29], 2
	v_mov_b32_e32 v24, s41
	v_add_co_u32_e32 v3, vcc, s40, v3
	v_addc_co_u32_e32 v4, vcc, v4, v24, vcc
	v_or_b32_e32 v21, 32, v1
	v_add_co_u32_e32 v3, vcc, -4, v3
	v_addc_co_u32_e32 v4, vcc, -1, v4, vcc
	v_cmp_gt_i32_e64 s[18:19], s28, v21
	s_sub_i32 s25, s28, 32
	v_mov_b32_e32 v23, 0
	v_cndmask_b32_e64 v4, v4, v16, s[18:19]
	v_cndmask_b32_e64 v3, v3, v15, s[18:19]
	v_cmp_gt_i32_e32 vcc, s25, v13
	v_mov_b32_e32 v24, 0
	s_and_saveexec_b64 s[42:43], vcc
	s_cbranch_execz .LBB153_39
; %bb.38:
	flat_load_dword v24, v[3:4]
.LBB153_39:
	s_or_b64 exec, exec, s[42:43]
	s_movk_i32 s29, 0x84
	v_mad_u32_u24 v25, v13, s29, v14
	s_waitcnt vmcnt(0) lgkmcnt(0)
	ds_write_b32 v25, v24
	v_add_u32_e32 v24, 8, v13
	v_mul_u32_u24_e32 v21, 0x84, v13
	v_cmp_gt_i32_e32 vcc, s25, v24
	s_and_saveexec_b64 s[42:43], vcc
	s_cbranch_execz .LBB153_41
; %bb.40:
	s_lshl_b32 s44, s24, 3
	s_ashr_i32 s45, s44, 31
	s_lshl_b64 s[44:45], s[44:45], 2
	v_mov_b32_e32 v24, s45
	v_add_co_u32_e32 v23, vcc, s44, v3
	v_addc_co_u32_e32 v24, vcc, v4, v24, vcc
	flat_load_dword v23, v[23:24]
.LBB153_41:
	s_or_b64 exec, exec, s[42:43]
	v_add_u32_e32 v21, v21, v14
	s_waitcnt vmcnt(0) lgkmcnt(0)
	ds_write_b32 v21, v23 offset:1056
	v_add_u32_e32 v23, 16, v13
	v_cmp_gt_i32_e32 vcc, s25, v23
	v_mov_b32_e32 v23, 0
	v_mov_b32_e32 v24, 0
	s_and_saveexec_b64 s[42:43], vcc
	s_cbranch_execz .LBB153_43
; %bb.42:
	s_lshl_b32 s44, s24, 4
	s_ashr_i32 s45, s44, 31
	s_lshl_b64 s[44:45], s[44:45], 2
	v_mov_b32_e32 v25, s45
	v_add_co_u32_e32 v24, vcc, s44, v3
	v_addc_co_u32_e32 v25, vcc, v4, v25, vcc
	flat_load_dword v24, v[24:25]
.LBB153_43:
	s_or_b64 exec, exec, s[42:43]
	s_waitcnt vmcnt(0) lgkmcnt(0)
	ds_write_b32 v21, v24 offset:2112
	v_add_u32_e32 v24, 24, v13
	v_cmp_gt_i32_e32 vcc, s25, v24
	s_and_saveexec_b64 s[42:43], vcc
	s_cbranch_execz .LBB153_45
; %bb.44:
	s_mul_i32 s44, s24, 24
	s_ashr_i32 s45, s44, 31
	s_lshl_b64 s[44:45], s[44:45], 2
	v_mov_b32_e32 v24, s45
	v_add_co_u32_e32 v23, vcc, s44, v3
	v_addc_co_u32_e32 v24, vcc, v4, v24, vcc
	flat_load_dword v23, v[23:24]
.LBB153_45:
	s_or_b64 exec, exec, s[42:43]
	v_add_co_u32_e32 v3, vcc, v3, v14
	v_addc_co_u32_e32 v4, vcc, 0, v4, vcc
	s_waitcnt vmcnt(0) lgkmcnt(0)
	ds_write_b32 v21, v23 offset:3168
	v_mov_b32_e32 v21, s41
	v_subrev_co_u32_e32 v3, vcc, s40, v3
	v_subb_co_u32_e32 v4, vcc, v4, v21, vcc
	v_add_co_u32_e32 v3, vcc, 0x84, v3
	v_addc_co_u32_e32 v4, vcc, 0, v4, vcc
	v_cndmask_b32_e64 v16, v4, v16, s[18:19]
	v_cndmask_b32_e64 v15, v3, v15, s[18:19]
.LBB153_46:
	v_mul_u32_u24_e32 v3, 0x210, v13
	v_add_u32_e32 v6, 0x11c0, v6
	v_mul_u32_u24_e32 v4, 0x84, v11
	v_add_u32_e32 v3, v14, v3
	s_waitcnt lgkmcnt(0)
	s_barrier
	s_and_saveexec_b64 s[18:19], s[8:9]
	s_cbranch_execnz .LBB153_55
; %bb.47:
	s_or_b64 exec, exec, s[18:19]
	v_add_u32_e32 v4, v14, v4
	s_and_saveexec_b64 s[8:9], s[10:11]
	s_cbranch_execnz .LBB153_56
.LBB153_48:
	s_or_b64 exec, exec, s[8:9]
	s_and_saveexec_b64 s[8:9], s[12:13]
	s_cbranch_execnz .LBB153_57
.LBB153_49:
	s_or_b64 exec, exec, s[8:9]
	s_and_saveexec_b64 s[8:9], s[14:15]
	s_cbranch_execz .LBB153_51
.LBB153_50:
	ds_read_b32 v11, v12
	v_lshl_add_u32 v21, v5, 2, v18
	s_waitcnt lgkmcnt(0)
	ds_write_b32 v21, v11 offset:12
.LBB153_51:
	s_or_b64 exec, exec, s[8:9]
	s_waitcnt lgkmcnt(0)
	s_barrier
	ds_read_b32 v11, v3
	ds_read_b128 v[23:26], v6 offset:128
	ds_read2_b32 v[3:4], v4 offset1:33
	ds_read_b32 v12, v12
	v_cmp_eq_u32_e64 s[8:9], 1, v13
	s_waitcnt lgkmcnt(0)
	v_fma_f32 v11, v11, v23, 0
	v_fmac_f32_e32 v11, v3, v24
	v_fmac_f32_e32 v11, v4, v25
	;; [unrolled: 1-line block ×3, first 2 shown]
	s_barrier
	ds_write_b32 v20, v11
	s_waitcnt lgkmcnt(0)
	s_barrier
	s_and_saveexec_b64 s[10:11], s[8:9]
	s_cbranch_execz .LBB153_53
; %bb.52:
	ds_read2_b32 v[3:4], v18 offset1:1
	ds_read2_b32 v[11:12], v18 offset0:2 offset1:3
	ds_read2_b32 v[21:22], v18 offset0:4 offset1:5
	;; [unrolled: 1-line block ×3, first 2 shown]
	s_waitcnt lgkmcnt(3)
	v_add_f32_e32 v3, v3, v4
	s_waitcnt lgkmcnt(2)
	v_add_f32_e32 v3, v3, v11
	v_add_f32_e32 v3, v3, v12
	s_waitcnt lgkmcnt(1)
	v_add_f32_e32 v3, v3, v21
	;; [unrolled: 3-line block ×3, first 2 shown]
	v_add_f32_e32 v22, v3, v24
.LBB153_53:
	s_or_b64 exec, exec, s[10:11]
	v_mov_b32_e32 v3, s39
	v_subrev_co_u32_e64 v11, s[10:11], s38, v15
	s_and_b64 vcc, exec, s[16:17]
	v_subb_co_u32_e64 v12, s[10:11], v16, v3, s[10:11]
	s_barrier
	s_cbranch_vccnz .LBB153_58
; %bb.54:
	s_lshl_b32 s10, s24, 3
	s_ashr_i32 s11, s10, 31
	s_lshl_b64 s[10:11], s[10:11], 2
	v_mov_b32_e32 v4, s11
	v_add_co_u32_e32 v3, vcc, s10, v11
	s_ashr_i32 s25, s24, 31
	v_addc_co_u32_e32 v4, vcc, v12, v4, vcc
	s_lshl_b64 s[10:11], s[24:25], 5
	v_mov_b32_e32 v21, s11
	v_add_co_u32_e32 v15, vcc, s10, v3
	v_addc_co_u32_e32 v16, vcc, v4, v21, vcc
	v_add_co_u32_e32 v23, vcc, s10, v15
	v_addc_co_u32_e32 v24, vcc, v16, v21, vcc
	flat_load_dword v27, v[11:12]
	flat_load_dword v28, v[3:4]
	;; [unrolled: 1-line block ×4, first 2 shown]
	s_movk_i32 s10, 0x84
	v_mov_b32_e32 v3, 0x420
	v_mov_b32_e32 v4, 0x840
	;; [unrolled: 1-line block ×3, first 2 shown]
	v_mul_u32_u24_e32 v16, 0x84, v13
	v_add_u32_e32 v15, 8, v13
	v_add_u32_e32 v21, 16, v13
	;; [unrolled: 1-line block ×3, first 2 shown]
	v_mad_u32_u24 v31, v13, s10, v14
	v_mad_u32_u24 v23, v13, s10, v3
	;; [unrolled: 1-line block ×4, first 2 shown]
	v_add_u32_e32 v3, v14, v23
	v_add_u32_e32 v4, v14, v25
	;; [unrolled: 1-line block ×3, first 2 shown]
	s_waitcnt vmcnt(0) lgkmcnt(0)
	ds_write_b32 v31, v27
	ds_write_b32 v3, v28
	;; [unrolled: 1-line block ×4, first 2 shown]
	s_cbranch_execz .LBB153_59
	s_branch .LBB153_68
.LBB153_55:
	ds_read_b32 v11, v3
	v_lshl_add_u32 v21, v5, 2, v18
	s_waitcnt lgkmcnt(0)
	ds_write_b32 v21, v11
	s_or_b64 exec, exec, s[18:19]
	v_add_u32_e32 v4, v14, v4
	s_and_saveexec_b64 s[8:9], s[10:11]
	s_cbranch_execz .LBB153_48
.LBB153_56:
	ds_read_b32 v11, v4
	v_lshl_add_u32 v21, v5, 2, v18
	s_waitcnt lgkmcnt(0)
	ds_write_b32 v21, v11 offset:4
	s_or_b64 exec, exec, s[8:9]
	s_and_saveexec_b64 s[8:9], s[12:13]
	s_cbranch_execz .LBB153_49
.LBB153_57:
	ds_read_b32 v11, v4 offset:132
	v_lshl_add_u32 v21, v5, 2, v18
	s_waitcnt lgkmcnt(0)
	ds_write_b32 v21, v11 offset:8
	s_or_b64 exec, exec, s[8:9]
	s_and_saveexec_b64 s[8:9], s[14:15]
	s_cbranch_execnz .LBB153_50
	s_branch .LBB153_51
.LBB153_58:
                                        ; implicit-def: $vgpr16
                                        ; implicit-def: $vgpr15
                                        ; implicit-def: $vgpr23
                                        ; implicit-def: $vgpr21
                                        ; implicit-def: $vgpr25
                                        ; implicit-def: $vgpr24
                                        ; implicit-def: $vgpr26
.LBB153_59:
	v_or_b32_e32 v3, 32, v1
	v_lshlrev_b32_e32 v4, 2, v3
	v_sub_co_u32_e32 v4, vcc, v11, v4
	s_ashr_i32 s29, s28, 31
	v_subbrev_co_u32_e32 v15, vcc, 0, v12, vcc
	s_lshl_b64 s[12:13], s[28:29], 2
	v_mov_b32_e32 v16, s13
	v_add_co_u32_e32 v4, vcc, s12, v4
	v_addc_co_u32_e32 v15, vcc, v15, v16, vcc
	v_add_co_u32_e32 v16, vcc, -4, v4
	v_addc_co_u32_e32 v4, vcc, -1, v15, vcc
	v_cmp_gt_i32_e64 s[10:11], s28, v3
	v_mov_b32_e32 v1, 0
	v_cndmask_b32_e64 v4, v4, v12, s[10:11]
	v_cndmask_b32_e64 v3, v16, v11, s[10:11]
	v_cmp_gt_i32_e32 vcc, s28, v13
	v_mov_b32_e32 v15, 0
	s_and_saveexec_b64 s[14:15], vcc
	s_cbranch_execz .LBB153_61
; %bb.60:
	flat_load_dword v15, v[3:4]
.LBB153_61:
	s_or_b64 exec, exec, s[14:15]
	s_movk_i32 s14, 0x84
	v_mad_u32_u24 v21, v13, s14, v14
	s_waitcnt vmcnt(0) lgkmcnt(0)
	ds_write_b32 v21, v15
	v_add_u32_e32 v15, 8, v13
	v_mul_u32_u24_e32 v16, 0x84, v13
	v_cmp_gt_i32_e32 vcc, s28, v15
	s_and_saveexec_b64 s[14:15], vcc
	s_cbranch_execz .LBB153_63
; %bb.62:
	s_lshl_b32 s16, s24, 3
	s_ashr_i32 s17, s16, 31
	s_lshl_b64 s[16:17], s[16:17], 2
	v_mov_b32_e32 v1, s17
	v_add_co_u32_e32 v23, vcc, s16, v3
	v_addc_co_u32_e32 v24, vcc, v4, v1, vcc
	flat_load_dword v1, v[23:24]
.LBB153_63:
	s_or_b64 exec, exec, s[14:15]
	v_add_u32_e32 v23, 0x420, v16
	v_add_u32_e32 v21, v14, v23
	s_waitcnt vmcnt(0) lgkmcnt(0)
	ds_write_b32 v21, v1
	v_add_u32_e32 v21, 16, v13
	v_cmp_gt_i32_e32 vcc, s28, v21
	v_mov_b32_e32 v1, 0
	v_mov_b32_e32 v24, 0
	s_and_saveexec_b64 s[14:15], vcc
	s_cbranch_execz .LBB153_65
; %bb.64:
	s_lshl_b32 s16, s24, 4
	s_ashr_i32 s17, s16, 31
	s_lshl_b64 s[16:17], s[16:17], 2
	v_mov_b32_e32 v25, s17
	v_add_co_u32_e32 v24, vcc, s16, v3
	v_addc_co_u32_e32 v25, vcc, v4, v25, vcc
	flat_load_dword v24, v[24:25]
.LBB153_65:
	s_or_b64 exec, exec, s[14:15]
	v_add_u32_e32 v25, 0x420, v23
	v_add_u32_e32 v26, v14, v25
	s_waitcnt vmcnt(0) lgkmcnt(0)
	ds_write_b32 v26, v24
	v_add_u32_e32 v24, 24, v13
	v_cmp_gt_i32_e32 vcc, s28, v24
	s_and_saveexec_b64 s[14:15], vcc
	s_cbranch_execz .LBB153_67
; %bb.66:
	s_mul_i32 s16, s24, 24
	s_ashr_i32 s17, s16, 31
	s_lshl_b64 s[16:17], s[16:17], 2
	v_mov_b32_e32 v1, s17
	v_add_co_u32_e32 v26, vcc, s16, v3
	v_addc_co_u32_e32 v27, vcc, v4, v1, vcc
	flat_load_dword v1, v[26:27]
.LBB153_67:
	s_or_b64 exec, exec, s[14:15]
	v_add_u32_e32 v26, 0x420, v25
	v_add_u32_e32 v13, v14, v26
	s_waitcnt vmcnt(0) lgkmcnt(0)
	ds_write_b32 v13, v1
	v_add_co_u32_e32 v1, vcc, v3, v14
	v_addc_co_u32_e32 v3, vcc, 0, v4, vcc
	v_mov_b32_e32 v4, s13
	v_subrev_co_u32_e32 v1, vcc, s12, v1
	v_subb_co_u32_e32 v3, vcc, v3, v4, vcc
	v_add_co_u32_e32 v1, vcc, 0x84, v1
	v_addc_co_u32_e32 v3, vcc, 0, v3, vcc
	v_cndmask_b32_e64 v12, v3, v12, s[10:11]
	v_cndmask_b32_e64 v11, v1, v11, s[10:11]
.LBB153_68:
	v_add_u32_e32 v1, v14, v16
	s_waitcnt lgkmcnt(0)
	s_barrier
	v_add_u32_e32 v3, v14, v23
	ds_read_b32 v1, v1
	ds_read_b32 v23, v5 offset:4544
	ds_read_b32 v27, v3
	v_lshlrev_b32_e32 v3, 2, v15
	v_add_u32_e32 v4, v14, v25
	v_lshlrev_b32_e32 v13, 2, v21
	v_add_u32_e32 v14, v14, v26
	v_lshlrev_b32_e32 v15, 2, v24
	s_waitcnt lgkmcnt(1)
	v_fma_f32 v1, v1, v23, 0
	v_lshl_add_u32 v21, v5, 2, v18
	ds_read_b32 v24, v3 offset:4544
	ds_read_b32 v25, v4
	ds_read_b32 v26, v13 offset:4544
	ds_read_b32 v28, v14
	ds_read_b32 v29, v15 offset:4544
	ds_read2_b32 v[15:16], v21 offset1:1
	ds_read_b128 v[3:6], v6 offset:128
	ds_read2_b32 v[13:14], v21 offset0:2 offset1:3
	s_waitcnt lgkmcnt(7)
	v_fmac_f32_e32 v1, v27, v24
	s_waitcnt lgkmcnt(5)
	v_fmac_f32_e32 v1, v25, v26
	;; [unrolled: 2-line block ×3, first 2 shown]
	s_waitcnt lgkmcnt(0)
	s_barrier
	ds_write_b32 v20, v1
	s_waitcnt lgkmcnt(0)
	s_barrier
	s_and_saveexec_b64 s[10:11], s[8:9]
	s_cbranch_execz .LBB153_70
; %bb.69:
	ds_read2_b32 v[23:24], v18 offset1:1
	ds_read2_b32 v[25:26], v18 offset0:2 offset1:3
	ds_read2_b32 v[27:28], v18 offset0:4 offset1:5
	ds_read2_b32 v[29:30], v18 offset0:6 offset1:7
	s_waitcnt lgkmcnt(3)
	v_add_f32_e32 v1, v22, v23
	v_add_f32_e32 v1, v1, v24
	s_waitcnt lgkmcnt(2)
	v_add_f32_e32 v1, v1, v25
	v_add_f32_e32 v1, v1, v26
	;; [unrolled: 3-line block ×4, first 2 shown]
.LBB153_70:
	s_or_b64 exec, exec, s[10:11]
	v_fma_f32 v1, v15, v3, 0
	v_fmac_f32_e32 v1, v16, v4
	v_fmac_f32_e32 v1, v13, v5
	;; [unrolled: 1-line block ×3, first 2 shown]
	s_barrier
	ds_write_b32 v20, v1
	s_waitcnt lgkmcnt(0)
	s_barrier
	s_and_saveexec_b64 s[8:9], s[20:21]
	s_cbranch_execz .LBB153_72
; %bb.71:
	ds_read2_b32 v[3:4], v18 offset1:1
	ds_read2_b32 v[5:6], v18 offset0:2 offset1:3
	ds_read2_b32 v[13:14], v18 offset0:4 offset1:5
	;; [unrolled: 1-line block ×3, first 2 shown]
	s_waitcnt lgkmcnt(3)
	v_add_f32_e32 v1, v22, v3
	v_add_f32_e32 v1, v1, v4
	s_waitcnt lgkmcnt(2)
	v_add_f32_e32 v1, v1, v5
	v_add_f32_e32 v1, v1, v6
	;; [unrolled: 3-line block ×4, first 2 shown]
.LBB153_72:
	s_or_b64 exec, exec, s[8:9]
	s_load_dwordx2 s[4:5], s[4:5], 0x60
	s_mul_hi_u32 s8, s26, s22
	s_mul_i32 s27, s27, s22
	s_add_i32 s8, s8, s27
	s_mul_i32 s10, s26, s22
	s_mul_i32 s8, s8, s23
	s_mul_hi_u32 s9, s10, s23
	s_add_i32 s9, s9, s8
	s_mul_i32 s8, s10, s23
	s_lshl_b64 s[8:9], s[8:9], 2
	s_waitcnt lgkmcnt(0)
	s_add_u32 s8, s4, s8
	s_mul_i32 s4, s26, s6
	s_addc_u32 s9, s5, s9
	s_ashr_i32 s5, s4, 31
	s_lshl_b64 s[4:5], s[4:5], 2
	s_add_u32 s26, s8, s4
	v_cmp_le_i32_e32 vcc, s28, v0
	s_addc_u32 s27, s9, s5
	s_and_b64 s[4:5], s[36:37], vcc
	s_cmp_lt_i32 s6, 1
	v_lshlrev_b32_e32 v23, 2, v0
	s_barrier
	s_cbranch_scc1 .LBB153_79
; %bb.73:
	s_mul_i32 s8, s7, s30
	s_ashr_i32 s9, s8, 31
	s_lshl_b64 s[8:9], s[8:9], 2
	v_mov_b32_e32 v1, s9
	v_subrev_co_u32_e32 v24, vcc, s8, v7
	v_subb_co_u32_e32 v25, vcc, v8, v1, vcc
	v_mov_b32_e32 v1, s35
	v_subrev_co_u32_e32 v3, vcc, s34, v11
	v_mul_lo_u32 v4, v2, s24
	v_subb_co_u32_e32 v1, vcc, v12, v1, vcc
	v_add_co_u32_e32 v3, vcc, 0xffffff80, v3
	v_addc_co_u32_e32 v1, vcc, -1, v1, vcc
	v_sub_co_u32_e32 v6, vcc, v3, v9
	v_lshl_add_u32 v3, v4, 2, v0
	v_ashrrev_i32_e32 v4, 31, v3
	v_lshlrev_b64 v[3:4], 2, v[3:4]
	v_subb_co_u32_e32 v1, vcc, v1, v10, vcc
	v_add_co_u32_e32 v3, vcc, v6, v3
	v_addc_co_u32_e32 v4, vcc, v1, v4, vcc
	v_sub_co_u32_e32 v6, vcc, v3, v23
	s_ashr_i32 s29, s28, 31
	v_subbrev_co_u32_e32 v7, vcc, 0, v4, vcc
	s_lshl_b64 s[8:9], s[28:29], 2
	v_mov_b32_e32 v8, s9
	v_add_co_u32_e32 v6, vcc, s8, v6
	v_addc_co_u32_e32 v7, vcc, v7, v8, vcc
	v_add_co_u32_e32 v6, vcc, -4, v6
	v_cndmask_b32_e64 v20, v3, v6, s[4:5]
	s_movk_i32 s8, 0x430
	v_lshrrev_b32_e32 v6, 2, v17
	v_and_b32_e32 v5, 15, v0
	v_mad_u32_u24 v29, v2, s8, v23
	s_movk_i32 s8, 0x10c
	v_and_b32_e32 v6, 0x1ffc, v6
	v_mad_u32_u24 v30, v5, s8, v6
	v_and_b32_e32 v6, 48, v0
	v_lshlrev_b32_e32 v6, 2, v6
	v_addc_co_u32_e32 v7, vcc, -1, v7, vcc
	v_mov_b32_e32 v3, 0x10c0
	v_mad_u32_u24 v31, v5, s8, v6
	v_or_b32_e32 v6, 60, v23
	s_ashr_i32 s25, s24, 31
	v_cndmask_b32_e64 v21, v4, v7, s[4:5]
	v_lshl_add_u32 v27, v2, 4, v3
	v_mul_u32_u24_e32 v3, 0x10c, v5
	v_and_b32_e32 v4, 0x7ff0, v17
	v_mad_u32_u24 v32, v5, s8, v6
	s_lshl_b64 s[10:11], s[24:25], 2
	s_lshl_b64 s[12:13], s[24:25], 3
	s_mul_hi_i32 s8, s24, 12
	s_lshl_b64 s[16:17], s[24:25], 6
	s_mul_hi_i32 s9, s24, 0x48
	s_mul_hi_i32 s21, s24, 0x4c
	s_lshl_b64 s[18:19], s[24:25], 7
	s_mul_hi_i32 s22, s24, 0x88
	s_mul_hi_i32 s23, s24, 0x8c
	;; [unrolled: 1-line block ×8, first 2 shown]
	v_mov_b32_e32 v1, 0
	s_lshl_b32 s7, s7, 6
	v_add_u32_e32 v26, 0x10c0, v23
	v_add_u32_e32 v28, 0x11c0, v23
	v_cmp_gt_u32_e32 vcc, 64, v17
	s_lshl_b64 s[14:15], s[24:25], 8
	s_mul_i32 s28, s24, 12
	s_mul_i32 s29, s24, 0x48
	;; [unrolled: 1-line block ×10, first 2 shown]
	s_mulk_i32 s24, 0x44
	s_mov_b32 s20, 0
	v_mov_b32_e32 v33, s11
	v_mov_b32_e32 v34, s13
	;; [unrolled: 1-line block ×3, first 2 shown]
	v_add_u32_e32 v36, v3, v4
	v_mov_b32_e32 v37, s17
	v_mov_b32_e32 v38, s43
	;; [unrolled: 1-line block ×12, first 2 shown]
	s_branch .LBB153_75
.LBB153_74:                             ;   in Loop: Header=BB153_75 Depth=1
	s_or_b64 exec, exec, s[22:23]
	v_fmac_f32_e32 v22, v52, v3
	v_fmac_f32_e32 v22, v50, v4
	;; [unrolled: 1-line block ×15, first 2 shown]
	v_mov_b32_e32 v3, s15
	v_add_co_u32_e64 v20, s[8:9], s14, v20
	s_add_i32 s6, s6, -1
	s_add_i32 s20, s20, s7
	v_fmac_f32_e32 v22, v61, v18
	v_addc_co_u32_e64 v21, s[8:9], v21, v3, s[8:9]
	s_cmp_eq_u32 s6, 0
	v_add_u32_e32 v0, 64, v0
	s_waitcnt vmcnt(0)
	s_barrier
	s_cbranch_scc1 .LBB153_79
.LBB153_75:                             ; =>This Inner Loop Header: Depth=1
	s_and_saveexec_b64 s[22:23], s[2:3]
	s_cbranch_execz .LBB153_77
; %bb.76:                               ;   in Loop: Header=BB153_75 Depth=1
	s_ashr_i32 s21, s20, 31
	s_lshl_b64 s[8:9], s[20:21], 2
	v_mov_b32_e32 v4, s9
	v_add_co_u32_e64 v3, s[8:9], s8, v24
	v_addc_co_u32_e64 v4, s[8:9], v25, v4, s[8:9]
	flat_load_dword v3, v[3:4]
	s_waitcnt vmcnt(0) lgkmcnt(0)
	ds_write_b32 v26, v3
.LBB153_77:                             ;   in Loop: Header=BB153_75 Depth=1
	s_or_b64 exec, exec, s[22:23]
	v_add_co_u32_e64 v3, s[8:9], s10, v20
	v_addc_co_u32_e64 v4, s[8:9], v21, v33, s[8:9]
	v_add_co_u32_e64 v5, s[8:9], s12, v20
	v_addc_co_u32_e64 v6, s[8:9], v21, v34, s[8:9]
	v_add_co_u32_e64 v7, s[8:9], s28, v20
	s_waitcnt lgkmcnt(0)
	s_barrier
	v_addc_co_u32_e64 v8, s[8:9], v21, v35, s[8:9]
	flat_load_dword v52, v[20:21]
	flat_load_dword v50, v[3:4]
	;; [unrolled: 1-line block ×4, first 2 shown]
	v_add_co_u32_e64 v7, s[8:9], s16, v20
	v_addc_co_u32_e64 v8, s[8:9], v21, v37, s[8:9]
	ds_read_b32 v15, v28
	ds_read_b128 v[3:6], v27
	v_add_co_u32_e64 v9, s[8:9], s24, v20
	v_addc_co_u32_e64 v10, s[8:9], v21, v38, s[8:9]
	v_add_co_u32_e64 v11, s[8:9], s29, v20
	v_addc_co_u32_e64 v12, s[8:9], v21, v39, s[8:9]
	;; [unrolled: 2-line block ×3, first 2 shown]
	s_waitcnt vmcnt(0) lgkmcnt(0)
	v_mul_f32_e32 v16, v52, v15
	v_mul_f32_e32 v17, v50, v15
	;; [unrolled: 1-line block ×4, first 2 shown]
	ds_write2_b32 v29, v16, v17 offset1:67
	ds_write2_b32 v29, v18, v15 offset0:134 offset1:201
	s_waitcnt lgkmcnt(0)
	s_barrier
	ds_read2_b32 v[15:16], v36 offset1:1
	ds_read2_b32 v[17:18], v36 offset0:2 offset1:3
	s_waitcnt lgkmcnt(0)
	s_barrier
	flat_load_dword v56, v[7:8]
	flat_load_dword v54, v[9:10]
	;; [unrolled: 1-line block ×4, first 2 shown]
	v_add_co_u32_e64 v11, s[8:9], s18, v20
	v_addc_co_u32_e64 v12, s[8:9], v21, v41, s[8:9]
	ds_read_b32 v57, v28
	ds_read_b128 v[7:10], v27 offset:64
	v_add_co_u32_e64 v13, s[8:9], s37, v20
	v_addc_co_u32_e64 v14, s[8:9], v21, v42, s[8:9]
	v_add_co_u32_e64 v61, s[8:9], s25, v20
	v_addc_co_u32_e64 v62, s[8:9], v21, v43, s[8:9]
	;; [unrolled: 2-line block ×7, first 2 shown]
	v_add_f32_e32 v15, 0, v15
	v_add_f32_e32 v15, v15, v16
	;; [unrolled: 1-line block ×3, first 2 shown]
	s_waitcnt vmcnt(0) lgkmcnt(0)
	v_mul_f32_e32 v58, v56, v57
	v_mul_f32_e32 v59, v54, v57
	;; [unrolled: 1-line block ×4, first 2 shown]
	ds_write2_b32 v29, v58, v59 offset1:67
	ds_write2_b32 v29, v60, v57 offset0:134 offset1:201
	s_waitcnt lgkmcnt(0)
	s_barrier
	ds_read2_b32 v[65:66], v36 offset1:1
	ds_read2_b32 v[67:68], v36 offset0:2 offset1:3
	s_waitcnt lgkmcnt(0)
	s_barrier
	flat_load_dword v60, v[11:12]
	flat_load_dword v58, v[13:14]
	flat_load_dword v57, v[61:62]
	flat_load_dword v59, v[63:64]
	ds_read_b32 v61, v28
	ds_read_b128 v[11:14], v27 offset:128
	s_waitcnt vmcnt(0) lgkmcnt(0)
	v_mul_f32_e32 v62, v60, v61
	v_mul_f32_e32 v63, v58, v61
	;; [unrolled: 1-line block ×4, first 2 shown]
	ds_write2_b32 v29, v62, v63 offset1:67
	ds_write2_b32 v29, v64, v61 offset0:134 offset1:201
	s_waitcnt lgkmcnt(0)
	s_barrier
	ds_read2_b32 v[77:78], v36 offset1:1
	ds_read2_b32 v[79:80], v36 offset0:2 offset1:3
	s_waitcnt lgkmcnt(0)
	s_barrier
	flat_load_dword v64, v[69:70]
	flat_load_dword v63, v[71:72]
	;; [unrolled: 1-line block ×4, first 2 shown]
	v_add_f32_e32 v69, v15, v18
	v_add_f32_e32 v15, 0, v65
	;; [unrolled: 1-line block ×5, first 2 shown]
	ds_read_b32 v65, v28
	ds_read_b128 v[15:18], v27 offset:192
	v_add_f32_e32 v66, 0, v77
	v_add_f32_e32 v66, v66, v78
	v_add_f32_e32 v66, v66, v79
	v_add_f32_e32 v71, v66, v80
	s_waitcnt vmcnt(0) lgkmcnt(0)
	v_mul_f32_e32 v66, v64, v65
	v_mul_f32_e32 v67, v63, v65
	;; [unrolled: 1-line block ×4, first 2 shown]
	ds_write2_b32 v29, v66, v67 offset1:67
	ds_write2_b32 v29, v68, v65 offset0:134 offset1:201
	s_waitcnt lgkmcnt(0)
	s_barrier
	ds_read2_b32 v[65:66], v36 offset1:1
	ds_read2_b32 v[67:68], v36 offset0:2 offset1:3
	s_waitcnt lgkmcnt(0)
	s_barrier
	v_add_f32_e32 v65, 0, v65
	v_add_f32_e32 v65, v65, v66
	;; [unrolled: 1-line block ×4, first 2 shown]
	ds_write2_b32 v30, v69, v70 offset1:16
	ds_write2_b32 v30, v71, v65 offset0:32 offset1:48
	s_waitcnt lgkmcnt(0)
	s_barrier
	s_and_saveexec_b64 s[22:23], vcc
	s_cbranch_execz .LBB153_74
; %bb.78:                               ;   in Loop: Header=BB153_75 Depth=1
	ds_read2_b32 v[65:66], v31 offset1:1
	ds_read2_b32 v[67:68], v31 offset0:2 offset1:3
	ds_read2_b32 v[69:70], v31 offset0:4 offset1:5
	;; [unrolled: 1-line block ×4, first 2 shown]
	s_waitcnt lgkmcnt(4)
	v_add_f32_e32 v65, v65, v66
	s_waitcnt lgkmcnt(3)
	v_add_f32_e32 v65, v65, v67
	v_add_f32_e32 v65, v65, v68
	s_waitcnt lgkmcnt(2)
	v_add_f32_e32 v65, v65, v69
	;; [unrolled: 3-line block ×3, first 2 shown]
	v_add_f32_e32 v69, v65, v72
	ds_read2_b32 v[65:66], v31 offset0:10 offset1:11
	ds_read2_b32 v[67:68], v31 offset0:12 offset1:13
	ds_read_b32 v70, v31 offset:56
	s_waitcnt lgkmcnt(3)
	v_add_f32_e32 v69, v69, v73
	v_add_f32_e32 v69, v69, v74
	s_waitcnt lgkmcnt(2)
	v_add_f32_e32 v65, v69, v65
	ds_read_b32 v69, v32
	v_add_f32_e32 v65, v65, v66
	s_waitcnt lgkmcnt(2)
	v_add_f32_e32 v65, v65, v67
	v_add_f32_e32 v65, v65, v68
	s_waitcnt lgkmcnt(1)
	v_add_f32_e32 v65, v65, v70
	s_waitcnt lgkmcnt(0)
	v_add_f32_e32 v67, v65, v69
	v_lshlrev_b64 v[65:66], 2, v[0:1]
	v_mov_b32_e32 v68, s27
	v_add_co_u32_e64 v65, s[8:9], s26, v65
	v_addc_co_u32_e64 v66, s[8:9], v68, v66, s[8:9]
	global_store_dword v[65:66], v67, off
	s_branch .LBB153_74
.LBB153_79:
	s_movk_i32 s2, 0x10c
	v_mad_u32_u24 v0, v2, s2, v23
	s_nor_b64 s[0:1], s[0:1], s[4:5]
	ds_write_b32 v0, v22
	s_waitcnt lgkmcnt(0)
	s_barrier
	s_and_saveexec_b64 s[2:3], s[0:1]
	s_cbranch_execz .LBB153_4
; %bb.80:
	ds_read2_b32 v[0:1], v23 offset1:67
	ds_read2_b32 v[2:3], v23 offset0:134 offset1:201
	v_ashrrev_i32_e32 v20, 31, v19
	v_lshlrev_b64 v[4:5], 2, v[19:20]
	v_mov_b32_e32 v6, s27
	s_waitcnt lgkmcnt(1)
	v_add_f32_e32 v0, v0, v1
	s_waitcnt lgkmcnt(0)
	v_add_f32_e32 v0, v0, v2
	v_add_f32_e32 v2, v0, v3
	v_add_co_u32_e32 v0, vcc, s26, v4
	v_addc_co_u32_e32 v1, vcc, v6, v5, vcc
	global_store_dword v[0:1], v2, off
	s_endpgm
	.section	.rodata,"a",@progbits
	.p2align	6, 0x0
	.amdhsa_kernel _ZL26rocblas_hemvn_kernel_lowerILb0ELi64ELi4ELi33ELi32ELi16EifPKPKfPfEviT6_lT7_lT5_lS6_lS7_lS5_lT8_i
		.amdhsa_group_segment_fixed_size 4800
		.amdhsa_private_segment_fixed_size 0
		.amdhsa_kernarg_size 368
		.amdhsa_user_sgpr_count 6
		.amdhsa_user_sgpr_private_segment_buffer 1
		.amdhsa_user_sgpr_dispatch_ptr 0
		.amdhsa_user_sgpr_queue_ptr 0
		.amdhsa_user_sgpr_kernarg_segment_ptr 1
		.amdhsa_user_sgpr_dispatch_id 0
		.amdhsa_user_sgpr_flat_scratch_init 0
		.amdhsa_user_sgpr_private_segment_size 0
		.amdhsa_uses_dynamic_stack 0
		.amdhsa_system_sgpr_private_segment_wavefront_offset 0
		.amdhsa_system_sgpr_workgroup_id_x 1
		.amdhsa_system_sgpr_workgroup_id_y 0
		.amdhsa_system_sgpr_workgroup_id_z 1
		.amdhsa_system_sgpr_workgroup_info 0
		.amdhsa_system_vgpr_workitem_id 1
		.amdhsa_next_free_vgpr 81
		.amdhsa_next_free_sgpr 46
		.amdhsa_reserve_vcc 1
		.amdhsa_reserve_flat_scratch 0
		.amdhsa_float_round_mode_32 0
		.amdhsa_float_round_mode_16_64 0
		.amdhsa_float_denorm_mode_32 3
		.amdhsa_float_denorm_mode_16_64 3
		.amdhsa_dx10_clamp 1
		.amdhsa_ieee_mode 1
		.amdhsa_fp16_overflow 0
		.amdhsa_exception_fp_ieee_invalid_op 0
		.amdhsa_exception_fp_denorm_src 0
		.amdhsa_exception_fp_ieee_div_zero 0
		.amdhsa_exception_fp_ieee_overflow 0
		.amdhsa_exception_fp_ieee_underflow 0
		.amdhsa_exception_fp_ieee_inexact 0
		.amdhsa_exception_int_div_zero 0
	.end_amdhsa_kernel
	.section	.text._ZL26rocblas_hemvn_kernel_lowerILb0ELi64ELi4ELi33ELi32ELi16EifPKPKfPfEviT6_lT7_lT5_lS6_lS7_lS5_lT8_i,"axG",@progbits,_ZL26rocblas_hemvn_kernel_lowerILb0ELi64ELi4ELi33ELi32ELi16EifPKPKfPfEviT6_lT7_lT5_lS6_lS7_lS5_lT8_i,comdat
.Lfunc_end153:
	.size	_ZL26rocblas_hemvn_kernel_lowerILb0ELi64ELi4ELi33ELi32ELi16EifPKPKfPfEviT6_lT7_lT5_lS6_lS7_lS5_lT8_i, .Lfunc_end153-_ZL26rocblas_hemvn_kernel_lowerILb0ELi64ELi4ELi33ELi32ELi16EifPKPKfPfEviT6_lT7_lT5_lS6_lS7_lS5_lT8_i
                                        ; -- End function
	.set _ZL26rocblas_hemvn_kernel_lowerILb0ELi64ELi4ELi33ELi32ELi16EifPKPKfPfEviT6_lT7_lT5_lS6_lS7_lS5_lT8_i.num_vgpr, 81
	.set _ZL26rocblas_hemvn_kernel_lowerILb0ELi64ELi4ELi33ELi32ELi16EifPKPKfPfEviT6_lT7_lT5_lS6_lS7_lS5_lT8_i.num_agpr, 0
	.set _ZL26rocblas_hemvn_kernel_lowerILb0ELi64ELi4ELi33ELi32ELi16EifPKPKfPfEviT6_lT7_lT5_lS6_lS7_lS5_lT8_i.numbered_sgpr, 46
	.set _ZL26rocblas_hemvn_kernel_lowerILb0ELi64ELi4ELi33ELi32ELi16EifPKPKfPfEviT6_lT7_lT5_lS6_lS7_lS5_lT8_i.num_named_barrier, 0
	.set _ZL26rocblas_hemvn_kernel_lowerILb0ELi64ELi4ELi33ELi32ELi16EifPKPKfPfEviT6_lT7_lT5_lS6_lS7_lS5_lT8_i.private_seg_size, 0
	.set _ZL26rocblas_hemvn_kernel_lowerILb0ELi64ELi4ELi33ELi32ELi16EifPKPKfPfEviT6_lT7_lT5_lS6_lS7_lS5_lT8_i.uses_vcc, 1
	.set _ZL26rocblas_hemvn_kernel_lowerILb0ELi64ELi4ELi33ELi32ELi16EifPKPKfPfEviT6_lT7_lT5_lS6_lS7_lS5_lT8_i.uses_flat_scratch, 0
	.set _ZL26rocblas_hemvn_kernel_lowerILb0ELi64ELi4ELi33ELi32ELi16EifPKPKfPfEviT6_lT7_lT5_lS6_lS7_lS5_lT8_i.has_dyn_sized_stack, 0
	.set _ZL26rocblas_hemvn_kernel_lowerILb0ELi64ELi4ELi33ELi32ELi16EifPKPKfPfEviT6_lT7_lT5_lS6_lS7_lS5_lT8_i.has_recursion, 0
	.set _ZL26rocblas_hemvn_kernel_lowerILb0ELi64ELi4ELi33ELi32ELi16EifPKPKfPfEviT6_lT7_lT5_lS6_lS7_lS5_lT8_i.has_indirect_call, 0
	.section	.AMDGPU.csdata,"",@progbits
; Kernel info:
; codeLenInByte = 5668
; TotalNumSgprs: 50
; NumVgprs: 81
; ScratchSize: 0
; MemoryBound: 0
; FloatMode: 240
; IeeeMode: 1
; LDSByteSize: 4800 bytes/workgroup (compile time only)
; SGPRBlocks: 6
; VGPRBlocks: 20
; NumSGPRsForWavesPerEU: 50
; NumVGPRsForWavesPerEU: 81
; Occupancy: 3
; WaveLimiterHint : 1
; COMPUTE_PGM_RSRC2:SCRATCH_EN: 0
; COMPUTE_PGM_RSRC2:USER_SGPR: 6
; COMPUTE_PGM_RSRC2:TRAP_HANDLER: 0
; COMPUTE_PGM_RSRC2:TGID_X_EN: 1
; COMPUTE_PGM_RSRC2:TGID_Y_EN: 0
; COMPUTE_PGM_RSRC2:TGID_Z_EN: 1
; COMPUTE_PGM_RSRC2:TIDIG_COMP_CNT: 1
	.section	.text._ZL36rocblas_hemvn_kernel_lower_block_sumILi64EifPKPffEviT1_lS3_lT2_lT0_lPT3_i,"axG",@progbits,_ZL36rocblas_hemvn_kernel_lower_block_sumILi64EifPKPffEviT1_lS3_lT2_lT0_lPT3_i,comdat
	.globl	_ZL36rocblas_hemvn_kernel_lower_block_sumILi64EifPKPffEviT1_lS3_lT2_lT0_lPT3_i ; -- Begin function _ZL36rocblas_hemvn_kernel_lower_block_sumILi64EifPKPffEviT1_lS3_lT2_lT0_lPT3_i
	.p2align	8
	.type	_ZL36rocblas_hemvn_kernel_lower_block_sumILi64EifPKPffEviT1_lS3_lT2_lT0_lPT3_i,@function
_ZL36rocblas_hemvn_kernel_lower_block_sumILi64EifPKPffEviT1_lS3_lT2_lT0_lPT3_i: ; @_ZL36rocblas_hemvn_kernel_lower_block_sumILi64EifPKPffEviT1_lS3_lT2_lT0_lPT3_i
; %bb.0:
	s_load_dwordx2 s[2:3], s[4:5], 0x0
	s_load_dword s16, s[4:5], 0x10
	s_mov_b32 s11, 0
	s_waitcnt lgkmcnt(0)
	v_cmp_eq_f32_e64 s[0:1], s3, 0
	v_cmp_eq_f32_e64 s[8:9], s16, 1.0
	s_and_b64 s[0:1], s[0:1], s[8:9]
	s_and_b64 vcc, exec, s[0:1]
	s_cbranch_vccnz .LBB154_19
; %bb.1:
	s_load_dwordx4 s[12:15], s[4:5], 0x20
	s_load_dword s17, s[4:5], 0x30
	s_mov_b32 s10, s7
	s_lshl_b64 s[0:1], s[10:11], 3
	v_lshl_or_b32 v2, s6, 6, v0
	s_waitcnt lgkmcnt(0)
	s_add_u32 s0, s12, s0
	s_addc_u32 s1, s13, s1
	s_load_dwordx2 s[0:1], s[0:1], 0x0
	s_lshl_b64 s[12:13], s[14:15], 2
	v_cmp_neq_f32_e64 s[8:9], s3, 0
	s_waitcnt lgkmcnt(0)
	s_add_u32 s7, s0, s12
	s_addc_u32 s11, s1, s13
	s_and_b64 vcc, exec, s[8:9]
	v_cmp_gt_i32_e64 s[0:1], s2, v2
	s_cbranch_vccnz .LBB154_6
; %bb.2:
	s_mov_b64 s[12:13], 0
	s_mov_b64 s[8:9], 0
                                        ; implicit-def: $vgpr3
                                        ; implicit-def: $vgpr0_vgpr1
	s_and_saveexec_b64 s[14:15], s[0:1]
	s_cbranch_execz .LBB154_7
; %bb.3:
	v_mul_lo_u32 v0, s17, v2
	v_cmp_eq_f32_e64 s[0:1], s16, 0
	v_mov_b32_e32 v3, 0
	s_and_b64 vcc, exec, s[0:1]
	v_ashrrev_i32_e32 v1, 31, v0
	s_cbranch_vccnz .LBB154_5
; %bb.4:
	v_lshlrev_b64 v[3:4], 2, v[0:1]
	v_mov_b32_e32 v5, s11
	v_add_co_u32_e32 v3, vcc, s7, v3
	v_addc_co_u32_e32 v4, vcc, v5, v4, vcc
	flat_load_dword v3, v[3:4]
	s_waitcnt vmcnt(0) lgkmcnt(0)
	v_mul_f32_e32 v3, s16, v3
.LBB154_5:
	s_mov_b64 s[8:9], exec
	s_or_b64 exec, exec, s[14:15]
	s_and_b64 vcc, exec, s[12:13]
	s_cbranch_vccnz .LBB154_8
	s_branch .LBB154_17
.LBB154_6:
	s_mov_b64 s[8:9], 0
                                        ; implicit-def: $vgpr3
                                        ; implicit-def: $vgpr0_vgpr1
	s_cbranch_execnz .LBB154_8
	s_branch .LBB154_17
.LBB154_7:
	s_or_b64 exec, exec, s[14:15]
	s_and_b64 vcc, exec, s[12:13]
	s_cbranch_vccz .LBB154_17
.LBB154_8:
	v_cmp_gt_i32_e32 vcc, s2, v2
                                        ; implicit-def: $vgpr3
                                        ; implicit-def: $vgpr0_vgpr1
	s_and_saveexec_b64 s[0:1], vcc
	s_cbranch_execz .LBB154_16
; %bb.9:
	s_load_dword s12, s[4:5], 0x50
	v_mov_b32_e32 v4, 0
	s_waitcnt lgkmcnt(0)
	s_cmp_ge_i32 s6, s12
	s_cbranch_scc1 .LBB154_12
; %bb.10:
	s_ashr_i32 s15, s2, 31
	s_mul_i32 s13, s2, s6
	s_load_dwordx2 s[4:5], s[4:5], 0x40
	v_add_u32_e32 v0, s13, v2
	s_mul_hi_u32 s13, s2, s10
	s_mul_i32 s18, s15, s10
	s_mov_b32 s14, s2
	s_add_i32 s13, s13, s18
	s_mul_i32 s2, s2, s10
	s_mul_i32 s13, s13, s12
	s_mul_hi_u32 s10, s2, s12
	s_add_i32 s19, s10, s13
	s_mul_i32 s18, s2, s12
	v_ashrrev_i32_e32 v1, 31, v0
	s_lshl_b64 s[18:19], s[18:19], 2
	v_lshlrev_b64 v[0:1], 2, v[0:1]
	s_waitcnt lgkmcnt(0)
	s_add_u32 s2, s4, s18
	s_addc_u32 s4, s5, s19
	v_mov_b32_e32 v3, s4
	v_add_co_u32_e32 v0, vcc, s2, v0
	s_lshl_b64 s[4:5], s[14:15], 2
	v_addc_co_u32_e32 v1, vcc, v3, v1, vcc
	v_mov_b32_e32 v4, 0
	v_mov_b32_e32 v3, s5
.LBB154_11:                             ; =>This Inner Loop Header: Depth=1
	global_load_dword v5, v[0:1], off
	s_add_i32 s6, s6, 1
	v_add_co_u32_e32 v0, vcc, s4, v0
	v_addc_co_u32_e32 v1, vcc, v1, v3, vcc
	s_cmp_ge_i32 s6, s12
	s_waitcnt vmcnt(0)
	v_add_f32_e32 v4, v4, v5
	s_cbranch_scc0 .LBB154_11
.LBB154_12:
	v_mul_lo_u32 v0, s17, v2
	v_cmp_eq_f32_e64 s[4:5], s16, 0
	s_and_b64 vcc, exec, s[4:5]
	v_ashrrev_i32_e32 v1, 31, v0
	s_cbranch_vccz .LBB154_20
; %bb.13:
	v_mul_f32_e32 v3, s3, v4
	s_cbranch_execnz .LBB154_15
.LBB154_14:
	v_lshlrev_b64 v[2:3], 2, v[0:1]
	v_mov_b32_e32 v5, s11
	v_add_co_u32_e32 v2, vcc, s7, v2
	v_addc_co_u32_e32 v3, vcc, v5, v3, vcc
	flat_load_dword v2, v[2:3]
	s_waitcnt vmcnt(0) lgkmcnt(0)
	v_mul_f32_e32 v3, s16, v2
	v_fmac_f32_e32 v3, s3, v4
.LBB154_15:
	s_or_b64 s[8:9], s[8:9], exec
.LBB154_16:
	s_or_b64 exec, exec, s[0:1]
.LBB154_17:
	s_and_saveexec_b64 s[0:1], s[8:9]
	s_cbranch_execz .LBB154_19
; %bb.18:
	v_lshlrev_b64 v[0:1], 2, v[0:1]
	v_mov_b32_e32 v2, s11
	v_add_co_u32_e32 v0, vcc, s7, v0
	v_addc_co_u32_e32 v1, vcc, v2, v1, vcc
	flat_store_dword v[0:1], v3
.LBB154_19:
	s_endpgm
.LBB154_20:
                                        ; implicit-def: $vgpr3
	s_branch .LBB154_14
	.section	.rodata,"a",@progbits
	.p2align	6, 0x0
	.amdhsa_kernel _ZL36rocblas_hemvn_kernel_lower_block_sumILi64EifPKPffEviT1_lS3_lT2_lT0_lPT3_i
		.amdhsa_group_segment_fixed_size 0
		.amdhsa_private_segment_fixed_size 0
		.amdhsa_kernarg_size 336
		.amdhsa_user_sgpr_count 6
		.amdhsa_user_sgpr_private_segment_buffer 1
		.amdhsa_user_sgpr_dispatch_ptr 0
		.amdhsa_user_sgpr_queue_ptr 0
		.amdhsa_user_sgpr_kernarg_segment_ptr 1
		.amdhsa_user_sgpr_dispatch_id 0
		.amdhsa_user_sgpr_flat_scratch_init 0
		.amdhsa_user_sgpr_private_segment_size 0
		.amdhsa_uses_dynamic_stack 0
		.amdhsa_system_sgpr_private_segment_wavefront_offset 0
		.amdhsa_system_sgpr_workgroup_id_x 1
		.amdhsa_system_sgpr_workgroup_id_y 0
		.amdhsa_system_sgpr_workgroup_id_z 1
		.amdhsa_system_sgpr_workgroup_info 0
		.amdhsa_system_vgpr_workitem_id 0
		.amdhsa_next_free_vgpr 6
		.amdhsa_next_free_sgpr 20
		.amdhsa_reserve_vcc 1
		.amdhsa_reserve_flat_scratch 0
		.amdhsa_float_round_mode_32 0
		.amdhsa_float_round_mode_16_64 0
		.amdhsa_float_denorm_mode_32 3
		.amdhsa_float_denorm_mode_16_64 3
		.amdhsa_dx10_clamp 1
		.amdhsa_ieee_mode 1
		.amdhsa_fp16_overflow 0
		.amdhsa_exception_fp_ieee_invalid_op 0
		.amdhsa_exception_fp_denorm_src 0
		.amdhsa_exception_fp_ieee_div_zero 0
		.amdhsa_exception_fp_ieee_overflow 0
		.amdhsa_exception_fp_ieee_underflow 0
		.amdhsa_exception_fp_ieee_inexact 0
		.amdhsa_exception_int_div_zero 0
	.end_amdhsa_kernel
	.section	.text._ZL36rocblas_hemvn_kernel_lower_block_sumILi64EifPKPffEviT1_lS3_lT2_lT0_lPT3_i,"axG",@progbits,_ZL36rocblas_hemvn_kernel_lower_block_sumILi64EifPKPffEviT1_lS3_lT2_lT0_lPT3_i,comdat
.Lfunc_end154:
	.size	_ZL36rocblas_hemvn_kernel_lower_block_sumILi64EifPKPffEviT1_lS3_lT2_lT0_lPT3_i, .Lfunc_end154-_ZL36rocblas_hemvn_kernel_lower_block_sumILi64EifPKPffEviT1_lS3_lT2_lT0_lPT3_i
                                        ; -- End function
	.set _ZL36rocblas_hemvn_kernel_lower_block_sumILi64EifPKPffEviT1_lS3_lT2_lT0_lPT3_i.num_vgpr, 6
	.set _ZL36rocblas_hemvn_kernel_lower_block_sumILi64EifPKPffEviT1_lS3_lT2_lT0_lPT3_i.num_agpr, 0
	.set _ZL36rocblas_hemvn_kernel_lower_block_sumILi64EifPKPffEviT1_lS3_lT2_lT0_lPT3_i.numbered_sgpr, 20
	.set _ZL36rocblas_hemvn_kernel_lower_block_sumILi64EifPKPffEviT1_lS3_lT2_lT0_lPT3_i.num_named_barrier, 0
	.set _ZL36rocblas_hemvn_kernel_lower_block_sumILi64EifPKPffEviT1_lS3_lT2_lT0_lPT3_i.private_seg_size, 0
	.set _ZL36rocblas_hemvn_kernel_lower_block_sumILi64EifPKPffEviT1_lS3_lT2_lT0_lPT3_i.uses_vcc, 1
	.set _ZL36rocblas_hemvn_kernel_lower_block_sumILi64EifPKPffEviT1_lS3_lT2_lT0_lPT3_i.uses_flat_scratch, 0
	.set _ZL36rocblas_hemvn_kernel_lower_block_sumILi64EifPKPffEviT1_lS3_lT2_lT0_lPT3_i.has_dyn_sized_stack, 0
	.set _ZL36rocblas_hemvn_kernel_lower_block_sumILi64EifPKPffEviT1_lS3_lT2_lT0_lPT3_i.has_recursion, 0
	.set _ZL36rocblas_hemvn_kernel_lower_block_sumILi64EifPKPffEviT1_lS3_lT2_lT0_lPT3_i.has_indirect_call, 0
	.section	.AMDGPU.csdata,"",@progbits
; Kernel info:
; codeLenInByte = 580
; TotalNumSgprs: 24
; NumVgprs: 6
; ScratchSize: 0
; MemoryBound: 0
; FloatMode: 240
; IeeeMode: 1
; LDSByteSize: 0 bytes/workgroup (compile time only)
; SGPRBlocks: 2
; VGPRBlocks: 1
; NumSGPRsForWavesPerEU: 24
; NumVGPRsForWavesPerEU: 6
; Occupancy: 10
; WaveLimiterHint : 1
; COMPUTE_PGM_RSRC2:SCRATCH_EN: 0
; COMPUTE_PGM_RSRC2:USER_SGPR: 6
; COMPUTE_PGM_RSRC2:TRAP_HANDLER: 0
; COMPUTE_PGM_RSRC2:TGID_X_EN: 1
; COMPUTE_PGM_RSRC2:TGID_Y_EN: 0
; COMPUTE_PGM_RSRC2:TGID_Z_EN: 1
; COMPUTE_PGM_RSRC2:TIDIG_COMP_CNT: 0
	.section	.text._ZL50rocblas_symv_kernel_upper_double_buffered_diagonalILi32ELi4E24rocblas_internal_val_ptrIdEPKPKdPKPdEvbiT1_lT2_lllSA_lllS9_lT3_llli,"axG",@progbits,_ZL50rocblas_symv_kernel_upper_double_buffered_diagonalILi32ELi4E24rocblas_internal_val_ptrIdEPKPKdPKPdEvbiT1_lT2_lllSA_lllS9_lT3_llli,comdat
	.globl	_ZL50rocblas_symv_kernel_upper_double_buffered_diagonalILi32ELi4E24rocblas_internal_val_ptrIdEPKPKdPKPdEvbiT1_lT2_lllSA_lllS9_lT3_llli ; -- Begin function _ZL50rocblas_symv_kernel_upper_double_buffered_diagonalILi32ELi4E24rocblas_internal_val_ptrIdEPKPKdPKPdEvbiT1_lT2_lllSA_lllS9_lT3_llli
	.p2align	8
	.type	_ZL50rocblas_symv_kernel_upper_double_buffered_diagonalILi32ELi4E24rocblas_internal_val_ptrIdEPKPKdPKPdEvbiT1_lT2_lllSA_lllS9_lT3_llli,@function
_ZL50rocblas_symv_kernel_upper_double_buffered_diagonalILi32ELi4E24rocblas_internal_val_ptrIdEPKPKdPKPdEvbiT1_lT2_lllSA_lllS9_lT3_llli: ; @_ZL50rocblas_symv_kernel_upper_double_buffered_diagonalILi32ELi4E24rocblas_internal_val_ptrIdEPKPKdPKPdEvbiT1_lT2_lllSA_lllS9_lT3_llli
; %bb.0:
	s_load_dword s0, s[4:5], 0x0
	s_load_dwordx8 s[8:15], s[4:5], 0x8
	s_mov_b32 s18, s7
	s_waitcnt lgkmcnt(0)
	s_bitcmp1_b32 s0, 0
	s_load_dwordx2 s[16:17], s[4:5], 0x28
	s_load_dwordx4 s[0:3], s[4:5], 0x58
	s_cselect_b64 s[22:23], -1, 0
	v_mov_b32_e32 v2, s8
	s_xor_b64 s[20:21], s[22:23], -1
	s_and_b64 vcc, exec, s[22:23]
	v_mov_b32_e32 v3, s9
	s_cbranch_vccnz .LBB155_2
; %bb.1:
	s_mul_i32 s7, s11, s18
	s_mul_hi_u32 s11, s10, s18
	s_add_i32 s11, s11, s7
	s_mul_i32 s10, s10, s18
	s_lshl_b64 s[10:11], s[10:11], 3
	s_add_u32 s8, s8, s10
	s_addc_u32 s9, s9, s11
	v_mov_b32_e32 v2, s8
	v_mov_b32_e32 v3, s9
	flat_load_dwordx2 v[2:3], v[2:3]
.LBB155_2:
	s_waitcnt lgkmcnt(0)
	v_mov_b32_e32 v5, s1
	s_andn2_b64 vcc, exec, s[20:21]
	v_mov_b32_e32 v4, s0
	s_cbranch_vccnz .LBB155_4
; %bb.3:
	s_mul_i32 s3, s3, s18
	s_mul_hi_u32 s7, s2, s18
	s_add_i32 s3, s7, s3
	s_mul_i32 s2, s2, s18
	s_lshl_b64 s[2:3], s[2:3], 3
	s_add_u32 s0, s0, s2
	s_addc_u32 s1, s1, s3
	v_mov_b32_e32 v5, s1
	v_mov_b32_e32 v4, s0
	flat_load_dwordx2 v[4:5], v[4:5]
.LBB155_4:
	s_waitcnt vmcnt(0)
	v_cmp_neq_f64_e32 vcc, 0, v[2:3]
	s_waitcnt lgkmcnt(0)
	v_cmp_neq_f64_e64 s[0:1], 1.0, v[4:5]
	s_or_b64 s[0:1], vcc, s[0:1]
	s_and_saveexec_b64 s[2:3], s[0:1]
	s_cbranch_execz .LBB155_39
; %bb.5:
	v_cmp_neq_f64_e64 s[0:1], 0, v[2:3]
	v_cmp_eq_f64_e32 vcc, 0, v[2:3]
	s_mov_b32 s19, 0
	v_mov_b32_e32 v6, s18
	v_mov_b32_e32 v7, s19
	s_and_saveexec_b64 s[2:3], vcc
	s_xor_b64 s[2:3], exec, s[2:3]
; %bb.6:
	v_mov_b32_e32 v6, s18
	v_mov_b32_e32 v7, s19
; %bb.7:
	s_or_saveexec_b64 s[8:9], s[2:3]
	s_load_dwordx2 s[2:3], s[4:5], 0x68
	v_mov_b32_e32 v10, 0
	v_mov_b32_e32 v8, 0
	;; [unrolled: 1-line block ×4, first 2 shown]
	s_xor_b64 exec, exec, s[8:9]
	s_cbranch_execz .LBB155_9
; %bb.8:
	s_lshl_b64 s[10:11], s[18:19], 3
	s_add_u32 s10, s12, s10
	s_addc_u32 s11, s13, s11
	s_load_dwordx2 s[10:11], s[10:11], 0x0
	s_lshl_b64 s[12:13], s[14:15], 3
	s_waitcnt lgkmcnt(0)
	s_add_u32 s10, s10, s12
	s_addc_u32 s11, s11, s13
	v_mov_b32_e32 v8, s10
	v_mov_b32_e32 v9, s11
.LBB155_9:
	s_or_b64 exec, exec, s[8:9]
	s_load_dwordx4 s[8:11], s[4:5], 0x38
	s_load_dwordx2 s[12:13], s[4:5], 0x48
	v_lshlrev_b64 v[6:7], 3, v[6:7]
	s_and_saveexec_b64 s[14:15], s[0:1]
	s_cbranch_execz .LBB155_11
; %bb.10:
	s_waitcnt lgkmcnt(0)
	v_mov_b32_e32 v11, s9
	v_add_co_u32_e64 v10, s[0:1], s8, v6
	v_addc_co_u32_e64 v11, s[0:1], v11, v7, s[0:1]
	global_load_dwordx2 v[10:11], v[10:11], off
	s_lshl_b64 s[0:1], s[10:11], 3
	v_mov_b32_e32 v12, s1
	s_waitcnt vmcnt(0)
	v_add_co_u32_e64 v10, s[0:1], s0, v10
	v_addc_co_u32_e64 v11, s[0:1], v11, v12, s[0:1]
.LBB155_11:
	s_or_b64 exec, exec, s[14:15]
	s_waitcnt lgkmcnt(0)
	v_mov_b32_e32 v12, s3
	v_add_co_u32_e64 v6, s[0:1], s2, v6
	v_addc_co_u32_e64 v7, s[0:1], v12, v7, s[0:1]
	global_load_dwordx2 v[6:7], v[6:7], off
	s_load_dwordx4 s[0:3], s[4:5], 0x70
	s_lshl_b32 s8, s6, 5
	s_ashr_i32 s9, s8, 31
	s_waitcnt lgkmcnt(0)
	s_lshl_b64 s[0:1], s[0:1], 3
	s_mul_i32 s5, s2, s9
	s_mul_hi_u32 s6, s2, s8
	s_mul_i32 s7, s3, s8
	v_mov_b32_e32 v12, s1
	s_add_i32 s1, s6, s5
	s_mul_i32 s4, s2, s8
	s_add_i32 s5, s1, s7
	s_lshl_b64 s[4:5], s[4:5], 3
	v_mov_b32_e32 v13, s5
	s_waitcnt vmcnt(0)
	v_add_co_u32_e64 v6, s[0:1], s0, v6
	v_addc_co_u32_e64 v7, s[0:1], v7, v12, s[0:1]
	v_add_co_u32_e64 v16, s[0:1], s4, v6
	v_addc_co_u32_e64 v17, s[0:1], v7, v13, s[0:1]
	s_and_saveexec_b64 s[0:1], vcc
	s_xor_b64 s[0:1], exec, s[0:1]
	s_cbranch_execz .LBB155_15
; %bb.12:
	v_cmp_eq_u32_e32 vcc, 0, v1
	s_and_saveexec_b64 s[4:5], vcc
	s_cbranch_execz .LBB155_14
; %bb.13:
	v_mad_u64_u32 v[1:2], s[6:7], s2, v0, 0
	v_mad_u64_u32 v[2:3], s[6:7], s3, v0, v[2:3]
	v_lshlrev_b64 v[0:1], 3, v[1:2]
	v_add_co_u32_e32 v0, vcc, v16, v0
	v_addc_co_u32_e32 v1, vcc, v17, v1, vcc
	flat_load_dwordx2 v[2:3], v[0:1]
	s_waitcnt vmcnt(0) lgkmcnt(0)
	v_mul_f64 v[2:3], v[4:5], v[2:3]
	flat_store_dwordx2 v[0:1], v[2:3]
.LBB155_14:
	s_or_b64 exec, exec, s[4:5]
                                        ; implicit-def: $vgpr1
                                        ; implicit-def: $vgpr0
                                        ; implicit-def: $vgpr2_vgpr3
                                        ; implicit-def: $vgpr4_vgpr5
                                        ; implicit-def: $vgpr16
                                        ; implicit-def: $vgpr17
                                        ; implicit-def: $vgpr8_vgpr9
                                        ; implicit-def: $vgpr10_vgpr11
.LBB155_15:
	s_andn2_saveexec_b64 s[0:1], s[0:1]
	s_cbranch_execz .LBB155_39
; %bb.16:
	v_mov_b32_e32 v6, 0
	v_mov_b32_e32 v7, 0
	v_cmp_eq_u32_e32 vcc, 0, v1
	s_and_saveexec_b64 s[4:5], vcc
	s_cbranch_execz .LBB155_20
; %bb.17:
	v_cmp_neq_f64_e64 s[0:1], 0, v[4:5]
	v_mov_b32_e32 v6, 0
	v_mov_b32_e32 v7, 0
	s_and_saveexec_b64 s[6:7], s[0:1]
	s_cbranch_execz .LBB155_19
; %bb.18:
	v_mad_u64_u32 v[6:7], s[0:1], s2, v0, 0
	v_mad_u64_u32 v[12:13], s[0:1], s3, v0, v[7:8]
	v_mov_b32_e32 v7, v12
	v_lshlrev_b64 v[6:7], 3, v[6:7]
	v_add_co_u32_e64 v6, s[0:1], v16, v6
	v_addc_co_u32_e64 v7, s[0:1], v17, v7, s[0:1]
	flat_load_dwordx2 v[6:7], v[6:7]
	s_waitcnt vmcnt(0) lgkmcnt(0)
	v_mul_f64 v[6:7], v[4:5], v[6:7]
.LBB155_19:
	s_or_b64 exec, exec, s[6:7]
	v_mad_u64_u32 v[12:13], s[6:7], s12, v0, 0
	s_mul_i32 s0, s12, s9
	s_mul_hi_u32 s1, s12, s8
	s_add_i32 s0, s1, s0
	s_mul_i32 s1, s13, s8
	v_mad_u64_u32 v[13:14], s[6:7], s13, v0, v[13:14]
	s_add_i32 s1, s0, s1
	s_mul_i32 s0, s12, s8
	s_lshl_b64 s[0:1], s[0:1], 3
	v_mov_b32_e32 v15, s1
	v_add_co_u32_e64 v14, s[0:1], s0, v10
	v_addc_co_u32_e64 v15, s[0:1], v11, v15, s[0:1]
	v_lshlrev_b64 v[10:11], 3, v[12:13]
	v_lshlrev_b32_e32 v12, 3, v0
	v_add_co_u32_e64 v10, s[0:1], v14, v10
	v_addc_co_u32_e64 v11, s[0:1], v15, v11, s[0:1]
	flat_load_dwordx2 v[10:11], v[10:11]
	s_waitcnt vmcnt(0) lgkmcnt(0)
	ds_write_b64 v12, v[10:11] offset:10240
.LBB155_20:
	s_or_b64 exec, exec, s[4:5]
	s_add_u32 s0, s16, 1
	s_addc_u32 s1, s17, 0
	s_mul_i32 s4, s0, s9
	s_mul_hi_u32 s5, s0, s8
	s_add_i32 s4, s5, s4
	s_mul_i32 s1, s1, s8
	s_add_i32 s1, s4, s1
	v_mad_u64_u32 v[10:11], s[4:5], s16, v1, 0
	s_mul_i32 s0, s0, s8
	s_lshl_b64 s[0:1], s[0:1], 3
	v_mad_u64_u32 v[11:12], s[4:5], s17, v1, v[11:12]
	v_mov_b32_e32 v13, s1
	v_add_co_u32_e64 v12, s[0:1], s0, v8
	v_addc_co_u32_e64 v13, s[0:1], v9, v13, s[0:1]
	v_lshlrev_b64 v[8:9], 3, v[10:11]
	v_lshlrev_b32_e32 v18, 3, v0
	v_add_co_u32_e64 v8, s[0:1], v12, v8
	v_addc_co_u32_e64 v9, s[0:1], v13, v9, s[0:1]
	v_add_co_u32_e64 v8, s[0:1], v8, v18
	v_addc_co_u32_e64 v9, s[0:1], 0, v9, s[0:1]
	v_cmp_lt_u32_e64 s[0:1], 15, v0
	s_mul_i32 s12, s17, 12
	s_mul_hi_u32 s13, s16, 12
	s_mul_i32 s4, s16, 12
                                        ; implicit-def: $sgpr8_sgpr9
                                        ; implicit-def: $sgpr10_sgpr11
	s_and_saveexec_b64 s[6:7], s[0:1]
	s_xor_b64 s[0:1], exec, s[6:7]
; %bb.21:
	s_lshl_b64 s[8:9], s[16:17], 2
	s_lshl_b64 s[10:11], s[16:17], 3
	s_add_i32 s5, s13, s12
; %bb.22:
	s_or_saveexec_b64 s[6:7], s[0:1]
	v_mov_b32_e32 v11, s5
	v_mov_b32_e32 v13, s11
	;; [unrolled: 1-line block ×6, first 2 shown]
	v_lshlrev_b32_e32 v19, 8, v1
	s_xor_b64 exec, exec, s[6:7]
	s_cbranch_execz .LBB155_24
; %bb.23:
	s_lshl_b64 s[8:9], s[16:17], 5
	v_mov_b32_e32 v15, s9
	v_add_co_u32_e64 v10, s[0:1], s8, v8
	v_addc_co_u32_e64 v11, s[0:1], v9, v15, s[0:1]
	v_add_co_u32_e64 v12, s[0:1], s8, v10
	v_addc_co_u32_e64 v13, s[0:1], v11, v15, s[0:1]
	;; [unrolled: 2-line block ×3, first 2 shown]
	flat_load_dwordx2 v[20:21], v[8:9]
	flat_load_dwordx2 v[22:23], v[10:11]
	;; [unrolled: 1-line block ×4, first 2 shown]
	v_lshl_add_u32 v14, v0, 3, v19
	s_lshl_b64 s[0:1], s[16:17], 2
	s_lshl_b64 s[8:9], s[16:17], 3
	s_add_i32 s5, s13, s12
	v_mov_b32_e32 v11, s5
	v_mov_b32_e32 v13, s9
	;; [unrolled: 1-line block ×4, first 2 shown]
	s_waitcnt vmcnt(0) lgkmcnt(0)
	ds_write2st64_b64 v14, v[20:21], v[22:23] offset1:2
	ds_write2st64_b64 v14, v[24:25], v[26:27] offset0:4 offset1:6
	v_mov_b32_e32 v15, s1
	v_mov_b32_e32 v14, s0
.LBB155_24:
	s_or_b64 exec, exec, s[6:7]
	s_lshl_b64 s[0:1], s[16:17], 7
	v_mov_b32_e32 v20, s1
	v_add_co_u32_e64 v8, s[0:1], s0, v8
	v_lshlrev_b64 v[14:15], 3, v[14:15]
	v_addc_co_u32_e64 v9, s[0:1], v9, v20, s[0:1]
	v_add_co_u32_e64 v14, s[0:1], v8, v14
	v_lshlrev_b64 v[12:13], 3, v[12:13]
	v_addc_co_u32_e64 v15, s[0:1], v9, v15, s[0:1]
	;; [unrolled: 3-line block ×3, first 2 shown]
	v_add_co_u32_e64 v10, s[0:1], v8, v10
	v_addc_co_u32_e64 v11, s[0:1], v9, v11, s[0:1]
	flat_load_dwordx2 v[20:21], v[8:9]
	flat_load_dwordx2 v[22:23], v[14:15]
	;; [unrolled: 1-line block ×4, first 2 shown]
	v_add_u32_e32 v9, 0x1400, v19
	v_add_u32_e32 v12, 0x1800, v19
	v_sub_u32_e32 v14, v0, v1
	v_add_u32_e32 v8, 0x1000, v19
	v_add_u32_e32 v13, 0x1c00, v19
	s_movk_i32 s0, 0xf8
	v_add_u32_e32 v10, v18, v9
	v_add_u32_e32 v9, v18, v12
	v_sub_u32_e32 v12, 0, v14
	v_add_u32_e32 v11, v18, v8
	v_add_u32_e32 v8, v18, v13
	v_mad_u32_u24 v15, v0, s0, v18
	v_max_i32_e32 v13, v14, v12
	v_cmp_lt_u32_e64 s[0:1], 16, v13
	v_lshl_add_u32 v12, v1, 3, v15
	s_waitcnt vmcnt(0) lgkmcnt(0)
	ds_write_b64 v11, v[20:21]
	ds_write_b64 v10, v[22:23]
	ds_write_b64 v9, v[24:25]
	ds_write_b64 v8, v[26:27]
	s_waitcnt lgkmcnt(0)
	s_barrier
	s_and_saveexec_b64 s[4:5], s[0:1]
	s_cbranch_execnz .LBB155_40
; %bb.25:
	s_or_b64 exec, exec, s[4:5]
	v_cmp_lt_u32_e64 s[0:1], 20, v13
	s_and_saveexec_b64 s[4:5], s[0:1]
	s_cbranch_execnz .LBB155_41
.LBB155_26:
	s_or_b64 exec, exec, s[4:5]
	v_cmp_lt_u32_e64 s[0:1], 24, v13
	s_and_saveexec_b64 s[4:5], s[0:1]
	s_cbranch_execnz .LBB155_42
.LBB155_27:
	s_or_b64 exec, exec, s[4:5]
	v_cmp_lt_u32_e64 s[0:1], 28, v13
	s_and_saveexec_b64 s[4:5], s[0:1]
	s_cbranch_execz .LBB155_29
.LBB155_28:
	ds_read_b64 v[14:15], v12 offset:224
	s_waitcnt lgkmcnt(0)
	ds_write_b64 v8, v[14:15]
.LBB155_29:
	s_or_b64 exec, exec, s[4:5]
	v_lshlrev_b32_e32 v14, 5, v1
	v_cmp_ge_u32_e64 s[0:1], v0, v1
	s_and_saveexec_b64 s[4:5], s[0:1]
	s_cbranch_execz .LBB155_31
; %bb.30:
	ds_read_b64 v[19:20], v12
	v_lshl_add_u32 v15, v14, 3, v18
	s_waitcnt lgkmcnt(0)
	ds_write_b64 v15, v[19:20]
.LBB155_31:
	s_or_b64 exec, exec, s[4:5]
	v_cmp_lt_u32_e64 s[0:1], 4, v13
	v_lshl_add_u32 v15, v1, 8, v18
	s_and_saveexec_b64 s[4:5], s[0:1]
	s_cbranch_execz .LBB155_33
; %bb.32:
	ds_read_b64 v[19:20], v12 offset:32
	s_waitcnt lgkmcnt(0)
	ds_write_b64 v15, v[19:20] offset:1024
.LBB155_33:
	s_or_b64 exec, exec, s[4:5]
	v_cmp_lt_u32_e64 s[0:1], 8, v13
	s_and_saveexec_b64 s[4:5], s[0:1]
	s_cbranch_execz .LBB155_35
; %bb.34:
	ds_read_b64 v[19:20], v12 offset:64
	s_waitcnt lgkmcnt(0)
	ds_write_b64 v15, v[19:20] offset:2048
.LBB155_35:
	s_or_b64 exec, exec, s[4:5]
	v_cmp_lt_u32_e64 s[0:1], 12, v13
	v_mov_b32_e32 v13, 0xc00
	v_lshl_add_u32 v13, v1, 8, v13
	v_add_u32_e32 v13, v18, v13
	s_and_saveexec_b64 s[4:5], s[0:1]
	s_cbranch_execz .LBB155_37
; %bb.36:
	ds_read_b64 v[19:20], v12 offset:96
	s_waitcnt lgkmcnt(0)
	ds_write_b64 v13, v[19:20]
.LBB155_37:
	s_or_b64 exec, exec, s[4:5]
	v_lshlrev_b32_e32 v1, 3, v1
	v_add_u32_e32 v1, 0x2800, v1
	s_waitcnt lgkmcnt(0)
	s_barrier
	ds_read2st64_b64 v[19:22], v15 offset1:2
	ds_read2_b64 v[23:26], v1 offset1:4
	s_waitcnt lgkmcnt(0)
	v_fma_f64 v[19:20], v[19:20], v[23:24], 0
	v_fma_f64 v[23:24], v[21:22], v[25:26], v[19:20]
	ds_read2_b64 v[19:22], v1 offset0:8 offset1:12
	ds_read_b64 v[25:26], v15 offset:2048
	ds_read_b64 v[12:13], v13
	s_waitcnt lgkmcnt(1)
	v_fma_f64 v[19:20], v[25:26], v[19:20], v[23:24]
	s_waitcnt lgkmcnt(0)
	v_fma_f64 v[12:13], v[12:13], v[21:22], v[19:20]
	ds_read2_b64 v[19:22], v1 offset0:16 offset1:20
	ds_read_b64 v[23:24], v11
	ds_read_b64 v[10:11], v10
	;; [unrolled: 1-line block ×4, first 2 shown]
	s_waitcnt lgkmcnt(3)
	v_fma_f64 v[8:9], v[23:24], v[19:20], v[12:13]
	s_waitcnt lgkmcnt(2)
	v_fma_f64 v[12:13], v[10:11], v[21:22], v[8:9]
	ds_read2_b64 v[8:11], v1 offset0:24 offset1:28
	v_add_lshl_u32 v1, v14, v0, 3
	s_waitcnt lgkmcnt(0)
	v_fma_f64 v[8:9], v[25:26], v[8:9], v[12:13]
	v_fma_f64 v[8:9], v[27:28], v[10:11], v[8:9]
	ds_write_b64 v1, v[8:9] offset:8192
	s_waitcnt lgkmcnt(0)
	s_barrier
	s_and_saveexec_b64 s[0:1], vcc
	s_cbranch_execz .LBB155_39
; %bb.38:
	v_add_u32_e32 v1, 0x2000, v18
	ds_read2_b64 v[8:11], v1 offset1:32
	v_cmp_neq_f64_e32 vcc, 0, v[4:5]
	s_waitcnt lgkmcnt(0)
	v_add_f64 v[8:9], v[8:9], 0
	v_add_f64 v[12:13], v[8:9], v[10:11]
	ds_read2_b64 v[8:11], v1 offset0:64 offset1:96
	s_waitcnt lgkmcnt(0)
	v_add_f64 v[8:9], v[12:13], v[8:9]
	v_add_f64 v[8:9], v[8:9], v[10:11]
	v_mad_u64_u32 v[10:11], s[0:1], s2, v0, 0
	v_mov_b32_e32 v1, v11
	v_mul_f64 v[12:13], v[2:3], v[8:9]
	v_fma_f64 v[2:3], v[2:3], v[8:9], v[6:7]
	v_mad_u64_u32 v[0:1], s[0:1], s3, v0, v[1:2]
	v_cndmask_b32_e32 v3, v13, v3, vcc
	v_cndmask_b32_e32 v2, v12, v2, vcc
	v_mov_b32_e32 v11, v0
	v_lshlrev_b64 v[0:1], 3, v[10:11]
	v_add_co_u32_e32 v0, vcc, v16, v0
	v_addc_co_u32_e32 v1, vcc, v17, v1, vcc
	flat_store_dwordx2 v[0:1], v[2:3]
.LBB155_39:
	s_endpgm
.LBB155_40:
	ds_read_b64 v[14:15], v12 offset:128
	s_waitcnt lgkmcnt(0)
	ds_write_b64 v11, v[14:15]
	s_or_b64 exec, exec, s[4:5]
	v_cmp_lt_u32_e64 s[0:1], 20, v13
	s_and_saveexec_b64 s[4:5], s[0:1]
	s_cbranch_execz .LBB155_26
.LBB155_41:
	ds_read_b64 v[14:15], v12 offset:160
	s_waitcnt lgkmcnt(0)
	ds_write_b64 v10, v[14:15]
	s_or_b64 exec, exec, s[4:5]
	v_cmp_lt_u32_e64 s[0:1], 24, v13
	s_and_saveexec_b64 s[4:5], s[0:1]
	s_cbranch_execz .LBB155_27
.LBB155_42:
	ds_read_b64 v[14:15], v12 offset:192
	s_waitcnt lgkmcnt(0)
	ds_write_b64 v9, v[14:15]
	s_or_b64 exec, exec, s[4:5]
	v_cmp_lt_u32_e64 s[0:1], 28, v13
	s_and_saveexec_b64 s[4:5], s[0:1]
	s_cbranch_execnz .LBB155_28
	s_branch .LBB155_29
	.section	.rodata,"a",@progbits
	.p2align	6, 0x0
	.amdhsa_kernel _ZL50rocblas_symv_kernel_upper_double_buffered_diagonalILi32ELi4E24rocblas_internal_val_ptrIdEPKPKdPKPdEvbiT1_lT2_lllSA_lllS9_lT3_llli
		.amdhsa_group_segment_fixed_size 10496
		.amdhsa_private_segment_fixed_size 0
		.amdhsa_kernarg_size 140
		.amdhsa_user_sgpr_count 6
		.amdhsa_user_sgpr_private_segment_buffer 1
		.amdhsa_user_sgpr_dispatch_ptr 0
		.amdhsa_user_sgpr_queue_ptr 0
		.amdhsa_user_sgpr_kernarg_segment_ptr 1
		.amdhsa_user_sgpr_dispatch_id 0
		.amdhsa_user_sgpr_flat_scratch_init 0
		.amdhsa_user_sgpr_private_segment_size 0
		.amdhsa_uses_dynamic_stack 0
		.amdhsa_system_sgpr_private_segment_wavefront_offset 0
		.amdhsa_system_sgpr_workgroup_id_x 1
		.amdhsa_system_sgpr_workgroup_id_y 0
		.amdhsa_system_sgpr_workgroup_id_z 1
		.amdhsa_system_sgpr_workgroup_info 0
		.amdhsa_system_vgpr_workitem_id 1
		.amdhsa_next_free_vgpr 65
		.amdhsa_next_free_sgpr 98
		.amdhsa_reserve_vcc 1
		.amdhsa_reserve_flat_scratch 0
		.amdhsa_float_round_mode_32 0
		.amdhsa_float_round_mode_16_64 0
		.amdhsa_float_denorm_mode_32 3
		.amdhsa_float_denorm_mode_16_64 3
		.amdhsa_dx10_clamp 1
		.amdhsa_ieee_mode 1
		.amdhsa_fp16_overflow 0
		.amdhsa_exception_fp_ieee_invalid_op 0
		.amdhsa_exception_fp_denorm_src 0
		.amdhsa_exception_fp_ieee_div_zero 0
		.amdhsa_exception_fp_ieee_overflow 0
		.amdhsa_exception_fp_ieee_underflow 0
		.amdhsa_exception_fp_ieee_inexact 0
		.amdhsa_exception_int_div_zero 0
	.end_amdhsa_kernel
	.section	.text._ZL50rocblas_symv_kernel_upper_double_buffered_diagonalILi32ELi4E24rocblas_internal_val_ptrIdEPKPKdPKPdEvbiT1_lT2_lllSA_lllS9_lT3_llli,"axG",@progbits,_ZL50rocblas_symv_kernel_upper_double_buffered_diagonalILi32ELi4E24rocblas_internal_val_ptrIdEPKPKdPKPdEvbiT1_lT2_lllSA_lllS9_lT3_llli,comdat
.Lfunc_end155:
	.size	_ZL50rocblas_symv_kernel_upper_double_buffered_diagonalILi32ELi4E24rocblas_internal_val_ptrIdEPKPKdPKPdEvbiT1_lT2_lllSA_lllS9_lT3_llli, .Lfunc_end155-_ZL50rocblas_symv_kernel_upper_double_buffered_diagonalILi32ELi4E24rocblas_internal_val_ptrIdEPKPKdPKPdEvbiT1_lT2_lllSA_lllS9_lT3_llli
                                        ; -- End function
	.set _ZL50rocblas_symv_kernel_upper_double_buffered_diagonalILi32ELi4E24rocblas_internal_val_ptrIdEPKPKdPKPdEvbiT1_lT2_lllSA_lllS9_lT3_llli.num_vgpr, 29
	.set _ZL50rocblas_symv_kernel_upper_double_buffered_diagonalILi32ELi4E24rocblas_internal_val_ptrIdEPKPKdPKPdEvbiT1_lT2_lllSA_lllS9_lT3_llli.num_agpr, 0
	.set _ZL50rocblas_symv_kernel_upper_double_buffered_diagonalILi32ELi4E24rocblas_internal_val_ptrIdEPKPKdPKPdEvbiT1_lT2_lllSA_lllS9_lT3_llli.numbered_sgpr, 24
	.set _ZL50rocblas_symv_kernel_upper_double_buffered_diagonalILi32ELi4E24rocblas_internal_val_ptrIdEPKPKdPKPdEvbiT1_lT2_lllSA_lllS9_lT3_llli.num_named_barrier, 0
	.set _ZL50rocblas_symv_kernel_upper_double_buffered_diagonalILi32ELi4E24rocblas_internal_val_ptrIdEPKPKdPKPdEvbiT1_lT2_lllSA_lllS9_lT3_llli.private_seg_size, 0
	.set _ZL50rocblas_symv_kernel_upper_double_buffered_diagonalILi32ELi4E24rocblas_internal_val_ptrIdEPKPKdPKPdEvbiT1_lT2_lllSA_lllS9_lT3_llli.uses_vcc, 1
	.set _ZL50rocblas_symv_kernel_upper_double_buffered_diagonalILi32ELi4E24rocblas_internal_val_ptrIdEPKPKdPKPdEvbiT1_lT2_lllSA_lllS9_lT3_llli.uses_flat_scratch, 0
	.set _ZL50rocblas_symv_kernel_upper_double_buffered_diagonalILi32ELi4E24rocblas_internal_val_ptrIdEPKPKdPKPdEvbiT1_lT2_lllSA_lllS9_lT3_llli.has_dyn_sized_stack, 0
	.set _ZL50rocblas_symv_kernel_upper_double_buffered_diagonalILi32ELi4E24rocblas_internal_val_ptrIdEPKPKdPKPdEvbiT1_lT2_lllSA_lllS9_lT3_llli.has_recursion, 0
	.set _ZL50rocblas_symv_kernel_upper_double_buffered_diagonalILi32ELi4E24rocblas_internal_val_ptrIdEPKPKdPKPdEvbiT1_lT2_lllSA_lllS9_lT3_llli.has_indirect_call, 0
	.section	.AMDGPU.csdata,"",@progbits
; Kernel info:
; codeLenInByte = 2280
; TotalNumSgprs: 28
; NumVgprs: 29
; ScratchSize: 0
; MemoryBound: 0
; FloatMode: 240
; IeeeMode: 1
; LDSByteSize: 10496 bytes/workgroup (compile time only)
; SGPRBlocks: 12
; VGPRBlocks: 16
; NumSGPRsForWavesPerEU: 102
; NumVGPRsForWavesPerEU: 65
; Occupancy: 3
; WaveLimiterHint : 1
; COMPUTE_PGM_RSRC2:SCRATCH_EN: 0
; COMPUTE_PGM_RSRC2:USER_SGPR: 6
; COMPUTE_PGM_RSRC2:TRAP_HANDLER: 0
; COMPUTE_PGM_RSRC2:TGID_X_EN: 1
; COMPUTE_PGM_RSRC2:TGID_Y_EN: 0
; COMPUTE_PGM_RSRC2:TGID_Z_EN: 1
; COMPUTE_PGM_RSRC2:TIDIG_COMP_CNT: 1
	.section	.text._ZL54rocblas_symv_kernel_upper_double_buffered_non_diagonalILi32ELi4ELi4E24rocblas_internal_val_ptrIdEPKPKdPKPdEvbiT2_lT3_lllSA_lllT4_llli,"axG",@progbits,_ZL54rocblas_symv_kernel_upper_double_buffered_non_diagonalILi32ELi4ELi4E24rocblas_internal_val_ptrIdEPKPKdPKPdEvbiT2_lT3_lllSA_lllT4_llli,comdat
	.globl	_ZL54rocblas_symv_kernel_upper_double_buffered_non_diagonalILi32ELi4ELi4E24rocblas_internal_val_ptrIdEPKPKdPKPdEvbiT2_lT3_lllSA_lllT4_llli ; -- Begin function _ZL54rocblas_symv_kernel_upper_double_buffered_non_diagonalILi32ELi4ELi4E24rocblas_internal_val_ptrIdEPKPKdPKPdEvbiT2_lT3_lllSA_lllT4_llli
	.p2align	8
	.type	_ZL54rocblas_symv_kernel_upper_double_buffered_non_diagonalILi32ELi4ELi4E24rocblas_internal_val_ptrIdEPKPKdPKPdEvbiT2_lT3_lllSA_lllT4_llli,@function
_ZL54rocblas_symv_kernel_upper_double_buffered_non_diagonalILi32ELi4ELi4E24rocblas_internal_val_ptrIdEPKPKdPKPdEvbiT2_lT3_lllSA_lllT4_llli: ; @_ZL54rocblas_symv_kernel_upper_double_buffered_non_diagonalILi32ELi4ELi4E24rocblas_internal_val_ptrIdEPKPKdPKPdEvbiT2_lT3_lllSA_lllT4_llli
; %bb.0:
	s_load_dword s0, s[4:5], 0x0
	s_load_dwordx8 s[12:19], s[4:5], 0x8
	s_load_dwordx2 s[10:11], s[4:5], 0x28
	s_waitcnt lgkmcnt(0)
	s_bitcmp1_b32 s0, 0
	s_cselect_b64 s[0:1], -1, 0
	v_mov_b32_e32 v5, s12
	s_and_b64 vcc, exec, s[0:1]
	v_mov_b32_e32 v6, s13
	s_cbranch_vccnz .LBB156_2
; %bb.1:
	s_mul_i32 s0, s15, s8
	s_mul_hi_u32 s1, s14, s8
	s_add_i32 s1, s1, s0
	s_mul_i32 s0, s14, s8
	s_lshl_b64 s[0:1], s[0:1], 3
	s_add_u32 s0, s12, s0
	s_addc_u32 s1, s13, s1
	v_mov_b32_e32 v3, s1
	v_mov_b32_e32 v2, s0
	flat_load_dwordx2 v[5:6], v[2:3]
.LBB156_2:
	s_waitcnt vmcnt(0) lgkmcnt(0)
	v_cmp_neq_f64_e32 vcc, 0, v[5:6]
	s_and_saveexec_b64 s[0:1], vcc
	s_cbranch_execz .LBB156_27
; %bb.3:
	s_load_dword s20, s[4:5], 0x84
	s_mov_b32 s9, 0
	s_cmp_eq_u32 s6, 0
	s_waitcnt lgkmcnt(0)
	v_cvt_f32_u32_e32 v2, s20
	v_rcp_iflag_f32_e32 v2, v2
	v_mul_f32_e32 v2, 0x4f7ffffe, v2
	v_cvt_u32_f32_e32 v2, v2
	v_readfirstlane_b32 s0, v2
	s_cbranch_scc1 .LBB156_27
; %bb.4:
	s_sub_i32 s1, 0, s20
	s_mul_i32 s1, s1, s0
	s_mul_hi_u32 s1, s0, s1
	s_add_i32 s21, s0, s1
	s_load_dwordx4 s[0:3], s[4:5], 0x38
	s_load_dwordx2 s[12:13], s[4:5], 0x48
	s_lshl_b64 s[14:15], s[8:9], 3
	s_add_u32 s8, s16, s14
	s_addc_u32 s9, s17, s15
	s_waitcnt lgkmcnt(0)
	s_add_u32 s0, s0, s14
	s_addc_u32 s1, s1, s15
	s_load_dwordx2 s[22:23], s[0:1], 0x0
	s_load_dwordx2 s[24:25], s[4:5], 0x58
	s_lshl_b64 s[0:1], s[2:3], 3
	s_mul_hi_u32 s17, s6, s21
	v_cmp_eq_u32_e32 vcc, 0, v1
	s_waitcnt lgkmcnt(0)
	s_add_u32 s22, s22, s0
	s_addc_u32 s23, s23, s1
	s_add_u32 s14, s24, s14
	s_addc_u32 s15, s25, s15
	s_lshl_b32 s16, s6, 5
	s_ashr_i32 s21, s16, 31
	s_and_saveexec_b64 s[2:3], vcc
	s_cbranch_execz .LBB156_6
; %bb.5:
	s_mul_i32 s0, s12, s21
	s_mul_hi_u32 s1, s12, s16
	s_add_i32 s24, s1, s0
	v_mad_u64_u32 v[2:3], s[0:1], s12, v0, 0
	s_mul_i32 s0, s13, s16
	s_add_i32 s1, s24, s0
	v_mad_u64_u32 v[3:4], s[24:25], s13, v0, v[3:4]
	s_mul_i32 s0, s12, s16
	s_lshl_b64 s[0:1], s[0:1], 3
	s_add_u32 s0, s22, s0
	v_lshlrev_b64 v[2:3], 3, v[2:3]
	s_addc_u32 s1, s23, s1
	v_mov_b32_e32 v4, s1
	v_add_co_u32_e64 v2, s[0:1], s0, v2
	v_addc_co_u32_e64 v3, s[0:1], v4, v3, s[0:1]
	flat_load_dwordx2 v[2:3], v[2:3]
	v_lshlrev_b32_e32 v4, 3, v0
	s_waitcnt vmcnt(0) lgkmcnt(0)
	ds_write_b64 v4, v[2:3] offset:6144
.LBB156_6:
	s_or_b64 exec, exec, s[2:3]
	s_mul_i32 s0, s17, s20
	s_sub_i32 s0, s6, s0
	s_add_i32 s1, s17, 1
	s_sub_i32 s2, s0, s20
	s_cmp_ge_u32 s0, s20
	s_cselect_b32 s1, s1, s17
	s_cselect_b32 s0, s2, s0
	s_add_i32 s2, s1, 1
	s_cmp_ge_u32 s0, s20
	s_cselect_b32 s25, s2, s1
	s_add_i32 s0, s20, -1
	s_cmp_lg_u32 s7, s0
	s_mov_b32 s24, s25
	s_cbranch_scc1 .LBB156_8
; %bb.7:
	s_mul_i32 s0, s25, s20
	s_sub_i32 s0, s6, s0
	s_add_i32 s24, s0, s25
.LBB156_8:
	s_cmp_eq_u32 s24, 0
	s_cbranch_scc1 .LBB156_27
; %bb.9:
	s_load_dwordx4 s[0:3], s[4:5], 0x60
	s_load_dwordx2 s[26:27], s[14:15], 0x0
	v_lshl_add_u32 v1, v1, 5, v0
	v_and_b32_e32 v7, 15, v0
	v_lshrrev_b32_e32 v60, 4, v1
	s_waitcnt lgkmcnt(0)
	s_lshl_b64 s[0:1], s[0:1], 3
	s_add_u32 s17, s26, s0
	s_addc_u32 s20, s27, s1
	s_cmp_lt_i32 s24, 1
	s_barrier
	s_cbranch_scc1 .LBB156_18
; %bb.10:
	s_load_dwordx2 s[0:1], s[8:9], 0x0
	s_mul_i32 s7, s7, s25
	s_lshl_b32 s6, s7, 5
	s_lshl_b64 s[4:5], s[18:19], 3
	s_ashr_i32 s7, s6, 31
	s_waitcnt lgkmcnt(0)
	s_add_u32 s8, s0, s4
	s_addc_u32 s9, s1, s5
	s_mul_i32 s0, s10, s21
	s_mul_hi_u32 s1, s10, s16
	v_lshlrev_b32_e32 v3, 2, v60
	v_mov_b32_e32 v8, 0
	s_add_i32 s0, s1, s0
	s_mul_i32 s1, s11, s16
	v_mad_u64_u32 v[1:2], s[4:5], s10, v3, v[7:8]
	s_add_i32 s1, s0, s1
	s_mul_i32 s0, s10, s16
	s_lshl_b64 s[0:1], s[0:1], 3
	s_add_u32 s4, s8, s0
	s_addc_u32 s5, s9, s1
	v_mad_u64_u32 v[2:3], s[0:1], s11, v3, v[2:3]
	s_lshl_b64 s[0:1], s[6:7], 3
	s_add_u32 s18, s4, s0
	v_lshlrev_b64 v[8:9], 3, v[1:2]
	s_addc_u32 s19, s5, s1
	v_mov_b32_e32 v2, s19
	v_add_co_u32_e64 v1, s[0:1], s18, v8
	v_addc_co_u32_e64 v2, s[0:1], v2, v9, s[0:1]
	s_lshl_b64 s[4:5], s[10:11], 3
	v_mov_b32_e32 v15, s5
	v_add_co_u32_e64 v3, s[0:1], s4, v1
	v_addc_co_u32_e64 v4, s[0:1], v2, v15, s[0:1]
	v_add_co_u32_e64 v10, s[0:1], s4, v3
	v_addc_co_u32_e64 v11, s[0:1], v4, v15, s[0:1]
	v_mad_u64_u32 v[12:13], s[0:1], s12, v7, 0
	v_add_co_u32_e64 v14, s[0:1], s4, v10
	v_addc_co_u32_e64 v15, s[0:1], v11, v15, s[0:1]
	v_mad_u64_u32 v[16:17], s[0:1], s13, v7, v[13:14]
	s_mul_i32 s0, s2, s7
	s_mul_hi_u32 s1, s2, s6
	s_add_i32 s0, s1, s0
	s_mul_i32 s1, s3, s6
	s_add_i32 s1, s0, s1
	s_mul_i32 s0, s2, s6
	s_lshl_b64 s[0:1], s[0:1], 3
	s_add_u32 s14, s17, s0
	s_addc_u32 s15, s20, s1
	s_mul_i32 s0, s12, s7
	s_mul_hi_u32 s1, s12, s6
	s_add_i32 s0, s1, s0
	s_mul_i32 s1, s13, s6
	s_add_i32 s1, s0, s1
	s_mul_i32 s0, s12, s6
	v_mov_b32_e32 v13, v16
	s_lshl_b64 s[0:1], s[0:1], 3
	s_add_u32 s22, s22, s0
	v_lshlrev_b64 v[32:33], 3, v[12:13]
	s_addc_u32 s23, s23, s1
	flat_load_dwordx2 v[24:25], v[1:2]
	flat_load_dwordx2 v[26:27], v[3:4]
	;; [unrolled: 1-line block ×4, first 2 shown]
	v_mov_b32_e32 v2, s23
	v_add_co_u32_e64 v1, s[0:1], s22, v32
	v_addc_co_u32_e64 v2, s[0:1], v2, v33, s[0:1]
	flat_load_dwordx2 v[34:35], v[1:2]
	v_or_b32_e32 v3, 16, v7
	v_mad_u64_u32 v[1:2], s[0:1], s12, v3, 0
	v_mad_u64_u32 v[10:11], s[0:1], s2, v0, 0
	;; [unrolled: 1-line block ×3, first 2 shown]
	v_mov_b32_e32 v3, v11
	v_mad_u64_u32 v[3:4], s[0:1], s3, v0, v[3:4]
	v_mov_b32_e32 v12, 0x1000
	v_lshl_or_b32 v16, v7, 3, v12
	v_mov_b32_e32 v13, 0x1800
	v_lshlrev_b32_e32 v4, 8, v60
	v_mov_b32_e32 v14, 0
	v_lshlrev_b64 v[18:19], 3, v[1:2]
	v_lshl_add_u32 v63, v60, 5, v13
	v_lshl_or_b32 v61, v0, 3, v12
	v_mov_b32_e32 v11, v3
	v_mov_b32_e32 v15, 0
	s_cmp_eq_u32 s24, 1
	v_add_u32_e32 v62, v16, v4
	s_cbranch_scc1 .LBB156_19
; %bb.11:
	s_lshl_b64 s[6:7], s[12:13], 8
	s_lshl_b64 s[8:9], s[2:3], 8
	s_add_i32 s24, s24, -2
	s_lshl_b64 s[0:1], s[10:11], 4
	s_sub_u32 s25, 0, s0
	s_subb_u32 s0, 0, s1
	v_mov_b32_e32 v16, 0
	v_mov_b32_e32 v12, s14
	;; [unrolled: 1-line block ×6, first 2 shown]
	s_mov_b32 s26, 0
	v_mov_b32_e32 v13, s15
	v_mov_b32_e32 v64, s5
	;; [unrolled: 1-line block ×7, first 2 shown]
.LBB156_12:                             ; =>This Loop Header: Depth=1
                                        ;     Child Loop BB156_14 Depth 2
	v_mov_b32_e32 v2, s23
	v_add_co_u32_e64 v1, s[0:1], s22, v18
	v_addc_co_u32_e64 v2, s[0:1], v2, v19, s[0:1]
	flat_load_dwordx2 v[46:47], v[1:2]
	v_mov_b32_e32 v2, s19
	v_add_co_u32_e64 v1, s[0:1], s18, v8
	v_addc_co_u32_e64 v2, s[0:1], v2, v9, s[0:1]
	flat_load_dwordx2 v[48:49], v[1:2] offset:128
	v_add_co_u32_e64 v3, s[0:1], s4, v1
	v_addc_co_u32_e64 v4, s[0:1], v2, v66, s[0:1]
	flat_load_dwordx2 v[50:51], v[3:4] offset:128
	v_add_co_u32_e64 v3, s[0:1], s4, v3
	v_addc_co_u32_e64 v4, s[0:1], v4, v64, s[0:1]
	v_add_co_u32_e64 v38, s[0:1], s4, v3
	v_addc_co_u32_e64 v39, s[0:1], v4, v64, s[0:1]
	flat_load_dwordx2 v[52:53], v[38:39] offset:128
	flat_load_dwordx2 v[54:55], v[3:4] offset:128
	flat_load_dwordx2 v[36:37], v[1:2] offset:256
	v_add_co_u32_e64 v1, s[0:1], s25, v38
	v_addc_co_u32_e64 v2, s[0:1], v39, v65, s[0:1]
	v_add_co_u32_e64 v3, s[0:1], s4, v1
	v_addc_co_u32_e64 v4, s[0:1], v2, v64, s[0:1]
	s_add_u32 s22, s22, s6
	v_add_co_u32_e64 v56, s[0:1], s4, v3
	s_addc_u32 s23, s23, s7
	v_addc_co_u32_e64 v57, s[0:1], v4, v64, s[0:1]
	v_mov_b32_e32 v38, s23
	v_add_co_u32_e64 v58, s[0:1], s22, v32
	v_addc_co_u32_e64 v59, s[0:1], v38, v33, s[0:1]
	flat_load_dwordx2 v[44:45], v[58:59]
	flat_load_dwordx2 v[42:43], v[1:2] offset:256
	flat_load_dwordx2 v[40:41], v[3:4] offset:256
	;; [unrolled: 1-line block ×3, first 2 shown]
	ds_read_b128 v[1:4], v63
	ds_read_b128 v[56:59], v63 offset:16
	s_waitcnt vmcnt(0) lgkmcnt(0)
	s_barrier
	v_fma_f64 v[67:68], v[24:25], v[1:2], 0
	v_fma_f64 v[67:68], v[26:27], v[3:4], v[67:68]
	;; [unrolled: 1-line block ×8, first 2 shown]
	ds_write2_b64 v62, v[3:4], v[1:2] offset1:16
	s_waitcnt lgkmcnt(0)
	s_barrier
	s_and_saveexec_b64 s[10:11], vcc
	s_cbranch_execz .LBB156_16
; %bb.13:                               ;   in Loop: Header=BB156_12 Depth=1
	v_lshlrev_b64 v[1:2], 3, v[10:11]
	ds_read2_b64 v[67:70], v61 offset1:32
	v_add_co_u32_e64 v56, s[0:1], v12, v1
	v_addc_co_u32_e64 v57, s[0:1], v13, v2, s[0:1]
	flat_load_dwordx2 v[3:4], v[56:57]
	s_waitcnt lgkmcnt(0)
	v_add_f64 v[1:2], v[67:68], 0
	s_mov_b64 s[12:13], 0
	v_add_f64 v[1:2], v[1:2], v[69:70]
	ds_read2_b64 v[67:70], v61 offset0:64 offset1:96
	s_waitcnt lgkmcnt(0)
	v_add_f64 v[1:2], v[1:2], v[67:68]
	v_add_f64 v[1:2], v[1:2], v[69:70]
	ds_read2_b64 v[67:70], v61 offset0:128 offset1:160
	s_waitcnt lgkmcnt(0)
	v_add_f64 v[1:2], v[1:2], v[67:68]
	;; [unrolled: 4-line block ×3, first 2 shown]
	v_add_f64 v[1:2], v[1:2], v[69:70]
	v_mul_f64 v[58:59], v[5:6], v[1:2]
.LBB156_14:                             ;   Parent Loop BB156_12 Depth=1
                                        ; =>  This Inner Loop Header: Depth=2
	s_waitcnt vmcnt(0)
	v_add_f64 v[1:2], v[3:4], v[58:59]
	flat_atomic_cmpswap_x2 v[1:2], v[56:57], v[1:4] glc
	s_waitcnt vmcnt(0) lgkmcnt(0)
	v_cmp_eq_u64_e64 s[0:1], v[1:2], v[3:4]
	v_mov_b32_e32 v4, v2
	s_or_b64 s[12:13], s[0:1], s[12:13]
	v_mov_b32_e32 v3, v1
	s_andn2_b64 exec, exec, s[12:13]
	s_cbranch_execnz .LBB156_14
; %bb.15:                               ;   in Loop: Header=BB156_12 Depth=1
	s_or_b64 exec, exec, s[12:13]
	v_mov_b32_e32 v1, s9
	v_add_co_u32_e64 v12, s[0:1], s8, v12
	v_addc_co_u32_e64 v13, s[0:1], v13, v1, s[0:1]
.LBB156_16:                             ;   in Loop: Header=BB156_12 Depth=1
	s_or_b64 exec, exec, s[10:11]
	v_fma_f64 v[1:2], v[34:35], v[24:25], v[16:17]
	v_fma_f64 v[3:4], v[34:35], v[26:27], v[22:23]
	;; [unrolled: 1-line block ×4, first 2 shown]
	s_add_u32 s18, s18, 0x100
	s_addc_u32 s19, s19, 0
	s_add_i32 s0, s26, 1
	s_cmp_eq_u32 s26, s24
	v_fma_f64 v[16:17], v[46:47], v[48:49], v[1:2]
	v_fma_f64 v[22:23], v[46:47], v[50:51], v[3:4]
	;; [unrolled: 1-line block ×4, first 2 shown]
	s_cbranch_scc1 .LBB156_20
; %bb.17:                               ;   in Loop: Header=BB156_12 Depth=1
	v_mov_b32_e32 v34, v44
	v_mov_b32_e32 v24, v36
	;; [unrolled: 1-line block ×5, first 2 shown]
	s_mov_b32 s26, s0
	v_mov_b32_e32 v35, v45
	v_mov_b32_e32 v25, v37
	;; [unrolled: 1-line block ×5, first 2 shown]
	s_branch .LBB156_12
.LBB156_18:
	v_mov_b32_e32 v1, 0
	v_mov_b32_e32 v3, 0
	;; [unrolled: 1-line block ×8, first 2 shown]
	s_branch .LBB156_24
.LBB156_19:
	v_mov_b32_e32 v12, s14
	s_waitcnt vmcnt(0) lgkmcnt(0)
	v_mov_b32_e32 v39, v31
	v_mov_b32_e32 v41, v29
	;; [unrolled: 1-line block ×17, first 2 shown]
.LBB156_20:
	v_mov_b32_e32 v2, s19
	v_add_co_u32_e64 v1, s[0:1], s18, v8
	v_addc_co_u32_e64 v2, s[0:1], v2, v9, s[0:1]
	flat_load_dwordx2 v[8:9], v[1:2] offset:128
	v_mov_b32_e32 v3, s5
	v_add_co_u32_e64 v1, s[0:1], s4, v1
	v_addc_co_u32_e64 v2, s[0:1], v2, v3, s[0:1]
	flat_load_dwordx2 v[24:25], v[1:2] offset:128
	v_add_co_u32_e64 v1, s[0:1], s4, v1
	v_addc_co_u32_e64 v2, s[0:1], v2, v3, s[0:1]
	flat_load_dwordx2 v[26:27], v[1:2] offset:128
	;; [unrolled: 3-line block ×3, first 2 shown]
	v_mov_b32_e32 v2, s23
	v_add_co_u32_e64 v1, s[0:1], s22, v18
	v_addc_co_u32_e64 v2, s[0:1], v2, v19, s[0:1]
	flat_load_dwordx2 v[18:19], v[1:2]
	ds_read_b128 v[1:4], v63
	ds_read_b128 v[30:33], v63 offset:16
	v_fma_f64 v[16:17], v[44:45], v[36:37], v[16:17]
	v_fma_f64 v[22:23], v[44:45], v[42:43], v[22:23]
	;; [unrolled: 1-line block ×3, first 2 shown]
	s_waitcnt lgkmcnt(0)
	v_fma_f64 v[34:35], v[36:37], v[1:2], 0
	v_fma_f64 v[14:15], v[44:45], v[38:39], v[14:15]
	s_mov_b64 s[4:5], 0
	s_waitcnt vmcnt(0)
	s_barrier
	v_fma_f64 v[34:35], v[42:43], v[3:4], v[34:35]
	v_fma_f64 v[1:2], v[8:9], v[1:2], 0
	v_fma_f64 v[1:2], v[24:25], v[3:4], v[1:2]
	v_fma_f64 v[3:4], v[40:41], v[30:31], v[34:35]
	v_fma_f64 v[1:2], v[26:27], v[30:31], v[1:2]
	v_fma_f64 v[3:4], v[38:39], v[32:33], v[3:4]
	v_fma_f64 v[1:2], v[28:29], v[32:33], v[1:2]
	ds_write2_b64 v62, v[3:4], v[1:2] offset1:16
	s_waitcnt lgkmcnt(0)
	s_barrier
	s_and_saveexec_b64 s[6:7], vcc
	s_cbranch_execz .LBB156_23
; %bb.21:
	v_lshlrev_b64 v[1:2], 3, v[10:11]
	ds_read2_b64 v[30:33], v61 offset1:32
	v_add_co_u32_e64 v10, s[0:1], v12, v1
	v_addc_co_u32_e64 v11, s[0:1], v13, v2, s[0:1]
	flat_load_dwordx2 v[3:4], v[10:11]
	s_waitcnt lgkmcnt(0)
	v_add_f64 v[1:2], v[30:31], 0
	v_add_f64 v[1:2], v[1:2], v[32:33]
	ds_read2_b64 v[30:33], v61 offset0:64 offset1:96
	s_waitcnt lgkmcnt(0)
	v_add_f64 v[1:2], v[1:2], v[30:31]
	v_add_f64 v[1:2], v[1:2], v[32:33]
	ds_read2_b64 v[30:33], v61 offset0:128 offset1:160
	;; [unrolled: 4-line block ×3, first 2 shown]
	s_waitcnt lgkmcnt(0)
	v_add_f64 v[1:2], v[1:2], v[30:31]
	v_add_f64 v[1:2], v[1:2], v[32:33]
	v_mul_f64 v[12:13], v[5:6], v[1:2]
.LBB156_22:                             ; =>This Inner Loop Header: Depth=1
	s_waitcnt vmcnt(0)
	v_add_f64 v[1:2], v[3:4], v[12:13]
	flat_atomic_cmpswap_x2 v[1:2], v[10:11], v[1:4] glc
	s_waitcnt vmcnt(0) lgkmcnt(0)
	v_cmp_eq_u64_e64 s[0:1], v[1:2], v[3:4]
	v_mov_b32_e32 v4, v2
	s_or_b64 s[4:5], s[0:1], s[4:5]
	v_mov_b32_e32 v3, v1
	s_andn2_b64 exec, exec, s[4:5]
	s_cbranch_execnz .LBB156_22
.LBB156_23:
	s_or_b64 exec, exec, s[6:7]
	v_fma_f64 v[10:11], v[18:19], v[8:9], v[16:17]
	v_fma_f64 v[8:9], v[18:19], v[24:25], v[22:23]
	;; [unrolled: 1-line block ×4, first 2 shown]
.LBB156_24:
	v_lshlrev_b32_e32 v12, 9, v60
	v_lshl_or_b32 v12, v7, 3, v12
	ds_write2_b64 v12, v[10:11], v[8:9] offset1:16
	ds_write2_b64 v12, v[3:4], v[1:2] offset0:32 offset1:48
	s_waitcnt lgkmcnt(0)
	s_barrier
	s_and_b64 exec, exec, vcc
	s_cbranch_execz .LBB156_27
; %bb.25:
	v_lshlrev_b32_e32 v20, 7, v0
	v_lshl_or_b32 v1, v7, 3, v20
	ds_read_b64 v[1:2], v1
	v_add_u32_e32 v4, 2, v0
	v_and_b32_e32 v4, 15, v4
	v_add_u32_e32 v3, 1, v0
	v_lshl_or_b32 v8, v4, 3, v20
	s_waitcnt lgkmcnt(0)
	v_add_f64 v[1:2], v[1:2], 0
	v_add_u32_e32 v4, 3, v0
	v_and_b32_e32 v3, 15, v3
	v_and_b32_e32 v4, 15, v4
	v_lshl_or_b32 v3, v3, 3, v20
	v_lshl_or_b32 v10, v4, 3, v20
	ds_read_b64 v[3:4], v3
	ds_read_b64 v[8:9], v8
	;; [unrolled: 1-line block ×3, first 2 shown]
	v_xor_b32_e32 v7, 8, v7
	v_add_u32_e32 v14, 9, v0
	s_waitcnt lgkmcnt(2)
	v_add_f64 v[1:2], v[1:2], v[3:4]
	v_add_u32_e32 v3, 4, v0
	v_add_u32_e32 v4, 5, v0
	v_and_b32_e32 v3, 15, v3
	v_and_b32_e32 v4, 15, v4
	v_lshl_or_b32 v3, v3, 3, v20
	v_add_u32_e32 v15, 10, v0
	v_lshl_or_b32 v7, v7, 3, v20
	s_waitcnt lgkmcnt(1)
	v_add_f64 v[1:2], v[1:2], v[8:9]
	v_add_u32_e32 v8, 6, v0
	v_add_u32_e32 v9, 7, v0
	v_and_b32_e32 v8, 15, v8
	v_and_b32_e32 v9, 15, v9
	v_lshl_or_b32 v12, v9, 3, v20
	s_mul_i32 s1, s2, s21
	s_mul_hi_u32 s6, s2, s16
	s_waitcnt lgkmcnt(0)
	v_add_f64 v[1:2], v[1:2], v[10:11]
	v_lshl_or_b32 v10, v4, 3, v20
	ds_read_b64 v[3:4], v3
	v_lshl_or_b32 v11, v8, 3, v20
	ds_read_b64 v[8:9], v10
	ds_read_b64 v[10:11], v11
	;; [unrolled: 1-line block ×3, first 2 shown]
	s_mul_i32 s7, s3, s16
	s_mul_i32 s0, s2, s16
	s_add_i32 s1, s6, s1
	s_waitcnt lgkmcnt(3)
	v_add_f64 v[1:2], v[1:2], v[3:4]
	v_mad_u64_u32 v[3:4], s[4:5], s2, v0, 0
	s_add_i32 s1, s1, s7
	s_lshl_b64 s[0:1], s[0:1], 3
	s_add_u32 s0, s17, s0
	s_addc_u32 s1, s20, s1
	s_waitcnt lgkmcnt(2)
	v_add_f64 v[1:2], v[1:2], v[8:9]
	v_and_b32_e32 v8, 15, v14
	v_and_b32_e32 v9, 15, v15
	ds_read_b64 v[14:15], v7
	v_lshl_or_b32 v16, v8, 3, v20
	v_mad_u64_u32 v[7:8], s[2:3], s3, v0, v[4:5]
	v_lshl_or_b32 v17, v9, 3, v20
	s_waitcnt lgkmcnt(2)
	v_add_f64 v[1:2], v[1:2], v[10:11]
	v_mov_b32_e32 v4, v7
	v_lshlrev_b64 v[3:4], 3, v[3:4]
	v_add_co_u32_e32 v7, vcc, s0, v3
	s_waitcnt lgkmcnt(1)
	v_add_f64 v[9:10], v[1:2], v[12:13]
	v_mov_b32_e32 v1, s1
	v_addc_co_u32_e32 v8, vcc, v1, v4, vcc
	flat_load_dwordx2 v[2:3], v[7:8]
	v_add_u32_e32 v1, 11, v0
	v_and_b32_e32 v1, 15, v1
	v_lshl_or_b32 v1, v1, 3, v20
	s_waitcnt lgkmcnt(0)
	v_add_f64 v[9:10], v[9:10], v[14:15]
	ds_read_b64 v[11:12], v16
	ds_read_b64 v[16:17], v17
	;; [unrolled: 1-line block ×3, first 2 shown]
	v_add_u32_e32 v1, 12, v0
	v_and_b32_e32 v1, 15, v1
	v_lshl_or_b32 v1, v1, 3, v20
	v_add_u32_e32 v4, 13, v0
	v_add_u32_e32 v13, 14, v0
	v_add_u32_e32 v0, -1, v0
	s_waitcnt lgkmcnt(0)
	v_add_f64 v[9:10], v[9:10], v[11:12]
	ds_read_b64 v[11:12], v1
	v_and_b32_e32 v4, 15, v4
	v_and_b32_e32 v1, 15, v13
	;; [unrolled: 1-line block ×3, first 2 shown]
	v_lshl_or_b32 v4, v4, 3, v20
	v_lshl_or_b32 v13, v1, 3, v20
	;; [unrolled: 1-line block ×3, first 2 shown]
	v_add_f64 v[9:10], v[9:10], v[16:17]
	ds_read_b64 v[0:1], v4
	ds_read_b64 v[13:14], v13
	;; [unrolled: 1-line block ×3, first 2 shown]
	s_mov_b64 s[0:1], 0
	v_add_f64 v[9:10], v[9:10], v[18:19]
	s_waitcnt lgkmcnt(0)
	v_add_f64 v[9:10], v[9:10], v[11:12]
	v_add_f64 v[0:1], v[9:10], v[0:1]
	;; [unrolled: 1-line block ×4, first 2 shown]
	v_mul_f64 v[4:5], v[5:6], v[0:1]
.LBB156_26:                             ; =>This Inner Loop Header: Depth=1
	s_waitcnt vmcnt(0)
	v_add_f64 v[0:1], v[2:3], v[4:5]
	flat_atomic_cmpswap_x2 v[0:1], v[7:8], v[0:3] glc
	s_waitcnt vmcnt(0) lgkmcnt(0)
	v_cmp_eq_u64_e32 vcc, v[0:1], v[2:3]
	v_mov_b32_e32 v3, v1
	s_or_b64 s[0:1], vcc, s[0:1]
	v_mov_b32_e32 v2, v0
	s_andn2_b64 exec, exec, s[0:1]
	s_cbranch_execnz .LBB156_26
.LBB156_27:
	s_endpgm
	.section	.rodata,"a",@progbits
	.p2align	6, 0x0
	.amdhsa_kernel _ZL54rocblas_symv_kernel_upper_double_buffered_non_diagonalILi32ELi4ELi4E24rocblas_internal_val_ptrIdEPKPKdPKPdEvbiT2_lT3_lllSA_lllT4_llli
		.amdhsa_group_segment_fixed_size 6400
		.amdhsa_private_segment_fixed_size 0
		.amdhsa_kernarg_size 384
		.amdhsa_user_sgpr_count 6
		.amdhsa_user_sgpr_private_segment_buffer 1
		.amdhsa_user_sgpr_dispatch_ptr 0
		.amdhsa_user_sgpr_queue_ptr 0
		.amdhsa_user_sgpr_kernarg_segment_ptr 1
		.amdhsa_user_sgpr_dispatch_id 0
		.amdhsa_user_sgpr_flat_scratch_init 0
		.amdhsa_user_sgpr_private_segment_size 0
		.amdhsa_uses_dynamic_stack 0
		.amdhsa_system_sgpr_private_segment_wavefront_offset 0
		.amdhsa_system_sgpr_workgroup_id_x 1
		.amdhsa_system_sgpr_workgroup_id_y 1
		.amdhsa_system_sgpr_workgroup_id_z 1
		.amdhsa_system_sgpr_workgroup_info 0
		.amdhsa_system_vgpr_workitem_id 1
		.amdhsa_next_free_vgpr 71
		.amdhsa_next_free_sgpr 98
		.amdhsa_reserve_vcc 1
		.amdhsa_reserve_flat_scratch 0
		.amdhsa_float_round_mode_32 0
		.amdhsa_float_round_mode_16_64 0
		.amdhsa_float_denorm_mode_32 3
		.amdhsa_float_denorm_mode_16_64 3
		.amdhsa_dx10_clamp 1
		.amdhsa_ieee_mode 1
		.amdhsa_fp16_overflow 0
		.amdhsa_exception_fp_ieee_invalid_op 0
		.amdhsa_exception_fp_denorm_src 0
		.amdhsa_exception_fp_ieee_div_zero 0
		.amdhsa_exception_fp_ieee_overflow 0
		.amdhsa_exception_fp_ieee_underflow 0
		.amdhsa_exception_fp_ieee_inexact 0
		.amdhsa_exception_int_div_zero 0
	.end_amdhsa_kernel
	.section	.text._ZL54rocblas_symv_kernel_upper_double_buffered_non_diagonalILi32ELi4ELi4E24rocblas_internal_val_ptrIdEPKPKdPKPdEvbiT2_lT3_lllSA_lllT4_llli,"axG",@progbits,_ZL54rocblas_symv_kernel_upper_double_buffered_non_diagonalILi32ELi4ELi4E24rocblas_internal_val_ptrIdEPKPKdPKPdEvbiT2_lT3_lllSA_lllT4_llli,comdat
.Lfunc_end156:
	.size	_ZL54rocblas_symv_kernel_upper_double_buffered_non_diagonalILi32ELi4ELi4E24rocblas_internal_val_ptrIdEPKPKdPKPdEvbiT2_lT3_lllSA_lllT4_llli, .Lfunc_end156-_ZL54rocblas_symv_kernel_upper_double_buffered_non_diagonalILi32ELi4ELi4E24rocblas_internal_val_ptrIdEPKPKdPKPdEvbiT2_lT3_lllSA_lllT4_llli
                                        ; -- End function
	.set _ZL54rocblas_symv_kernel_upper_double_buffered_non_diagonalILi32ELi4ELi4E24rocblas_internal_val_ptrIdEPKPKdPKPdEvbiT2_lT3_lllSA_lllT4_llli.num_vgpr, 71
	.set _ZL54rocblas_symv_kernel_upper_double_buffered_non_diagonalILi32ELi4ELi4E24rocblas_internal_val_ptrIdEPKPKdPKPdEvbiT2_lT3_lllSA_lllT4_llli.num_agpr, 0
	.set _ZL54rocblas_symv_kernel_upper_double_buffered_non_diagonalILi32ELi4ELi4E24rocblas_internal_val_ptrIdEPKPKdPKPdEvbiT2_lT3_lllSA_lllT4_llli.numbered_sgpr, 28
	.set _ZL54rocblas_symv_kernel_upper_double_buffered_non_diagonalILi32ELi4ELi4E24rocblas_internal_val_ptrIdEPKPKdPKPdEvbiT2_lT3_lllSA_lllT4_llli.num_named_barrier, 0
	.set _ZL54rocblas_symv_kernel_upper_double_buffered_non_diagonalILi32ELi4ELi4E24rocblas_internal_val_ptrIdEPKPKdPKPdEvbiT2_lT3_lllSA_lllT4_llli.private_seg_size, 0
	.set _ZL54rocblas_symv_kernel_upper_double_buffered_non_diagonalILi32ELi4ELi4E24rocblas_internal_val_ptrIdEPKPKdPKPdEvbiT2_lT3_lllSA_lllT4_llli.uses_vcc, 1
	.set _ZL54rocblas_symv_kernel_upper_double_buffered_non_diagonalILi32ELi4ELi4E24rocblas_internal_val_ptrIdEPKPKdPKPdEvbiT2_lT3_lllSA_lllT4_llli.uses_flat_scratch, 0
	.set _ZL54rocblas_symv_kernel_upper_double_buffered_non_diagonalILi32ELi4ELi4E24rocblas_internal_val_ptrIdEPKPKdPKPdEvbiT2_lT3_lllSA_lllT4_llli.has_dyn_sized_stack, 0
	.set _ZL54rocblas_symv_kernel_upper_double_buffered_non_diagonalILi32ELi4ELi4E24rocblas_internal_val_ptrIdEPKPKdPKPdEvbiT2_lT3_lllSA_lllT4_llli.has_recursion, 0
	.set _ZL54rocblas_symv_kernel_upper_double_buffered_non_diagonalILi32ELi4ELi4E24rocblas_internal_val_ptrIdEPKPKdPKPdEvbiT2_lT3_lllSA_lllT4_llli.has_indirect_call, 0
	.section	.AMDGPU.csdata,"",@progbits
; Kernel info:
; codeLenInByte = 3176
; TotalNumSgprs: 32
; NumVgprs: 71
; ScratchSize: 0
; MemoryBound: 0
; FloatMode: 240
; IeeeMode: 1
; LDSByteSize: 6400 bytes/workgroup (compile time only)
; SGPRBlocks: 12
; VGPRBlocks: 17
; NumSGPRsForWavesPerEU: 102
; NumVGPRsForWavesPerEU: 71
; Occupancy: 3
; WaveLimiterHint : 1
; COMPUTE_PGM_RSRC2:SCRATCH_EN: 0
; COMPUTE_PGM_RSRC2:USER_SGPR: 6
; COMPUTE_PGM_RSRC2:TRAP_HANDLER: 0
; COMPUTE_PGM_RSRC2:TGID_X_EN: 1
; COMPUTE_PGM_RSRC2:TGID_Y_EN: 1
; COMPUTE_PGM_RSRC2:TGID_Z_EN: 1
; COMPUTE_PGM_RSRC2:TIDIG_COMP_CNT: 1
	.section	.text._ZL58rocblas_symv_kernel_upper_double_buffered_diagonal_genericILi32ELi8E24rocblas_internal_val_ptrIdEPKPKdPKPdEvbiT1_lT2_lllSA_lllS9_lT3_lllii,"axG",@progbits,_ZL58rocblas_symv_kernel_upper_double_buffered_diagonal_genericILi32ELi8E24rocblas_internal_val_ptrIdEPKPKdPKPdEvbiT1_lT2_lllSA_lllS9_lT3_lllii,comdat
	.globl	_ZL58rocblas_symv_kernel_upper_double_buffered_diagonal_genericILi32ELi8E24rocblas_internal_val_ptrIdEPKPKdPKPdEvbiT1_lT2_lllSA_lllS9_lT3_lllii ; -- Begin function _ZL58rocblas_symv_kernel_upper_double_buffered_diagonal_genericILi32ELi8E24rocblas_internal_val_ptrIdEPKPKdPKPdEvbiT1_lT2_lllSA_lllS9_lT3_lllii
	.p2align	8
	.type	_ZL58rocblas_symv_kernel_upper_double_buffered_diagonal_genericILi32ELi8E24rocblas_internal_val_ptrIdEPKPKdPKPdEvbiT1_lT2_lllSA_lllS9_lT3_lllii,@function
_ZL58rocblas_symv_kernel_upper_double_buffered_diagonal_genericILi32ELi8E24rocblas_internal_val_ptrIdEPKPKdPKPdEvbiT1_lT2_lllSA_lllS9_lT3_lllii: ; @_ZL58rocblas_symv_kernel_upper_double_buffered_diagonal_genericILi32ELi8E24rocblas_internal_val_ptrIdEPKPKdPKPdEvbiT1_lT2_lllSA_lllS9_lT3_lllii
; %bb.0:
	s_load_dword s0, s[4:5], 0x0
	s_load_dwordx8 s[8:15], s[4:5], 0x8
	s_mov_b32 s18, s7
	s_waitcnt lgkmcnt(0)
	s_bitcmp1_b32 s0, 0
	s_load_dwordx2 s[16:17], s[4:5], 0x28
	s_load_dwordx4 s[0:3], s[4:5], 0x58
	s_cselect_b64 s[22:23], -1, 0
	v_mov_b32_e32 v4, s8
	s_xor_b64 s[20:21], s[22:23], -1
	s_and_b64 vcc, exec, s[22:23]
	v_mov_b32_e32 v5, s9
	s_cbranch_vccnz .LBB157_2
; %bb.1:
	s_mul_i32 s7, s11, s18
	s_mul_hi_u32 s11, s10, s18
	s_add_i32 s11, s11, s7
	s_mul_i32 s10, s10, s18
	s_lshl_b64 s[10:11], s[10:11], 3
	s_add_u32 s8, s8, s10
	s_addc_u32 s9, s9, s11
	v_mov_b32_e32 v2, s8
	v_mov_b32_e32 v3, s9
	flat_load_dwordx2 v[4:5], v[2:3]
.LBB157_2:
	s_waitcnt lgkmcnt(0)
	v_mov_b32_e32 v3, s1
	s_andn2_b64 vcc, exec, s[20:21]
	v_mov_b32_e32 v2, s0
	s_cbranch_vccnz .LBB157_4
; %bb.3:
	s_mul_i32 s3, s3, s18
	s_mul_hi_u32 s7, s2, s18
	s_add_i32 s3, s7, s3
	s_mul_i32 s2, s2, s18
	s_lshl_b64 s[2:3], s[2:3], 3
	s_add_u32 s0, s0, s2
	s_addc_u32 s1, s1, s3
	v_mov_b32_e32 v3, s1
	v_mov_b32_e32 v2, s0
	flat_load_dwordx2 v[2:3], v[2:3]
.LBB157_4:
	s_waitcnt vmcnt(0)
	v_cmp_neq_f64_e32 vcc, 0, v[4:5]
	s_waitcnt lgkmcnt(0)
	v_cmp_neq_f64_e64 s[0:1], 1.0, v[2:3]
	s_or_b64 s[0:1], vcc, s[0:1]
	s_and_saveexec_b64 s[2:3], s[0:1]
	s_cbranch_execz .LBB157_48
; %bb.5:
	v_cmp_neq_f64_e64 s[0:1], 0, v[4:5]
	v_cmp_eq_f64_e32 vcc, 0, v[4:5]
	s_mov_b32 s19, 0
	v_mov_b32_e32 v6, s18
	v_mov_b32_e32 v7, s19
	s_and_saveexec_b64 s[2:3], vcc
	s_xor_b64 s[2:3], exec, s[2:3]
; %bb.6:
	v_mov_b32_e32 v6, s18
	v_mov_b32_e32 v7, s19
; %bb.7:
	s_or_saveexec_b64 s[8:9], s[2:3]
	s_load_dwordx2 s[2:3], s[4:5], 0x68
	v_mov_b32_e32 v10, 0
	v_mov_b32_e32 v8, 0
	;; [unrolled: 1-line block ×4, first 2 shown]
	s_xor_b64 exec, exec, s[8:9]
	s_cbranch_execz .LBB157_9
; %bb.8:
	s_lshl_b64 s[10:11], s[18:19], 3
	s_add_u32 s10, s12, s10
	s_addc_u32 s11, s13, s11
	s_load_dwordx2 s[10:11], s[10:11], 0x0
	s_lshl_b64 s[12:13], s[14:15], 3
	s_waitcnt lgkmcnt(0)
	s_add_u32 s10, s10, s12
	s_addc_u32 s11, s11, s13
	v_mov_b32_e32 v8, s10
	v_mov_b32_e32 v9, s11
.LBB157_9:
	s_or_b64 exec, exec, s[8:9]
	s_load_dwordx4 s[8:11], s[4:5], 0x38
	s_load_dwordx2 s[12:13], s[4:5], 0x48
	v_lshlrev_b64 v[6:7], 3, v[6:7]
	s_and_saveexec_b64 s[14:15], s[0:1]
	s_cbranch_execz .LBB157_11
; %bb.10:
	s_waitcnt lgkmcnt(0)
	v_mov_b32_e32 v11, s9
	v_add_co_u32_e64 v10, s[0:1], s8, v6
	v_addc_co_u32_e64 v11, s[0:1], v11, v7, s[0:1]
	global_load_dwordx2 v[10:11], v[10:11], off
	s_lshl_b64 s[0:1], s[10:11], 3
	v_mov_b32_e32 v12, s1
	s_waitcnt vmcnt(0)
	v_add_co_u32_e64 v10, s[0:1], s0, v10
	v_addc_co_u32_e64 v11, s[0:1], v11, v12, s[0:1]
.LBB157_11:
	s_or_b64 exec, exec, s[14:15]
	s_waitcnt lgkmcnt(0)
	v_mov_b32_e32 v12, s3
	v_add_co_u32_e64 v6, s[0:1], s2, v6
	v_addc_co_u32_e64 v7, s[0:1], v12, v7, s[0:1]
	global_load_dwordx2 v[6:7], v[6:7], off
	s_load_dwordx4 s[8:11], s[4:5], 0x70
	s_load_dword s7, s[4:5], 0x88
	s_lshl_b32 s20, s6, 5
	s_ashr_i32 s21, s20, 31
	s_waitcnt lgkmcnt(0)
	s_lshl_b64 s[0:1], s[8:9], 3
	s_mul_i32 s3, s10, s21
	s_mul_hi_u32 s8, s10, s20
	s_mul_i32 s9, s11, s20
	v_mov_b32_e32 v12, s1
	s_add_i32 s1, s8, s3
	s_mul_i32 s2, s10, s20
	s_add_i32 s3, s1, s9
	s_lshl_b64 s[2:3], s[2:3], 3
	v_mov_b32_e32 v13, s3
	s_waitcnt vmcnt(0)
	v_add_co_u32_e64 v6, s[0:1], s0, v6
	v_addc_co_u32_e64 v7, s[0:1], v7, v12, s[0:1]
	v_add_co_u32_e64 v14, s[0:1], s2, v6
	v_addc_co_u32_e64 v15, s[0:1], v7, v13, s[0:1]
	s_and_saveexec_b64 s[0:1], vcc
	s_xor_b64 s[0:1], exec, s[0:1]
	s_cbranch_execz .LBB157_18
; %bb.12:
	v_cmp_eq_u32_e32 vcc, 0, v1
	s_and_saveexec_b64 s[2:3], vcc
	s_cbranch_execz .LBB157_17
; %bb.13:
	v_cmp_gt_i32_e64 s[8:9], s7, v0
	v_cmp_le_i32_e32 vcc, s7, v0
	s_and_saveexec_b64 s[14:15], vcc
	s_cbranch_execz .LBB157_15
; %bb.14:
	s_load_dword s18, s[4:5], 0x90
	s_waitcnt lgkmcnt(0)
	s_add_i32 s18, s18, -1
	s_cmp_lt_u32 s6, s18
	s_cselect_b64 s[18:19], -1, 0
	s_andn2_b64 s[8:9], s[8:9], exec
	s_and_b64 s[18:19], s[18:19], exec
	s_or_b64 s[8:9], s[8:9], s[18:19]
.LBB157_15:
	s_or_b64 exec, exec, s[14:15]
	s_and_b64 exec, exec, s[8:9]
	s_cbranch_execz .LBB157_17
; %bb.16:
	v_mad_u64_u32 v[4:5], s[8:9], s10, v0, 0
	v_mov_b32_e32 v1, v5
	v_mad_u64_u32 v[0:1], s[8:9], s11, v0, v[1:2]
	v_mov_b32_e32 v5, v0
	v_lshlrev_b64 v[0:1], 3, v[4:5]
	v_add_co_u32_e32 v0, vcc, v14, v0
	v_addc_co_u32_e32 v1, vcc, v15, v1, vcc
	flat_load_dwordx2 v[4:5], v[0:1]
	s_waitcnt vmcnt(0) lgkmcnt(0)
	v_mul_f64 v[2:3], v[2:3], v[4:5]
	flat_store_dwordx2 v[0:1], v[2:3]
.LBB157_17:
	s_or_b64 exec, exec, s[2:3]
                                        ; implicit-def: $vgpr1
                                        ; implicit-def: $vgpr0
                                        ; implicit-def: $vgpr2_vgpr3
                                        ; implicit-def: $vgpr4_vgpr5
                                        ; implicit-def: $vgpr14
                                        ; implicit-def: $vgpr15
                                        ; implicit-def: $vgpr8_vgpr9
                                        ; implicit-def: $vgpr10_vgpr11
.LBB157_18:
	s_andn2_saveexec_b64 s[0:1], s[0:1]
	s_cbranch_execz .LBB157_48
; %bb.19:
	v_mov_b32_e32 v6, 0
	v_cmp_ne_u32_e64 s[2:3], 0, v1
	v_mov_b32_e32 v7, 0
	v_cmp_eq_u32_e64 s[0:1], 0, v1
	s_and_saveexec_b64 s[8:9], s[0:1]
	s_cbranch_execz .LBB157_27
; %bb.20:
	v_cmp_gt_i32_e64 s[18:19], s7, v0
	v_cmp_le_i32_e32 vcc, s7, v0
	s_and_saveexec_b64 s[14:15], vcc
	s_cbranch_execz .LBB157_22
; %bb.21:
	s_load_dword s22, s[4:5], 0x90
	s_waitcnt lgkmcnt(0)
	s_add_i32 s22, s22, -1
	s_cmp_lt_u32 s6, s22
	s_cselect_b64 s[22:23], -1, 0
	s_andn2_b64 s[18:19], s[18:19], exec
	s_and_b64 s[22:23], s[22:23], exec
	s_or_b64 s[18:19], s[18:19], s[22:23]
.LBB157_22:
	s_or_b64 exec, exec, s[14:15]
	v_mov_b32_e32 v6, 0
	v_mov_b32_e32 v7, 0
	s_and_saveexec_b64 s[14:15], s[18:19]
	s_cbranch_execz .LBB157_26
; %bb.23:
	v_mad_u64_u32 v[6:7], s[22:23], s12, v0, 0
	s_mul_i32 s18, s12, s21
	s_mul_hi_u32 s19, s12, s20
	s_add_i32 s18, s19, s18
	s_mul_i32 s19, s13, s20
	s_add_i32 s19, s18, s19
	s_mul_i32 s18, s12, s20
	v_mad_u64_u32 v[12:13], s[12:13], s13, v0, v[7:8]
	s_lshl_b64 s[18:19], s[18:19], 3
	v_mov_b32_e32 v16, s19
	v_mov_b32_e32 v7, v12
	v_add_co_u32_e32 v10, vcc, s18, v10
	v_lshlrev_b64 v[6:7], 3, v[6:7]
	v_addc_co_u32_e32 v11, vcc, v11, v16, vcc
	v_add_co_u32_e32 v6, vcc, v10, v6
	v_addc_co_u32_e32 v7, vcc, v11, v7, vcc
	flat_load_dwordx2 v[10:11], v[6:7]
	v_cmp_neq_f64_e32 vcc, 0, v[2:3]
	v_mov_b32_e32 v6, 0
	v_lshlrev_b32_e32 v12, 3, v0
	v_mov_b32_e32 v7, 0
	s_waitcnt vmcnt(0) lgkmcnt(0)
	ds_write_b64 v12, v[10:11] offset:12288
	s_and_saveexec_b64 s[12:13], vcc
	s_cbranch_execz .LBB157_25
; %bb.24:
	v_mad_u64_u32 v[6:7], s[18:19], s10, v0, 0
	v_mad_u64_u32 v[10:11], s[18:19], s11, v0, v[7:8]
	v_mov_b32_e32 v7, v10
	v_lshlrev_b64 v[6:7], 3, v[6:7]
	v_add_co_u32_e32 v6, vcc, v14, v6
	v_addc_co_u32_e32 v7, vcc, v15, v7, vcc
	flat_load_dwordx2 v[6:7], v[6:7]
	s_waitcnt vmcnt(0) lgkmcnt(0)
	v_mul_f64 v[6:7], v[2:3], v[6:7]
.LBB157_25:
	s_or_b64 exec, exec, s[12:13]
.LBB157_26:
	s_or_b64 exec, exec, s[14:15]
.LBB157_27:
	s_or_b64 exec, exec, s[8:9]
	s_add_u32 s8, s16, 1
	s_addc_u32 s9, s17, 0
	s_mul_i32 s12, s8, s21
	s_mul_hi_u32 s13, s8, s20
	s_add_i32 s12, s13, s12
	s_mul_i32 s9, s9, s20
	s_add_i32 s9, s12, s9
	v_mad_u64_u32 v[10:11], s[12:13], s16, v1, 0
	s_mul_i32 s8, s8, s20
	s_lshl_b64 s[8:9], s[8:9], 3
	v_mad_u64_u32 v[11:12], s[12:13], s17, v1, v[11:12]
	v_mov_b32_e32 v13, s9
	v_add_co_u32_e32 v16, vcc, s8, v8
	s_load_dword s12, s[4:5], 0x90
	v_addc_co_u32_e32 v17, vcc, v9, v13, vcc
	v_lshlrev_b64 v[12:13], 3, v[10:11]
	v_lshlrev_b32_e32 v18, 5, v1
	v_add_co_u32_e32 v10, vcc, v16, v12
	v_addc_co_u32_e32 v11, vcc, v17, v13, vcc
	v_lshlrev_b32_e32 v16, 3, v0
	v_add_co_u32_e32 v10, vcc, v10, v16
	s_waitcnt lgkmcnt(0)
	s_add_i32 s12, s12, -1
	v_lshlrev_b32_e32 v17, 8, v1
	v_addc_co_u32_e32 v11, vcc, 0, v11, vcc
	s_cmp_eq_u32 s6, s12
	s_mov_b64 s[4:5], -1
	v_add_u32_e32 v17, v16, v17
	s_cbranch_scc1 .LBB157_29
; %bb.28:
	s_lshl_b64 s[4:5], s[16:17], 6
	v_mov_b32_e32 v24, s5
	v_add_co_u32_e32 v19, vcc, s4, v10
	v_addc_co_u32_e32 v20, vcc, v11, v24, vcc
	v_add_co_u32_e32 v21, vcc, s4, v19
	v_addc_co_u32_e32 v22, vcc, v20, v24, vcc
	;; [unrolled: 2-line block ×3, first 2 shown]
	flat_load_dwordx2 v[25:26], v[10:11]
	flat_load_dwordx2 v[27:28], v[19:20]
	;; [unrolled: 1-line block ×4, first 2 shown]
	s_mov_b64 s[4:5], 0
	s_waitcnt vmcnt(0) lgkmcnt(0)
	ds_write2st64_b64 v17, v[25:26], v[27:28] offset1:4
	ds_write2st64_b64 v17, v[29:30], v[31:32] offset0:8 offset1:12
.LBB157_29:
	s_andn2_b64 vcc, exec, s[4:5]
	v_add_u32_e32 v19, v18, v0
	s_cbranch_vccnz .LBB157_39
; %bb.30:
	s_mov_b32 s4, 0
	s_mov_b32 s5, s4
	v_mov_b32_e32 v21, s5
	v_cmp_gt_i32_e32 vcc, s7, v0
	v_mov_b32_e32 v20, s4
	s_nor_b64 s[4:5], s[2:3], vcc
	ds_write2st64_b64 v17, v[20:21], v[20:21] offset1:4
	ds_write2st64_b64 v17, v[20:21], v[20:21] offset0:8 offset1:12
	s_and_saveexec_b64 s[2:3], s[4:5]
; %bb.31:
	v_mov_b32_e32 v20, 0
	v_mov_b32_e32 v21, v20
	ds_write_b64 v16, v[20:21] offset:12288
; %bb.32:
	s_or_b64 exec, exec, s[2:3]
	s_and_saveexec_b64 s[2:3], vcc
	s_cbranch_execz .LBB157_38
; %bb.33:
	s_cmp_lt_u32 s7, 8
	s_mov_b32 s13, 0
	s_cbranch_scc1 .LBB157_36
; %bb.34:
	v_mov_b32_e32 v21, s9
	v_add_co_u32_e32 v12, vcc, s8, v12
	v_addc_co_u32_e32 v13, vcc, v21, v13, vcc
	v_add_co_u32_e32 v12, vcc, v12, v16
	v_addc_co_u32_e32 v13, vcc, 0, v13, vcc
	s_lshr_b32 s13, s7, 3
	v_add_co_u32_e32 v8, vcc, v8, v12
	s_lshl_b64 s[4:5], s[16:17], 6
	v_lshl_add_u32 v20, v18, 3, v16
	v_addc_co_u32_e32 v9, vcc, v9, v13, vcc
	v_mov_b32_e32 v12, s5
	s_mov_b32 s5, s13
.LBB157_35:                             ; =>This Inner Loop Header: Depth=1
	flat_load_dwordx2 v[21:22], v[8:9]
	s_add_i32 s5, s5, -1
	v_add_co_u32_e32 v8, vcc, s4, v8
	v_addc_co_u32_e32 v9, vcc, v9, v12, vcc
	s_cmp_lg_u32 s5, 0
	s_waitcnt vmcnt(0) lgkmcnt(0)
	ds_write_b64 v20, v[21:22]
	v_add_u32_e32 v20, 0x800, v20
	s_cbranch_scc1 .LBB157_35
.LBB157_36:
	s_and_b32 s4, s7, 7
	v_cmp_gt_u32_e32 vcc, s4, v1
	s_and_b64 exec, exec, vcc
	s_cbranch_execz .LBB157_38
; %bb.37:
	s_lshl_b32 s4, s13, 3
	s_mul_i32 s5, s17, s4
	s_mul_hi_u32 s8, s16, s4
	s_add_i32 s5, s8, s5
	s_mul_i32 s4, s16, s4
	s_lshl_b64 s[4:5], s[4:5], 3
	v_mov_b32_e32 v9, s5
	v_add_co_u32_e32 v8, vcc, s4, v10
	v_addc_co_u32_e32 v9, vcc, v11, v9, vcc
	flat_load_dwordx2 v[8:9], v[8:9]
	v_lshlrev_b32_e32 v10, 3, v19
	v_lshl_add_u32 v10, s13, 11, v10
	s_waitcnt vmcnt(0) lgkmcnt(0)
	ds_write_b64 v10, v[8:9]
.LBB157_38:
	s_or_b64 exec, exec, s[2:3]
.LBB157_39:
	v_sub_u32_e32 v8, v0, v1
	v_sub_u32_e32 v9, 0, v8
	s_movk_i32 s2, 0xf8
	v_max_i32_e32 v9, v8, v9
	v_mad_u32_u24 v8, v0, s2, v16
	v_cmp_lt_u32_e32 vcc, 16, v9
	v_lshl_add_u32 v8, v1, 3, v8
	s_waitcnt vmcnt(0) lgkmcnt(0)
	s_barrier
	s_and_saveexec_b64 s[2:3], vcc
	s_cbranch_execnz .LBB157_49
; %bb.40:
	s_or_b64 exec, exec, s[2:3]
	v_cmp_lt_u32_e32 vcc, 24, v9
	s_and_saveexec_b64 s[2:3], vcc
	s_cbranch_execnz .LBB157_50
.LBB157_41:
	s_or_b64 exec, exec, s[2:3]
	v_cmp_ge_u32_e32 vcc, v0, v1
	s_and_saveexec_b64 s[2:3], vcc
	s_cbranch_execz .LBB157_43
.LBB157_42:
	ds_read_b64 v[10:11], v8
	v_lshl_add_u32 v12, v18, 3, v16
	s_waitcnt lgkmcnt(0)
	ds_write_b64 v12, v[10:11]
.LBB157_43:
	s_or_b64 exec, exec, s[2:3]
	v_cmp_lt_u32_e32 vcc, 8, v9
	v_mov_b32_e32 v9, 0x800
	v_lshl_add_u32 v9, v1, 8, v9
	v_add_u32_e32 v9, v16, v9
	s_and_saveexec_b64 s[2:3], vcc
	s_cbranch_execz .LBB157_45
; %bb.44:
	ds_read_b64 v[10:11], v8 offset:64
	s_waitcnt lgkmcnt(0)
	ds_write_b64 v9, v[10:11]
.LBB157_45:
	s_or_b64 exec, exec, s[2:3]
	v_lshlrev_b32_e32 v8, 3, v1
	v_add_u32_e32 v20, 0x3000, v8
	s_waitcnt lgkmcnt(0)
	s_barrier
	ds_read2_b64 v[10:13], v20 offset1:8
	ds_read_b64 v[17:18], v17
	ds_read_b64 v[8:9], v9
	v_lshl_add_u32 v1, v1, 8, v16
	s_waitcnt lgkmcnt(1)
	v_fma_f64 v[10:11], v[17:18], v[10:11], 0
	s_waitcnt lgkmcnt(0)
	v_fma_f64 v[12:13], v[8:9], v[12:13], v[10:11]
	ds_read2st64_b64 v[8:11], v1 offset0:8 offset1:12
	ds_read2_b64 v[20:23], v20 offset0:16 offset1:24
	v_lshlrev_b32_e32 v1, 3, v19
	s_waitcnt lgkmcnt(0)
	v_fma_f64 v[8:9], v[8:9], v[20:21], v[12:13]
	v_fma_f64 v[8:9], v[10:11], v[22:23], v[8:9]
	ds_write_b64 v1, v[8:9] offset:8192
	s_waitcnt lgkmcnt(0)
	s_barrier
	s_and_saveexec_b64 s[2:3], s[0:1]
	s_cbranch_execz .LBB157_48
; %bb.46:
	s_cmp_lt_u32 s6, s12
	v_cmp_gt_i32_e32 vcc, s7, v0
	s_cselect_b64 s[0:1], -1, 0
	s_or_b64 s[0:1], vcc, s[0:1]
	s_and_b64 exec, exec, s[0:1]
	s_cbranch_execz .LBB157_48
; %bb.47:
	v_add_u32_e32 v1, 0x2000, v16
	ds_read2_b64 v[8:11], v1 offset1:32
	v_cmp_neq_f64_e32 vcc, 0, v[2:3]
	s_waitcnt lgkmcnt(0)
	v_add_f64 v[8:9], v[8:9], 0
	v_add_f64 v[12:13], v[8:9], v[10:11]
	ds_read2_b64 v[8:11], v1 offset0:64 offset1:96
	s_waitcnt lgkmcnt(0)
	v_add_f64 v[8:9], v[12:13], v[8:9]
	v_add_f64 v[12:13], v[8:9], v[10:11]
	ds_read2_b64 v[8:11], v1 offset0:128 offset1:160
	;; [unrolled: 4-line block ×3, first 2 shown]
	s_waitcnt lgkmcnt(0)
	v_add_f64 v[8:9], v[12:13], v[8:9]
	v_add_f64 v[8:9], v[8:9], v[10:11]
	v_mad_u64_u32 v[10:11], s[0:1], s10, v0, 0
	v_mov_b32_e32 v1, v11
	v_mad_u64_u32 v[0:1], s[0:1], s11, v0, v[1:2]
	v_mul_f64 v[12:13], v[4:5], v[8:9]
	v_fma_f64 v[4:5], v[4:5], v[8:9], v[6:7]
	v_mov_b32_e32 v11, v0
	v_lshlrev_b64 v[0:1], 3, v[10:11]
	v_cndmask_b32_e32 v3, v13, v5, vcc
	v_cndmask_b32_e32 v2, v12, v4, vcc
	v_add_co_u32_e32 v0, vcc, v14, v0
	v_addc_co_u32_e32 v1, vcc, v15, v1, vcc
	flat_store_dwordx2 v[0:1], v[2:3]
.LBB157_48:
	s_endpgm
.LBB157_49:
	ds_read_b64 v[10:11], v8 offset:128
	s_waitcnt lgkmcnt(0)
	ds_write_b64 v17, v[10:11] offset:4096
	s_or_b64 exec, exec, s[2:3]
	v_cmp_lt_u32_e32 vcc, 24, v9
	s_and_saveexec_b64 s[2:3], vcc
	s_cbranch_execz .LBB157_41
.LBB157_50:
	ds_read_b64 v[10:11], v8 offset:192
	s_waitcnt lgkmcnt(0)
	ds_write_b64 v17, v[10:11] offset:6144
	s_or_b64 exec, exec, s[2:3]
	v_cmp_ge_u32_e32 vcc, v0, v1
	s_and_saveexec_b64 s[2:3], vcc
	s_cbranch_execnz .LBB157_42
	s_branch .LBB157_43
	.section	.rodata,"a",@progbits
	.p2align	6, 0x0
	.amdhsa_kernel _ZL58rocblas_symv_kernel_upper_double_buffered_diagonal_genericILi32ELi8E24rocblas_internal_val_ptrIdEPKPKdPKPdEvbiT1_lT2_lllSA_lllS9_lT3_lllii
		.amdhsa_group_segment_fixed_size 12544
		.amdhsa_private_segment_fixed_size 0
		.amdhsa_kernarg_size 400
		.amdhsa_user_sgpr_count 6
		.amdhsa_user_sgpr_private_segment_buffer 1
		.amdhsa_user_sgpr_dispatch_ptr 0
		.amdhsa_user_sgpr_queue_ptr 0
		.amdhsa_user_sgpr_kernarg_segment_ptr 1
		.amdhsa_user_sgpr_dispatch_id 0
		.amdhsa_user_sgpr_flat_scratch_init 0
		.amdhsa_user_sgpr_private_segment_size 0
		.amdhsa_uses_dynamic_stack 0
		.amdhsa_system_sgpr_private_segment_wavefront_offset 0
		.amdhsa_system_sgpr_workgroup_id_x 1
		.amdhsa_system_sgpr_workgroup_id_y 0
		.amdhsa_system_sgpr_workgroup_id_z 1
		.amdhsa_system_sgpr_workgroup_info 0
		.amdhsa_system_vgpr_workitem_id 1
		.amdhsa_next_free_vgpr 41
		.amdhsa_next_free_sgpr 98
		.amdhsa_reserve_vcc 1
		.amdhsa_reserve_flat_scratch 0
		.amdhsa_float_round_mode_32 0
		.amdhsa_float_round_mode_16_64 0
		.amdhsa_float_denorm_mode_32 3
		.amdhsa_float_denorm_mode_16_64 3
		.amdhsa_dx10_clamp 1
		.amdhsa_ieee_mode 1
		.amdhsa_fp16_overflow 0
		.amdhsa_exception_fp_ieee_invalid_op 0
		.amdhsa_exception_fp_denorm_src 0
		.amdhsa_exception_fp_ieee_div_zero 0
		.amdhsa_exception_fp_ieee_overflow 0
		.amdhsa_exception_fp_ieee_underflow 0
		.amdhsa_exception_fp_ieee_inexact 0
		.amdhsa_exception_int_div_zero 0
	.end_amdhsa_kernel
	.section	.text._ZL58rocblas_symv_kernel_upper_double_buffered_diagonal_genericILi32ELi8E24rocblas_internal_val_ptrIdEPKPKdPKPdEvbiT1_lT2_lllSA_lllS9_lT3_lllii,"axG",@progbits,_ZL58rocblas_symv_kernel_upper_double_buffered_diagonal_genericILi32ELi8E24rocblas_internal_val_ptrIdEPKPKdPKPdEvbiT1_lT2_lllSA_lllS9_lT3_lllii,comdat
.Lfunc_end157:
	.size	_ZL58rocblas_symv_kernel_upper_double_buffered_diagonal_genericILi32ELi8E24rocblas_internal_val_ptrIdEPKPKdPKPdEvbiT1_lT2_lllSA_lllS9_lT3_lllii, .Lfunc_end157-_ZL58rocblas_symv_kernel_upper_double_buffered_diagonal_genericILi32ELi8E24rocblas_internal_val_ptrIdEPKPKdPKPdEvbiT1_lT2_lllSA_lllS9_lT3_lllii
                                        ; -- End function
	.set _ZL58rocblas_symv_kernel_upper_double_buffered_diagonal_genericILi32ELi8E24rocblas_internal_val_ptrIdEPKPKdPKPdEvbiT1_lT2_lllSA_lllS9_lT3_lllii.num_vgpr, 33
	.set _ZL58rocblas_symv_kernel_upper_double_buffered_diagonal_genericILi32ELi8E24rocblas_internal_val_ptrIdEPKPKdPKPdEvbiT1_lT2_lllSA_lllS9_lT3_lllii.num_agpr, 0
	.set _ZL58rocblas_symv_kernel_upper_double_buffered_diagonal_genericILi32ELi8E24rocblas_internal_val_ptrIdEPKPKdPKPdEvbiT1_lT2_lllSA_lllS9_lT3_lllii.numbered_sgpr, 24
	.set _ZL58rocblas_symv_kernel_upper_double_buffered_diagonal_genericILi32ELi8E24rocblas_internal_val_ptrIdEPKPKdPKPdEvbiT1_lT2_lllSA_lllS9_lT3_lllii.num_named_barrier, 0
	.set _ZL58rocblas_symv_kernel_upper_double_buffered_diagonal_genericILi32ELi8E24rocblas_internal_val_ptrIdEPKPKdPKPdEvbiT1_lT2_lllSA_lllS9_lT3_lllii.private_seg_size, 0
	.set _ZL58rocblas_symv_kernel_upper_double_buffered_diagonal_genericILi32ELi8E24rocblas_internal_val_ptrIdEPKPKdPKPdEvbiT1_lT2_lllSA_lllS9_lT3_lllii.uses_vcc, 1
	.set _ZL58rocblas_symv_kernel_upper_double_buffered_diagonal_genericILi32ELi8E24rocblas_internal_val_ptrIdEPKPKdPKPdEvbiT1_lT2_lllSA_lllS9_lT3_lllii.uses_flat_scratch, 0
	.set _ZL58rocblas_symv_kernel_upper_double_buffered_diagonal_genericILi32ELi8E24rocblas_internal_val_ptrIdEPKPKdPKPdEvbiT1_lT2_lllSA_lllS9_lT3_lllii.has_dyn_sized_stack, 0
	.set _ZL58rocblas_symv_kernel_upper_double_buffered_diagonal_genericILi32ELi8E24rocblas_internal_val_ptrIdEPKPKdPKPdEvbiT1_lT2_lllSA_lllS9_lT3_lllii.has_recursion, 0
	.set _ZL58rocblas_symv_kernel_upper_double_buffered_diagonal_genericILi32ELi8E24rocblas_internal_val_ptrIdEPKPKdPKPdEvbiT1_lT2_lllSA_lllS9_lT3_lllii.has_indirect_call, 0
	.section	.AMDGPU.csdata,"",@progbits
; Kernel info:
; codeLenInByte = 2148
; TotalNumSgprs: 28
; NumVgprs: 33
; ScratchSize: 0
; MemoryBound: 0
; FloatMode: 240
; IeeeMode: 1
; LDSByteSize: 12544 bytes/workgroup (compile time only)
; SGPRBlocks: 12
; VGPRBlocks: 10
; NumSGPRsForWavesPerEU: 102
; NumVGPRsForWavesPerEU: 41
; Occupancy: 5
; WaveLimiterHint : 1
; COMPUTE_PGM_RSRC2:SCRATCH_EN: 0
; COMPUTE_PGM_RSRC2:USER_SGPR: 6
; COMPUTE_PGM_RSRC2:TRAP_HANDLER: 0
; COMPUTE_PGM_RSRC2:TGID_X_EN: 1
; COMPUTE_PGM_RSRC2:TGID_Y_EN: 0
; COMPUTE_PGM_RSRC2:TGID_Z_EN: 1
; COMPUTE_PGM_RSRC2:TIDIG_COMP_CNT: 1
	.section	.text._ZL62rocblas_symv_kernel_upper_double_buffered_non_diagonal_genericILi32ELi8ELi2ELi0E24rocblas_internal_val_ptrIdEPKPKdPKPdEvbiT3_lT4_lllSA_lllT5_lllii,"axG",@progbits,_ZL62rocblas_symv_kernel_upper_double_buffered_non_diagonal_genericILi32ELi8ELi2ELi0E24rocblas_internal_val_ptrIdEPKPKdPKPdEvbiT3_lT4_lllSA_lllT5_lllii,comdat
	.globl	_ZL62rocblas_symv_kernel_upper_double_buffered_non_diagonal_genericILi32ELi8ELi2ELi0E24rocblas_internal_val_ptrIdEPKPKdPKPdEvbiT3_lT4_lllSA_lllT5_lllii ; -- Begin function _ZL62rocblas_symv_kernel_upper_double_buffered_non_diagonal_genericILi32ELi8ELi2ELi0E24rocblas_internal_val_ptrIdEPKPKdPKPdEvbiT3_lT4_lllSA_lllT5_lllii
	.p2align	8
	.type	_ZL62rocblas_symv_kernel_upper_double_buffered_non_diagonal_genericILi32ELi8ELi2ELi0E24rocblas_internal_val_ptrIdEPKPKdPKPdEvbiT3_lT4_lllSA_lllT5_lllii,@function
_ZL62rocblas_symv_kernel_upper_double_buffered_non_diagonal_genericILi32ELi8ELi2ELi0E24rocblas_internal_val_ptrIdEPKPKdPKPdEvbiT3_lT4_lllSA_lllT5_lllii: ; @_ZL62rocblas_symv_kernel_upper_double_buffered_non_diagonal_genericILi32ELi8ELi2ELi0E24rocblas_internal_val_ptrIdEPKPKdPKPdEvbiT3_lT4_lllSA_lllT5_lllii
; %bb.0:
	s_load_dword s0, s[4:5], 0x0
	s_load_dwordx8 s[12:19], s[4:5], 0x8
	s_load_dwordx2 s[20:21], s[4:5], 0x28
	s_waitcnt lgkmcnt(0)
	s_bitcmp1_b32 s0, 0
	s_cselect_b64 s[0:1], -1, 0
	v_mov_b32_e32 v14, s13
	s_and_b64 vcc, exec, s[0:1]
	v_mov_b32_e32 v13, s12
	s_cbranch_vccnz .LBB158_2
; %bb.1:
	s_mul_i32 s0, s15, s8
	s_mul_hi_u32 s1, s14, s8
	s_add_i32 s1, s1, s0
	s_mul_i32 s0, s14, s8
	s_lshl_b64 s[0:1], s[0:1], 3
	s_add_u32 s0, s12, s0
	s_addc_u32 s1, s13, s1
	v_mov_b32_e32 v3, s1
	v_mov_b32_e32 v2, s0
	flat_load_dwordx2 v[13:14], v[2:3]
.LBB158_2:
	s_waitcnt vmcnt(0) lgkmcnt(0)
	v_cmp_neq_f64_e32 vcc, 0, v[13:14]
	s_and_saveexec_b64 s[0:1], vcc
	s_cbranch_execz .LBB158_46
; %bb.3:
	s_load_dword s12, s[4:5], 0x84
	s_add_u32 s10, s4, 0x80
	s_addc_u32 s11, s5, 0
	s_mov_b32 s9, 0
	s_cmp_eq_u32 s6, 0
	s_waitcnt lgkmcnt(0)
	v_cvt_f32_u32_e32 v2, s12
	v_rcp_iflag_f32_e32 v2, v2
	v_mul_f32_e32 v2, 0x4f7ffffe, v2
	v_cvt_u32_f32_e32 v2, v2
	v_readfirstlane_b32 s0, v2
	s_cbranch_scc1 .LBB158_46
; %bb.4:
	s_sub_i32 s1, 0, s12
	s_mul_i32 s1, s1, s0
	s_mul_hi_u32 s1, s0, s1
	s_add_i32 s13, s0, s1
	s_load_dwordx2 s[14:15], s[4:5], 0x58
	s_load_dwordx4 s[0:3], s[4:5], 0x38
	s_lshl_b64 s[8:9], s[8:9], 3
	s_add_u32 s16, s16, s8
	s_addc_u32 s17, s17, s9
	s_mul_hi_u32 s13, s6, s13
	s_waitcnt lgkmcnt(0)
	s_add_u32 s0, s0, s8
	s_addc_u32 s1, s1, s9
	s_add_u32 s22, s14, s8
	s_mul_i32 s8, s13, s12
	s_addc_u32 s23, s15, s9
	s_sub_i32 s8, s6, s8
	s_add_i32 s9, s13, 1
	s_sub_i32 s14, s8, s12
	s_cmp_ge_u32 s8, s12
	s_cselect_b32 s9, s9, s13
	s_cselect_b32 s8, s14, s8
	s_add_i32 s13, s9, 1
	s_cmp_ge_u32 s8, s12
	s_cselect_b32 s26, s13, s9
	s_add_i32 s8, s12, -1
	s_cmp_lg_u32 s7, s8
	s_mov_b32 s27, s26
	s_cbranch_scc1 .LBB158_6
; %bb.5:
	s_mul_i32 s8, s26, s12
	s_sub_i32 s8, s6, s8
	s_add_i32 s27, s8, s26
.LBB158_6:
	s_cmp_eq_u32 s27, 0
	s_cbranch_scc1 .LBB158_46
; %bb.7:
	s_load_dwordx2 s[24:25], s[0:1], 0x0
	s_load_dwordx2 s[12:13], s[4:5], 0x48
	;; [unrolled: 1-line block ×4, first 2 shown]
	s_lshl_b64 s[0:1], s[2:3], 3
	s_waitcnt lgkmcnt(0)
	s_add_u32 s28, s24, s0
	s_addc_u32 s29, s25, s1
	s_lshl_b32 s22, s6, 5
	s_ashr_i32 s23, s22, 31
	s_mul_i32 s0, s12, s23
	s_mul_hi_u32 s1, s12, s22
	s_load_dword s25, s[10:11], 0x0
	s_add_i32 s0, s1, s0
	s_mul_i32 s1, s13, s22
	s_add_i32 s1, s0, s1
	s_mul_i32 s0, s12, s22
	s_lshl_b64 s[0:1], s[0:1], 3
	s_load_dword s24, s[4:5], 0x78
	s_add_u32 s30, s28, s0
	s_addc_u32 s31, s29, s1
	s_waitcnt lgkmcnt(0)
	s_add_i32 s25, s25, -1
	s_cmp_lg_u32 s6, s25
	v_lshl_add_u32 v2, v1, 5, v0
	s_cselect_b64 s[2:3], -1, 0
	v_and_b32_e32 v15, 15, v0
	v_lshrrev_b32_e32 v5, 4, v2
	v_cmp_eq_u32_e64 s[0:1], 0, v1
	s_mov_b64 s[10:11], -1
	s_and_b64 vcc, exec, s[2:3]
	s_cbranch_vccnz .LBB158_13
; %bb.8:
	s_and_saveexec_b64 s[10:11], s[0:1]
	s_cbranch_execz .LBB158_12
; %bb.9:
	v_mov_b32_e32 v1, 0
	v_mov_b32_e32 v2, 0
	v_cmp_gt_i32_e32 vcc, s24, v0
	s_and_saveexec_b64 s[16:17], vcc
	s_cbranch_execz .LBB158_11
; %bb.10:
	v_mad_u64_u32 v[1:2], s[34:35], s12, v0, 0
	v_mad_u64_u32 v[2:3], s[34:35], s13, v0, v[2:3]
	v_mov_b32_e32 v3, s31
	v_lshlrev_b64 v[1:2], 3, v[1:2]
	v_add_co_u32_e32 v1, vcc, s30, v1
	v_addc_co_u32_e32 v2, vcc, v3, v2, vcc
	flat_load_dwordx2 v[1:2], v[1:2]
.LBB158_11:
	s_or_b64 exec, exec, s[16:17]
	v_lshlrev_b32_e32 v3, 3, v0
	s_waitcnt vmcnt(0) lgkmcnt(0)
	ds_write_b64 v3, v[1:2] offset:8192
.LBB158_12:
	s_or_b64 exec, exec, s[10:11]
	v_lshlrev_b32_e32 v1, 3, v15
	s_mov_b32 s10, 0
	v_lshl_or_b32 v3, v5, 8, v1
	s_mov_b32 s11, s10
	v_mov_b32_e32 v1, s10
	v_mov_b32_e32 v2, s11
	ds_write2_b64 v3, v[1:2], v[1:2] offset1:16
	v_add_u32_e32 v3, 0x1000, v3
	s_mov_b64 s[10:11], 0
	ds_write2_b64 v3, v[1:2], v[1:2] offset1:16
.LBB158_13:
	s_and_b64 vcc, exec, s[10:11]
	s_cbranch_vccz .LBB158_17
; %bb.14:
	s_and_saveexec_b64 s[10:11], s[0:1]
	s_cbranch_execz .LBB158_16
; %bb.15:
	v_mad_u64_u32 v[1:2], s[16:17], s12, v0, 0
	v_mad_u64_u32 v[2:3], s[16:17], s13, v0, v[2:3]
	v_mov_b32_e32 v3, s31
	v_lshlrev_b64 v[1:2], 3, v[1:2]
	v_add_co_u32_e32 v1, vcc, s30, v1
	v_addc_co_u32_e32 v2, vcc, v3, v2, vcc
	flat_load_dwordx2 v[1:2], v[1:2]
	v_lshlrev_b32_e32 v3, 3, v0
	s_waitcnt vmcnt(0) lgkmcnt(0)
	ds_write_b64 v3, v[1:2] offset:8192
.LBB158_16:
	s_or_b64 exec, exec, s[10:11]
.LBB158_17:
	s_lshr_b32 s10, s24, 31
	s_add_i32 s10, s24, s10
	s_ashr_i32 s30, s10, 1
	s_lshl_b64 s[10:11], s[18:19], 3
	s_add_u32 s10, s8, s10
	s_addc_u32 s11, s9, s11
	s_mul_i32 s8, s20, s23
	s_mul_hi_u32 s9, s20, s22
	s_add_i32 s8, s9, s8
	s_mul_i32 s9, s21, s22
	s_add_i32 s9, s8, s9
	s_mul_i32 s8, s20, s22
	s_lshl_b64 s[8:9], s[8:9], 3
	s_add_u32 s10, s10, s8
	v_lshlrev_b32_e32 v7, 1, v5
	v_mov_b32_e32 v16, 0
	s_addc_u32 s11, s11, s9
	s_mul_i32 s7, s7, s26
	v_mad_u64_u32 v[8:9], s[8:9], s20, v7, v[15:16]
	s_lshl_b32 s16, s7, 5
	s_ashr_i32 s17, s16, 31
	s_lshl_b64 s[8:9], s[16:17], 3
	s_add_u32 s19, s10, s8
	v_mov_b32_e32 v1, v9
	s_addc_u32 s26, s11, s9
	v_mad_u64_u32 v[1:2], s[8:9], s21, v7, v[1:2]
	v_cmp_gt_i32_e32 vcc, s30, v5
	s_or_b64 s[2:3], s[2:3], vcc
	v_mov_b32_e32 v9, v1
	v_lshlrev_b64 v[17:18], 3, v[8:9]
	v_mov_b32_e32 v1, v16
	v_mov_b32_e32 v2, v16
	;; [unrolled: 1-line block ×4, first 2 shown]
	s_waitcnt lgkmcnt(0)
	s_barrier
	s_and_saveexec_b64 s[8:9], s[2:3]
	s_cbranch_execz .LBB158_19
; %bb.18:
	v_mov_b32_e32 v1, s26
	v_add_co_u32_e32 v8, vcc, s19, v17
	v_addc_co_u32_e32 v9, vcc, v1, v18, vcc
	s_lshl_b64 s[10:11], s[20:21], 3
	v_mov_b32_e32 v1, s11
	v_add_co_u32_e32 v10, vcc, s10, v8
	v_addc_co_u32_e32 v11, vcc, v9, v1, vcc
	flat_load_dwordx2 v[1:2], v[8:9]
	flat_load_dwordx2 v[3:4], v[10:11]
.LBB158_19:
	s_or_b64 exec, exec, s[8:9]
	s_load_dwordx4 s[8:11], s[4:5], 0x60
	v_lshlrev_b32_e32 v45, 8, v5
	s_waitcnt lgkmcnt(0)
	s_lshl_b64 s[4:5], s[8:9], 3
	s_add_u32 s7, s14, s4
	s_addc_u32 s18, s15, s5
	s_cmp_gt_i32 s27, 0
	s_cbranch_scc1 .LBB158_21
; %bb.20:
	v_lshlrev_b32_e32 v8, 8, v5
	s_mov_b64 s[4:5], 0
	s_branch .LBB158_22
.LBB158_21:
	s_mov_b64 s[4:5], -1
                                        ; implicit-def: $vgpr8
.LBB158_22:
	v_mov_b32_e32 v5, 0
	v_mov_b32_e32 v11, 0
	;; [unrolled: 1-line block ×3, first 2 shown]
	s_andn2_b64 vcc, exec, s[4:5]
	v_mov_b32_e32 v12, 0
	s_cbranch_vccnz .LBB158_42
; %bb.23:
	v_mad_u64_u32 v[5:6], s[4:5], s12, v15, 0
	s_mul_i32 s8, s12, s17
	v_lshlrev_b32_e32 v12, 3, v15
	v_mad_u64_u32 v[8:9], s[4:5], s13, v15, v[6:7]
	s_mul_hi_u32 s4, s12, s16
	s_mul_i32 s5, s13, s16
	s_add_i32 s4, s4, s8
	s_add_i32 s5, s4, s5
	s_mul_i32 s4, s12, s16
	v_mov_b32_e32 v6, v8
	s_lshl_b64 s[4:5], s[4:5], 3
	s_add_u32 s28, s28, s4
	v_lshlrev_b64 v[31:32], 3, v[5:6]
	s_addc_u32 s29, s29, s5
	v_mov_b32_e32 v6, s29
	v_add_co_u32_e32 v5, vcc, s28, v31
	v_addc_co_u32_e32 v6, vcc, v6, v32, vcc
	flat_load_dwordx2 v[35:36], v[5:6]
	v_or_b32_e32 v8, 16, v15
	v_mad_u64_u32 v[5:6], s[8:9], s12, v8, 0
	s_mul_i32 s4, s10, s17
	s_mul_hi_u32 s5, s10, s16
	v_mad_u64_u32 v[8:9], s[8:9], s13, v8, v[6:7]
	v_mad_u64_u32 v[9:10], s[8:9], s10, v0, 0
	s_add_i32 s4, s5, s4
	s_mul_i32 s5, s11, s16
	s_add_i32 s5, s4, s5
	s_mul_i32 s4, s10, s16
	s_lshl_b64 s[4:5], s[4:5], 3
	s_add_u32 s14, s7, s4
	v_mov_b32_e32 v6, v8
	v_mov_b32_e32 v8, v10
	s_addc_u32 s15, s18, s5
	v_mad_u64_u32 v[10:11], s[4:5], s11, v0, v[8:9]
	v_mov_b32_e32 v8, 0x2000
	v_mov_b32_e32 v21, 0
	v_lshlrev_b64 v[33:34], 3, v[5:6]
	v_lshlrev_b64 v[19:20], 3, v[9:10]
	v_lshl_add_u32 v47, v7, 3, v8
	v_lshlrev_b32_e32 v16, 3, v0
	v_mov_b32_e32 v22, 0
	s_cmp_eq_u32 s27, 1
	v_add_u32_e32 v46, v12, v45
	s_cbranch_scc1 .LBB158_35
; %bb.24:
	v_mov_b32_e32 v27, 0
	v_mov_b32_e32 v24, s15
	;; [unrolled: 1-line block ×5, first 2 shown]
	s_lshl_b64 s[4:5], s[12:13], 8
	s_lshl_b64 s[8:9], s[10:11], 8
	s_add_i32 s27, s27, -2
	v_mov_b32_e32 v28, 0
	s_mov_b32 s30, 0
	v_mov_b32_e32 v23, s14
	s_lshl_b64 s[12:13], s[20:21], 3
	v_mov_b32_e32 v30, 0
	v_mov_b32_e32 v26, 0
	;; [unrolled: 1-line block ×3, first 2 shown]
	v_add_u32_e32 v48, 0x800, v16
.LBB158_25:                             ; =>This Loop Header: Depth=1
                                        ;     Child Loop BB158_31 Depth 2
	v_mov_b32_e32 v6, s29
	v_add_co_u32_e32 v5, vcc, s28, v33
	v_addc_co_u32_e32 v6, vcc, v6, v34, vcc
	flat_load_dwordx2 v[39:40], v[5:6]
	s_and_saveexec_b64 s[14:15], s[2:3]
	s_cbranch_execz .LBB158_27
; %bb.26:                               ;   in Loop: Header=BB158_25 Depth=1
	v_mov_b32_e32 v6, s26
	v_add_co_u32_e32 v5, vcc, s19, v17
	v_addc_co_u32_e32 v6, vcc, v6, v18, vcc
	v_mov_b32_e32 v8, s13
	v_add_co_u32_e32 v7, vcc, s12, v5
	v_addc_co_u32_e32 v8, vcc, v6, v8, vcc
	flat_load_dwordx2 v[25:26], v[5:6] offset:128
	flat_load_dwordx2 v[21:22], v[7:8] offset:128
.LBB158_27:                             ;   in Loop: Header=BB158_25 Depth=1
	s_or_b64 exec, exec, s[14:15]
	ds_read_b128 v[9:12], v47
	s_waitcnt vmcnt(0)
	v_mov_b32_e32 v8, v4
	v_mov_b32_e32 v7, v3
	;; [unrolled: 1-line block ×4, first 2 shown]
	s_and_saveexec_b64 s[14:15], s[2:3]
	s_cbranch_execz .LBB158_29
; %bb.28:                               ;   in Loop: Header=BB158_25 Depth=1
	v_mov_b32_e32 v5, s26
	v_add_co_u32_e32 v37, vcc, s19, v17
	v_addc_co_u32_e32 v38, vcc, v5, v18, vcc
	v_mov_b32_e32 v5, s13
	v_add_co_u32_e32 v41, vcc, s12, v37
	v_addc_co_u32_e32 v42, vcc, v38, v5, vcc
	flat_load_dwordx2 v[5:6], v[37:38] offset:256
	flat_load_dwordx2 v[7:8], v[41:42] offset:256
.LBB158_29:                             ;   in Loop: Header=BB158_25 Depth=1
	s_or_b64 exec, exec, s[14:15]
	s_add_u32 s28, s28, s4
	s_addc_u32 s29, s29, s5
	v_mov_b32_e32 v38, s29
	v_add_co_u32_e32 v37, vcc, s28, v31
	v_addc_co_u32_e32 v38, vcc, v38, v32, vcc
	flat_load_dwordx2 v[37:38], v[37:38]
	s_waitcnt lgkmcnt(0)
	v_fma_f64 v[41:42], v[1:2], v[9:10], 0
	v_fma_f64 v[9:10], v[25:26], v[9:10], 0
	s_waitcnt vmcnt(0)
	s_barrier
	v_fma_f64 v[41:42], v[3:4], v[11:12], v[41:42]
	v_fma_f64 v[9:10], v[21:22], v[11:12], v[9:10]
	ds_write2_b64 v46, v[41:42], v[9:10] offset1:16
	s_waitcnt lgkmcnt(0)
	s_barrier
	s_and_saveexec_b64 s[14:15], s[0:1]
	s_cbranch_execz .LBB158_33
; %bb.30:                               ;   in Loop: Header=BB158_25 Depth=1
	ds_read2_b64 v[9:12], v16 offset1:32
	ds_read2_b64 v[49:52], v48 offset1:32
	s_mov_b64 s[16:17], 0
	s_waitcnt lgkmcnt(1)
	v_add_f64 v[9:10], v[9:10], 0
	v_add_f64 v[41:42], v[9:10], v[11:12]
	ds_read2_b64 v[9:12], v16 offset0:64 offset1:96
	s_waitcnt lgkmcnt(0)
	v_add_f64 v[9:10], v[41:42], v[9:10]
	v_add_f64 v[41:42], v[9:10], v[11:12]
	ds_read2_b64 v[9:12], v16 offset0:128 offset1:160
	;; [unrolled: 4-line block ×3, first 2 shown]
	s_waitcnt lgkmcnt(0)
	v_add_f64 v[9:10], v[41:42], v[9:10]
	v_add_co_u32_e32 v41, vcc, v23, v19
	v_addc_co_u32_e32 v42, vcc, v24, v20, vcc
	v_add_f64 v[9:10], v[9:10], v[11:12]
	flat_load_dwordx2 v[11:12], v[41:42]
	v_add_f64 v[9:10], v[9:10], v[49:50]
	v_add_f64 v[9:10], v[9:10], v[51:52]
	ds_read2_b64 v[49:52], v48 offset0:64 offset1:96
	s_waitcnt lgkmcnt(0)
	v_add_f64 v[9:10], v[9:10], v[49:50]
	v_add_f64 v[9:10], v[9:10], v[51:52]
	ds_read2_b64 v[49:52], v48 offset0:128 offset1:160
	s_waitcnt lgkmcnt(0)
	;; [unrolled: 4-line block ×3, first 2 shown]
	v_add_f64 v[9:10], v[9:10], v[49:50]
	v_add_f64 v[9:10], v[9:10], v[51:52]
	v_mul_f64 v[43:44], v[13:14], v[9:10]
.LBB158_31:                             ;   Parent Loop BB158_25 Depth=1
                                        ; =>  This Inner Loop Header: Depth=2
	s_waitcnt vmcnt(0)
	v_add_f64 v[9:10], v[11:12], v[43:44]
	flat_atomic_cmpswap_x2 v[9:10], v[41:42], v[9:12] glc
	s_waitcnt vmcnt(0) lgkmcnt(0)
	v_cmp_eq_u64_e32 vcc, v[9:10], v[11:12]
	v_mov_b32_e32 v12, v10
	s_or_b64 s[16:17], vcc, s[16:17]
	v_mov_b32_e32 v11, v9
	s_andn2_b64 exec, exec, s[16:17]
	s_cbranch_execnz .LBB158_31
; %bb.32:                               ;   in Loop: Header=BB158_25 Depth=1
	s_or_b64 exec, exec, s[16:17]
	v_mov_b32_e32 v9, s9
	v_add_co_u32_e32 v23, vcc, s8, v23
	v_addc_co_u32_e32 v24, vcc, v24, v9, vcc
.LBB158_33:                             ;   in Loop: Header=BB158_25 Depth=1
	s_or_b64 exec, exec, s[14:15]
	v_fma_f64 v[1:2], v[35:36], v[1:2], v[27:28]
	v_fma_f64 v[3:4], v[35:36], v[3:4], v[29:30]
	s_add_u32 s19, s19, 0x100
	s_addc_u32 s26, s26, 0
	s_add_i32 s14, s30, 1
	s_cmp_eq_u32 s30, s27
	v_fma_f64 v[27:28], v[39:40], v[25:26], v[1:2]
	v_fma_f64 v[29:30], v[39:40], v[21:22], v[3:4]
	s_cbranch_scc1 .LBB158_36
; %bb.34:                               ;   in Loop: Header=BB158_25 Depth=1
	v_mov_b32_e32 v35, v37
	v_mov_b32_e32 v1, v5
	s_mov_b32 s30, s14
	v_mov_b32_e32 v36, v38
	v_mov_b32_e32 v2, v6
	;; [unrolled: 1-line block ×4, first 2 shown]
	s_branch .LBB158_25
.LBB158_35:
	v_mov_b32_e32 v24, s15
	v_mov_b32_e32 v25, 0
	;; [unrolled: 1-line block ×4, first 2 shown]
	s_waitcnt vmcnt(0)
	v_mov_b32_e32 v8, v4
	s_waitcnt lgkmcnt(0)
	v_mov_b32_e32 v38, v36
	v_mov_b32_e32 v23, s14
	;; [unrolled: 1-line block ×9, first 2 shown]
.LBB158_36:
	v_mov_b32_e32 v2, s29
	v_add_co_u32_e32 v1, vcc, s28, v33
	v_addc_co_u32_e32 v2, vcc, v2, v34, vcc
	flat_load_dwordx2 v[9:10], v[1:2]
	s_and_saveexec_b64 s[4:5], s[2:3]
	s_cbranch_execz .LBB158_38
; %bb.37:
	v_mov_b32_e32 v2, s26
	v_add_co_u32_e32 v1, vcc, s19, v17
	v_addc_co_u32_e32 v2, vcc, v2, v18, vcc
	s_lshl_b64 s[2:3], s[20:21], 3
	v_mov_b32_e32 v4, s3
	v_add_co_u32_e32 v3, vcc, s2, v1
	v_addc_co_u32_e32 v4, vcc, v2, v4, vcc
	flat_load_dwordx2 v[25:26], v[1:2] offset:128
	flat_load_dwordx2 v[21:22], v[3:4] offset:128
.LBB158_38:
	s_or_b64 exec, exec, s[4:5]
	ds_read_b128 v[1:4], v47
	s_mov_b64 s[2:3], 0
	s_waitcnt vmcnt(0) lgkmcnt(0)
	s_barrier
	v_fma_f64 v[11:12], v[5:6], v[1:2], 0
	v_fma_f64 v[1:2], v[25:26], v[1:2], 0
	;; [unrolled: 1-line block ×6, first 2 shown]
	ds_write2_b64 v46, v[11:12], v[1:2] offset1:16
	s_waitcnt lgkmcnt(0)
	s_barrier
	s_and_saveexec_b64 s[4:5], s[0:1]
	s_cbranch_execz .LBB158_41
; %bb.39:
	ds_read2_b64 v[1:4], v16 offset1:32
	s_waitcnt lgkmcnt(0)
	v_add_f64 v[1:2], v[1:2], 0
	v_add_f64 v[11:12], v[1:2], v[3:4]
	ds_read2_b64 v[1:4], v16 offset0:64 offset1:96
	s_waitcnt lgkmcnt(0)
	v_add_f64 v[1:2], v[11:12], v[1:2]
	v_add_f64 v[11:12], v[1:2], v[3:4]
	ds_read2_b64 v[1:4], v16 offset0:128 offset1:160
	;; [unrolled: 4-line block ×3, first 2 shown]
	s_waitcnt lgkmcnt(0)
	v_add_f64 v[1:2], v[11:12], v[1:2]
	v_add_co_u32_e32 v11, vcc, v23, v19
	v_addc_co_u32_e32 v12, vcc, v24, v20, vcc
	v_add_u32_e32 v20, 0x800, v16
	ds_read2_b64 v[16:19], v20 offset1:32
	v_add_f64 v[1:2], v[1:2], v[3:4]
	flat_load_dwordx2 v[3:4], v[11:12]
	s_waitcnt lgkmcnt(0)
	v_add_f64 v[1:2], v[1:2], v[16:17]
	v_add_f64 v[1:2], v[1:2], v[18:19]
	ds_read2_b64 v[16:19], v20 offset0:64 offset1:96
	s_waitcnt lgkmcnt(0)
	v_add_f64 v[1:2], v[1:2], v[16:17]
	v_add_f64 v[1:2], v[1:2], v[18:19]
	ds_read2_b64 v[16:19], v20 offset0:128 offset1:160
	;; [unrolled: 4-line block ×3, first 2 shown]
	s_waitcnt lgkmcnt(0)
	v_add_f64 v[1:2], v[1:2], v[16:17]
	v_add_f64 v[1:2], v[1:2], v[18:19]
	v_mul_f64 v[16:17], v[13:14], v[1:2]
.LBB158_40:                             ; =>This Inner Loop Header: Depth=1
	s_waitcnt vmcnt(0)
	v_add_f64 v[1:2], v[3:4], v[16:17]
	flat_atomic_cmpswap_x2 v[1:2], v[11:12], v[1:4] glc
	s_waitcnt vmcnt(0) lgkmcnt(0)
	v_cmp_eq_u64_e32 vcc, v[1:2], v[3:4]
	v_mov_b32_e32 v4, v2
	s_or_b64 s[2:3], vcc, s[2:3]
	v_mov_b32_e32 v3, v1
	s_andn2_b64 exec, exec, s[2:3]
	s_cbranch_execnz .LBB158_40
.LBB158_41:
	s_or_b64 exec, exec, s[4:5]
	v_fma_f64 v[11:12], v[9:10], v[25:26], v[5:6]
	v_fma_f64 v[5:6], v[9:10], v[21:22], v[7:8]
	v_mov_b32_e32 v8, v45
.LBB158_42:
	s_waitcnt vmcnt(0)
	v_lshl_add_u32 v1, v15, 3, v8
	v_add_u32_e32 v1, 0x1000, v1
	ds_write2_b64 v1, v[11:12], v[5:6] offset1:16
	s_waitcnt lgkmcnt(0)
	s_barrier
	s_and_b64 exec, exec, s[0:1]
	s_cbranch_execz .LBB158_46
; %bb.43:
	s_cmp_lt_u32 s6, s25
	v_cmp_gt_i32_e32 vcc, s24, v0
	s_cselect_b64 s[0:1], -1, 0
	s_or_b64 s[0:1], vcc, s[0:1]
	s_and_b64 exec, exec, s[0:1]
	s_cbranch_execz .LBB158_46
; %bb.44:
	v_mov_b32_e32 v1, 0x1000
	v_lshl_add_u32 v12, v0, 7, v1
	v_lshl_or_b32 v1, v15, 3, v12
	ds_read_b64 v[1:2], v1
	v_add_u32_e32 v4, 2, v0
	v_and_b32_e32 v4, 15, v4
	v_add_u32_e32 v3, 1, v0
	v_lshl_or_b32 v5, v4, 3, v12
	s_waitcnt lgkmcnt(0)
	v_add_f64 v[1:2], v[1:2], 0
	v_add_u32_e32 v4, 3, v0
	v_and_b32_e32 v3, 15, v3
	v_and_b32_e32 v4, 15, v4
	v_lshl_or_b32 v3, v3, 3, v12
	v_lshl_or_b32 v7, v4, 3, v12
	ds_read_b64 v[3:4], v3
	ds_read_b64 v[5:6], v5
	;; [unrolled: 1-line block ×3, first 2 shown]
	v_xor_b32_e32 v11, 8, v15
	v_add_u32_e32 v15, 9, v0
	s_waitcnt lgkmcnt(2)
	v_add_f64 v[1:2], v[1:2], v[3:4]
	v_add_u32_e32 v3, 4, v0
	v_add_u32_e32 v4, 5, v0
	v_and_b32_e32 v3, 15, v3
	v_and_b32_e32 v4, 15, v4
	v_lshl_or_b32 v3, v3, 3, v12
	v_add_u32_e32 v16, 10, v0
	v_and_b32_e32 v15, 15, v15
	s_waitcnt lgkmcnt(1)
	v_add_f64 v[1:2], v[1:2], v[5:6]
	v_add_u32_e32 v5, 6, v0
	v_add_u32_e32 v6, 7, v0
	v_and_b32_e32 v5, 15, v5
	v_and_b32_e32 v6, 15, v6
	v_lshl_or_b32 v9, v6, 3, v12
	s_mul_i32 s1, s10, s23
	s_mul_hi_u32 s4, s10, s22
	s_waitcnt lgkmcnt(0)
	v_add_f64 v[1:2], v[1:2], v[7:8]
	v_lshl_or_b32 v7, v4, 3, v12
	ds_read_b64 v[3:4], v3
	v_lshl_or_b32 v8, v5, 3, v12
	ds_read_b64 v[5:6], v7
	ds_read_b64 v[7:8], v8
	;; [unrolled: 1-line block ×3, first 2 shown]
	s_mul_i32 s5, s11, s22
	s_add_i32 s1, s4, s1
	s_mul_i32 s0, s10, s22
	s_waitcnt lgkmcnt(3)
	v_add_f64 v[1:2], v[1:2], v[3:4]
	v_mad_u64_u32 v[3:4], s[2:3], s10, v0, 0
	s_add_i32 s1, s1, s5
	s_lshl_b64 s[0:1], s[0:1], 3
	s_add_u32 s0, s7, s0
	s_addc_u32 s1, s18, s1
	s_waitcnt lgkmcnt(2)
	v_add_f64 v[1:2], v[1:2], v[5:6]
	v_and_b32_e32 v5, 15, v16
	v_lshl_or_b32 v6, v11, 3, v12
	v_lshl_or_b32 v11, v15, 3, v12
	v_lshl_or_b32 v15, v5, 3, v12
	v_mad_u64_u32 v[4:5], s[2:3], s11, v0, v[4:5]
	s_waitcnt lgkmcnt(1)
	v_add_f64 v[1:2], v[1:2], v[7:8]
	v_lshlrev_b64 v[4:5], 3, v[3:4]
	ds_read_b64 v[6:7], v6
	v_add_co_u32_e32 v4, vcc, s0, v4
	s_waitcnt lgkmcnt(1)
	v_add_f64 v[8:9], v[1:2], v[9:10]
	v_mov_b32_e32 v1, s1
	v_addc_co_u32_e32 v5, vcc, v1, v5, vcc
	flat_load_dwordx2 v[2:3], v[4:5]
	v_add_u32_e32 v1, 11, v0
	v_and_b32_e32 v1, 15, v1
	v_lshl_or_b32 v1, v1, 3, v12
	s_waitcnt lgkmcnt(0)
	v_add_f64 v[6:7], v[8:9], v[6:7]
	ds_read_b64 v[10:11], v11
	ds_read_b64 v[15:16], v15
	;; [unrolled: 1-line block ×3, first 2 shown]
	v_add_u32_e32 v1, 12, v0
	v_add_u32_e32 v8, 13, v0
	v_and_b32_e32 v1, 15, v1
	v_and_b32_e32 v8, 15, v8
	v_lshl_or_b32 v1, v1, 3, v12
	s_mov_b64 s[0:1], 0
	s_waitcnt lgkmcnt(0)
	v_add_f64 v[6:7], v[6:7], v[10:11]
	v_lshl_or_b32 v11, v8, 3, v12
	ds_read_b64 v[8:9], v1
	v_add_u32_e32 v10, 14, v0
	v_and_b32_e32 v1, 15, v10
	v_add_u32_e32 v0, -1, v0
	v_lshl_or_b32 v10, v1, 3, v12
	v_and_b32_e32 v0, 15, v0
	v_add_f64 v[6:7], v[6:7], v[15:16]
	v_lshl_or_b32 v12, v0, 3, v12
	ds_read_b64 v[0:1], v11
	ds_read_b64 v[10:11], v10
	;; [unrolled: 1-line block ×3, first 2 shown]
	v_add_f64 v[6:7], v[6:7], v[17:18]
	s_waitcnt lgkmcnt(0)
	v_add_f64 v[6:7], v[6:7], v[8:9]
	v_add_f64 v[0:1], v[6:7], v[0:1]
	;; [unrolled: 1-line block ×4, first 2 shown]
	v_mul_f64 v[6:7], v[13:14], v[0:1]
.LBB158_45:                             ; =>This Inner Loop Header: Depth=1
	s_waitcnt vmcnt(0)
	v_add_f64 v[0:1], v[2:3], v[6:7]
	flat_atomic_cmpswap_x2 v[0:1], v[4:5], v[0:3] glc
	s_waitcnt vmcnt(0) lgkmcnt(0)
	v_cmp_eq_u64_e32 vcc, v[0:1], v[2:3]
	v_mov_b32_e32 v3, v1
	s_or_b64 s[0:1], vcc, s[0:1]
	v_mov_b32_e32 v2, v0
	s_andn2_b64 exec, exec, s[0:1]
	s_cbranch_execnz .LBB158_45
.LBB158_46:
	s_endpgm
	.section	.rodata,"a",@progbits
	.p2align	6, 0x0
	.amdhsa_kernel _ZL62rocblas_symv_kernel_upper_double_buffered_non_diagonal_genericILi32ELi8ELi2ELi0E24rocblas_internal_val_ptrIdEPKPKdPKPdEvbiT3_lT4_lllSA_lllT5_lllii
		.amdhsa_group_segment_fixed_size 8448
		.amdhsa_private_segment_fixed_size 0
		.amdhsa_kernarg_size 384
		.amdhsa_user_sgpr_count 6
		.amdhsa_user_sgpr_private_segment_buffer 1
		.amdhsa_user_sgpr_dispatch_ptr 0
		.amdhsa_user_sgpr_queue_ptr 0
		.amdhsa_user_sgpr_kernarg_segment_ptr 1
		.amdhsa_user_sgpr_dispatch_id 0
		.amdhsa_user_sgpr_flat_scratch_init 0
		.amdhsa_user_sgpr_private_segment_size 0
		.amdhsa_uses_dynamic_stack 0
		.amdhsa_system_sgpr_private_segment_wavefront_offset 0
		.amdhsa_system_sgpr_workgroup_id_x 1
		.amdhsa_system_sgpr_workgroup_id_y 1
		.amdhsa_system_sgpr_workgroup_id_z 1
		.amdhsa_system_sgpr_workgroup_info 0
		.amdhsa_system_vgpr_workitem_id 1
		.amdhsa_next_free_vgpr 53
		.amdhsa_next_free_sgpr 77
		.amdhsa_reserve_vcc 1
		.amdhsa_reserve_flat_scratch 0
		.amdhsa_float_round_mode_32 0
		.amdhsa_float_round_mode_16_64 0
		.amdhsa_float_denorm_mode_32 3
		.amdhsa_float_denorm_mode_16_64 3
		.amdhsa_dx10_clamp 1
		.amdhsa_ieee_mode 1
		.amdhsa_fp16_overflow 0
		.amdhsa_exception_fp_ieee_invalid_op 0
		.amdhsa_exception_fp_denorm_src 0
		.amdhsa_exception_fp_ieee_div_zero 0
		.amdhsa_exception_fp_ieee_overflow 0
		.amdhsa_exception_fp_ieee_underflow 0
		.amdhsa_exception_fp_ieee_inexact 0
		.amdhsa_exception_int_div_zero 0
	.end_amdhsa_kernel
	.section	.text._ZL62rocblas_symv_kernel_upper_double_buffered_non_diagonal_genericILi32ELi8ELi2ELi0E24rocblas_internal_val_ptrIdEPKPKdPKPdEvbiT3_lT4_lllSA_lllT5_lllii,"axG",@progbits,_ZL62rocblas_symv_kernel_upper_double_buffered_non_diagonal_genericILi32ELi8ELi2ELi0E24rocblas_internal_val_ptrIdEPKPKdPKPdEvbiT3_lT4_lllSA_lllT5_lllii,comdat
.Lfunc_end158:
	.size	_ZL62rocblas_symv_kernel_upper_double_buffered_non_diagonal_genericILi32ELi8ELi2ELi0E24rocblas_internal_val_ptrIdEPKPKdPKPdEvbiT3_lT4_lllSA_lllT5_lllii, .Lfunc_end158-_ZL62rocblas_symv_kernel_upper_double_buffered_non_diagonal_genericILi32ELi8ELi2ELi0E24rocblas_internal_val_ptrIdEPKPKdPKPdEvbiT3_lT4_lllSA_lllT5_lllii
                                        ; -- End function
	.set _ZL62rocblas_symv_kernel_upper_double_buffered_non_diagonal_genericILi32ELi8ELi2ELi0E24rocblas_internal_val_ptrIdEPKPKdPKPdEvbiT3_lT4_lllSA_lllT5_lllii.num_vgpr, 53
	.set _ZL62rocblas_symv_kernel_upper_double_buffered_non_diagonal_genericILi32ELi8ELi2ELi0E24rocblas_internal_val_ptrIdEPKPKdPKPdEvbiT3_lT4_lllSA_lllT5_lllii.num_agpr, 0
	.set _ZL62rocblas_symv_kernel_upper_double_buffered_non_diagonal_genericILi32ELi8ELi2ELi0E24rocblas_internal_val_ptrIdEPKPKdPKPdEvbiT3_lT4_lllSA_lllT5_lllii.numbered_sgpr, 36
	.set _ZL62rocblas_symv_kernel_upper_double_buffered_non_diagonal_genericILi32ELi8ELi2ELi0E24rocblas_internal_val_ptrIdEPKPKdPKPdEvbiT3_lT4_lllSA_lllT5_lllii.num_named_barrier, 0
	.set _ZL62rocblas_symv_kernel_upper_double_buffered_non_diagonal_genericILi32ELi8ELi2ELi0E24rocblas_internal_val_ptrIdEPKPKdPKPdEvbiT3_lT4_lllSA_lllT5_lllii.private_seg_size, 0
	.set _ZL62rocblas_symv_kernel_upper_double_buffered_non_diagonal_genericILi32ELi8ELi2ELi0E24rocblas_internal_val_ptrIdEPKPKdPKPdEvbiT3_lT4_lllSA_lllT5_lllii.uses_vcc, 1
	.set _ZL62rocblas_symv_kernel_upper_double_buffered_non_diagonal_genericILi32ELi8ELi2ELi0E24rocblas_internal_val_ptrIdEPKPKdPKPdEvbiT3_lT4_lllSA_lllT5_lllii.uses_flat_scratch, 0
	.set _ZL62rocblas_symv_kernel_upper_double_buffered_non_diagonal_genericILi32ELi8ELi2ELi0E24rocblas_internal_val_ptrIdEPKPKdPKPdEvbiT3_lT4_lllSA_lllT5_lllii.has_dyn_sized_stack, 0
	.set _ZL62rocblas_symv_kernel_upper_double_buffered_non_diagonal_genericILi32ELi8ELi2ELi0E24rocblas_internal_val_ptrIdEPKPKdPKPdEvbiT3_lT4_lllSA_lllT5_lllii.has_recursion, 0
	.set _ZL62rocblas_symv_kernel_upper_double_buffered_non_diagonal_genericILi32ELi8ELi2ELi0E24rocblas_internal_val_ptrIdEPKPKdPKPdEvbiT3_lT4_lllSA_lllT5_lllii.has_indirect_call, 0
	.section	.AMDGPU.csdata,"",@progbits
; Kernel info:
; codeLenInByte = 3272
; TotalNumSgprs: 40
; NumVgprs: 53
; ScratchSize: 0
; MemoryBound: 1
; FloatMode: 240
; IeeeMode: 1
; LDSByteSize: 8448 bytes/workgroup (compile time only)
; SGPRBlocks: 10
; VGPRBlocks: 13
; NumSGPRsForWavesPerEU: 81
; NumVGPRsForWavesPerEU: 53
; Occupancy: 4
; WaveLimiterHint : 1
; COMPUTE_PGM_RSRC2:SCRATCH_EN: 0
; COMPUTE_PGM_RSRC2:USER_SGPR: 6
; COMPUTE_PGM_RSRC2:TRAP_HANDLER: 0
; COMPUTE_PGM_RSRC2:TGID_X_EN: 1
; COMPUTE_PGM_RSRC2:TGID_Y_EN: 1
; COMPUTE_PGM_RSRC2:TGID_Z_EN: 1
; COMPUTE_PGM_RSRC2:TIDIG_COMP_CNT: 1
	.section	.text._ZL62rocblas_symv_kernel_upper_double_buffered_non_diagonal_genericILi32ELi8ELi2ELi1E24rocblas_internal_val_ptrIdEPKPKdPKPdEvbiT3_lT4_lllSA_lllT5_lllii,"axG",@progbits,_ZL62rocblas_symv_kernel_upper_double_buffered_non_diagonal_genericILi32ELi8ELi2ELi1E24rocblas_internal_val_ptrIdEPKPKdPKPdEvbiT3_lT4_lllSA_lllT5_lllii,comdat
	.globl	_ZL62rocblas_symv_kernel_upper_double_buffered_non_diagonal_genericILi32ELi8ELi2ELi1E24rocblas_internal_val_ptrIdEPKPKdPKPdEvbiT3_lT4_lllSA_lllT5_lllii ; -- Begin function _ZL62rocblas_symv_kernel_upper_double_buffered_non_diagonal_genericILi32ELi8ELi2ELi1E24rocblas_internal_val_ptrIdEPKPKdPKPdEvbiT3_lT4_lllSA_lllT5_lllii
	.p2align	8
	.type	_ZL62rocblas_symv_kernel_upper_double_buffered_non_diagonal_genericILi32ELi8ELi2ELi1E24rocblas_internal_val_ptrIdEPKPKdPKPdEvbiT3_lT4_lllSA_lllT5_lllii,@function
_ZL62rocblas_symv_kernel_upper_double_buffered_non_diagonal_genericILi32ELi8ELi2ELi1E24rocblas_internal_val_ptrIdEPKPKdPKPdEvbiT3_lT4_lllSA_lllT5_lllii: ; @_ZL62rocblas_symv_kernel_upper_double_buffered_non_diagonal_genericILi32ELi8ELi2ELi1E24rocblas_internal_val_ptrIdEPKPKdPKPdEvbiT3_lT4_lllSA_lllT5_lllii
; %bb.0:
	s_load_dword s0, s[4:5], 0x0
	s_load_dwordx8 s[12:19], s[4:5], 0x8
	s_load_dwordx2 s[20:21], s[4:5], 0x28
	s_waitcnt lgkmcnt(0)
	s_bitcmp1_b32 s0, 0
	s_cselect_b64 s[0:1], -1, 0
	v_mov_b32_e32 v14, s13
	s_and_b64 vcc, exec, s[0:1]
	v_mov_b32_e32 v13, s12
	s_cbranch_vccnz .LBB159_2
; %bb.1:
	s_mul_i32 s0, s15, s8
	s_mul_hi_u32 s1, s14, s8
	s_add_i32 s1, s1, s0
	s_mul_i32 s0, s14, s8
	s_lshl_b64 s[0:1], s[0:1], 3
	s_add_u32 s0, s12, s0
	s_addc_u32 s1, s13, s1
	v_mov_b32_e32 v3, s1
	v_mov_b32_e32 v2, s0
	flat_load_dwordx2 v[13:14], v[2:3]
.LBB159_2:
	s_waitcnt vmcnt(0) lgkmcnt(0)
	v_cmp_neq_f64_e32 vcc, 0, v[13:14]
	s_and_saveexec_b64 s[0:1], vcc
	s_cbranch_execz .LBB159_78
; %bb.3:
	s_load_dword s10, s[4:5], 0x84
	s_add_u32 s22, s4, 0x80
	s_addc_u32 s23, s5, 0
	s_mov_b32 s9, 0
	s_cmp_eq_u32 s6, 0
	s_waitcnt lgkmcnt(0)
	v_cvt_f32_u32_e32 v2, s10
	v_rcp_iflag_f32_e32 v2, v2
	v_mul_f32_e32 v2, 0x4f7ffffe, v2
	v_cvt_u32_f32_e32 v2, v2
	v_readfirstlane_b32 s0, v2
	s_cbranch_scc1 .LBB159_78
; %bb.4:
	s_sub_i32 s1, 0, s10
	s_mul_i32 s1, s1, s0
	s_mul_hi_u32 s1, s0, s1
	s_add_i32 s11, s0, s1
	s_load_dwordx2 s[12:13], s[4:5], 0x58
	s_load_dwordx4 s[0:3], s[4:5], 0x38
	s_lshl_b64 s[14:15], s[8:9], 3
	s_add_u32 s8, s16, s14
	s_addc_u32 s9, s17, s15
	s_mul_hi_u32 s11, s6, s11
	s_waitcnt lgkmcnt(0)
	s_add_u32 s0, s0, s14
	s_addc_u32 s1, s1, s15
	s_add_u32 s16, s12, s14
	s_mul_i32 s12, s11, s10
	s_addc_u32 s17, s13, s15
	s_sub_i32 s12, s6, s12
	s_add_i32 s13, s11, 1
	s_sub_i32 s14, s12, s10
	s_cmp_ge_u32 s12, s10
	s_cselect_b32 s11, s13, s11
	s_cselect_b32 s12, s14, s12
	s_add_i32 s13, s11, 1
	s_cmp_ge_u32 s12, s10
	s_cselect_b32 s28, s13, s11
	s_add_i32 s11, s10, -1
	s_cmp_lg_u32 s7, s11
	s_mov_b32 s34, s28
	s_cbranch_scc1 .LBB159_6
; %bb.5:
	s_mul_i32 s10, s28, s10
	s_sub_i32 s10, s6, s10
	s_add_i32 s34, s10, s28
.LBB159_6:
	s_cmp_eq_u32 s34, 0
	s_cbranch_scc1 .LBB159_78
; %bb.7:
	s_load_dwordx2 s[24:25], s[0:1], 0x0
	s_load_dwordx2 s[12:13], s[4:5], 0x48
	;; [unrolled: 1-line block ×4, first 2 shown]
	s_lshl_b64 s[0:1], s[2:3], 3
	s_waitcnt lgkmcnt(0)
	s_add_u32 s31, s24, s0
	s_addc_u32 s33, s25, s1
	s_lshl_b32 s24, s6, 5
	s_ashr_i32 s25, s24, 31
	s_mul_i32 s0, s12, s25
	s_mul_hi_u32 s1, s12, s24
	s_load_dword s26, s[22:23], 0x0
	s_add_i32 s0, s1, s0
	s_mul_i32 s1, s13, s24
	s_add_i32 s1, s0, s1
	s_mul_i32 s0, s12, s24
	s_lshl_b64 s[0:1], s[0:1], 3
	s_add_u32 s22, s31, s0
	s_addc_u32 s23, s33, s1
	s_waitcnt lgkmcnt(0)
	s_add_i32 s26, s26, -1
	s_cmp_lg_u32 s6, s26
	s_cselect_b64 s[8:9], -1, 0
	v_lshl_add_u32 v2, v1, 5, v0
	v_cmp_eq_u32_e64 s[0:1], 0, v1
	s_mov_b64 s[2:3], -1
	s_and_b64 vcc, exec, s[8:9]
	s_cbranch_vccz .LBB159_11
; %bb.8:
	s_and_saveexec_b64 s[2:3], s[0:1]
	s_cbranch_execz .LBB159_10
; %bb.9:
	v_mad_u64_u32 v[3:4], s[16:17], s12, v0, 0
	v_mov_b32_e32 v1, v4
	v_mad_u64_u32 v[4:5], s[16:17], s13, v0, v[1:2]
	v_mov_b32_e32 v1, s23
	v_lshlrev_b64 v[3:4], 3, v[3:4]
	v_add_co_u32_e32 v3, vcc, s22, v3
	v_addc_co_u32_e32 v4, vcc, v1, v4, vcc
	flat_load_dwordx2 v[3:4], v[3:4]
	v_lshlrev_b32_e32 v1, 3, v0
	s_waitcnt vmcnt(0) lgkmcnt(0)
	ds_write_b64 v1, v[3:4] offset:8192
.LBB159_10:
	s_or_b64 exec, exec, s[2:3]
	s_mov_b64 s[2:3], 0
.LBB159_11:
	s_load_dword s27, s[4:5], 0x78
	v_and_b32_e32 v15, 15, v0
	s_andn2_b64 vcc, exec, s[2:3]
	v_lshrrev_b32_e32 v7, 4, v2
	s_cbranch_vccnz .LBB159_17
; %bb.12:
	s_and_saveexec_b64 s[2:3], s[0:1]
	s_cbranch_execz .LBB159_16
; %bb.13:
	v_mov_b32_e32 v1, 0
	v_mov_b32_e32 v2, 0
	s_waitcnt lgkmcnt(0)
	v_cmp_gt_i32_e32 vcc, s27, v0
	s_and_saveexec_b64 s[16:17], vcc
	s_cbranch_execz .LBB159_15
; %bb.14:
	v_mad_u64_u32 v[1:2], s[36:37], s12, v0, 0
	v_mad_u64_u32 v[2:3], s[36:37], s13, v0, v[2:3]
	v_mov_b32_e32 v3, s23
	v_lshlrev_b64 v[1:2], 3, v[1:2]
	v_add_co_u32_e32 v1, vcc, s22, v1
	v_addc_co_u32_e32 v2, vcc, v3, v2, vcc
	flat_load_dwordx2 v[1:2], v[1:2]
.LBB159_15:
	s_or_b64 exec, exec, s[16:17]
	v_lshlrev_b32_e32 v3, 3, v0
	s_waitcnt vmcnt(0) lgkmcnt(0)
	ds_write_b64 v3, v[1:2] offset:8192
.LBB159_16:
	s_or_b64 exec, exec, s[2:3]
	v_lshlrev_b32_e32 v1, 3, v15
	s_mov_b32 s2, 0
	v_lshl_or_b32 v3, v7, 8, v1
	s_mov_b32 s3, s2
	v_mov_b32_e32 v1, s2
	v_mov_b32_e32 v2, s3
	ds_write2_b64 v3, v[1:2], v[1:2] offset1:16
	v_add_u32_e32 v3, 0x1000, v3
	ds_write2_b64 v3, v[1:2], v[1:2] offset1:16
.LBB159_17:
	s_waitcnt lgkmcnt(0)
	s_lshr_b32 s2, s27, 31
	s_add_i32 s2, s27, s2
	s_ashr_i32 s22, s2, 1
	s_lshl_b64 s[2:3], s[18:19], 3
	s_add_u32 s10, s10, s2
	s_addc_u32 s11, s11, s3
	s_mul_i32 s2, s20, s25
	s_mul_hi_u32 s3, s20, s24
	s_add_i32 s2, s3, s2
	s_mul_i32 s3, s21, s24
	s_add_i32 s3, s2, s3
	s_mul_i32 s2, s20, s24
	s_lshl_b64 s[2:3], s[2:3], 3
	s_add_u32 s10, s10, s2
	s_mul_i32 s7, s7, s28
	s_addc_u32 s11, s11, s3
	s_lshl_b32 s16, s7, 5
	s_ashr_i32 s17, s16, 31
	s_lshl_b64 s[2:3], s[16:17], 3
	s_add_u32 s29, s10, s2
	v_lshlrev_b32_e32 v8, 1, v7
	v_mov_b32_e32 v16, 0
	s_addc_u32 s30, s11, s3
	v_mad_u64_u32 v[16:17], s[2:3], s20, v8, v[15:16]
	s_andn2_b64 vcc, exec, s[8:9]
	v_mov_b32_e32 v1, v17
	v_mad_u64_u32 v[1:2], s[2:3], s21, v8, v[1:2]
	v_cndmask_b32_e64 v2, 0, 1, s[8:9]
	v_cmp_ne_u32_e64 s[2:3], 1, v2
	v_mov_b32_e32 v17, v1
	s_barrier
	s_cbranch_vccnz .LBB159_19
; %bb.18:
	v_lshlrev_b64 v[1:2], 3, v[16:17]
	v_mov_b32_e32 v3, s30
	v_add_co_u32_e32 v5, vcc, s29, v1
	v_addc_co_u32_e32 v6, vcc, v3, v2, vcc
	s_lshl_b64 s[8:9], s[20:21], 3
	v_mov_b32_e32 v1, s9
	v_add_co_u32_e32 v9, vcc, s8, v5
	v_addc_co_u32_e32 v10, vcc, v6, v1, vcc
	flat_load_dwordx2 v[1:2], v[5:6]
	flat_load_dwordx2 v[3:4], v[9:10]
	v_cmp_le_i32_e64 s[8:9], s22, v7
	s_cbranch_execz .LBB159_20
	s_branch .LBB159_27
.LBB159_19:
                                        ; implicit-def: $vgpr1_vgpr2_vgpr3_vgpr4
	v_cmp_le_i32_e64 s[8:9], s22, v7
.LBB159_20:
                                        ; implicit-def: $vgpr1_vgpr2_vgpr3_vgpr4
	s_and_saveexec_b64 s[10:11], s[8:9]
	s_xor_b64 s[8:9], exec, s[10:11]
	s_cbranch_execz .LBB159_24
; %bb.21:
	s_waitcnt vmcnt(0) lgkmcnt(0)
	v_mov_b32_e32 v1, 0
	v_cmp_eq_u32_e32 vcc, s22, v7
	v_mov_b32_e32 v2, v1
	v_mov_b32_e32 v3, v1
	;; [unrolled: 1-line block ×3, first 2 shown]
	s_and_saveexec_b64 s[10:11], vcc
	s_cbranch_execz .LBB159_23
; %bb.22:
	v_lshlrev_b64 v[2:3], 3, v[16:17]
	v_mov_b32_e32 v4, s30
	v_add_co_u32_e32 v2, vcc, s29, v2
	v_addc_co_u32_e32 v3, vcc, v4, v3, vcc
	flat_load_dwordx2 v[2:3], v[2:3]
	v_mov_b32_e32 v4, v1
	v_mov_b32_e32 v5, v1
	s_waitcnt vmcnt(0) lgkmcnt(0)
	v_mov_b32_e32 v1, v2
	v_mov_b32_e32 v2, v3
	;; [unrolled: 1-line block ×4, first 2 shown]
.LBB159_23:
	s_or_b64 exec, exec, s[10:11]
.LBB159_24:
	s_andn2_saveexec_b64 s[8:9], s[8:9]
	s_cbranch_execz .LBB159_26
; %bb.25:
	s_waitcnt vmcnt(0) lgkmcnt(0)
	v_lshlrev_b64 v[1:2], 3, v[16:17]
	v_mov_b32_e32 v3, s30
	v_add_co_u32_e32 v5, vcc, s29, v1
	v_addc_co_u32_e32 v6, vcc, v3, v2, vcc
	s_lshl_b64 s[10:11], s[20:21], 3
	v_mov_b32_e32 v1, s11
	v_add_co_u32_e32 v9, vcc, s10, v5
	v_addc_co_u32_e32 v10, vcc, v6, v1, vcc
	flat_load_dwordx2 v[1:2], v[5:6]
	flat_load_dwordx2 v[3:4], v[9:10]
.LBB159_26:
	s_or_b64 exec, exec, s[8:9]
.LBB159_27:
	s_load_dwordx4 s[8:11], s[4:5], 0x60
	v_lshlrev_b32_e32 v46, 8, v7
	s_waitcnt lgkmcnt(0)
	s_lshl_b64 s[4:5], s[8:9], 3
	s_add_u32 s7, s14, s4
	s_addc_u32 s28, s15, s5
	s_cmp_gt_i32 s34, 0
	s_cbranch_scc1 .LBB159_29
; %bb.28:
	v_lshlrev_b32_e32 v9, 8, v7
	s_mov_b64 s[4:5], 0
	s_branch .LBB159_30
.LBB159_29:
	s_mov_b64 s[4:5], -1
                                        ; implicit-def: $vgpr9
.LBB159_30:
	v_mov_b32_e32 v5, 0
	v_mov_b32_e32 v11, 0
	;; [unrolled: 1-line block ×3, first 2 shown]
	s_andn2_b64 vcc, exec, s[4:5]
	v_mov_b32_e32 v12, 0
	s_cbranch_vccnz .LBB159_74
; %bb.31:
	v_mad_u64_u32 v[5:6], s[4:5], s12, v15, 0
	s_mul_i32 s8, s12, s17
	v_lshlrev_b32_e32 v22, 3, v15
	v_mad_u64_u32 v[9:10], s[4:5], s13, v15, v[6:7]
	s_mul_hi_u32 s4, s12, s16
	s_mul_i32 s5, s13, s16
	s_add_i32 s4, s4, s8
	s_add_i32 s5, s4, s5
	s_mul_i32 s4, s12, s16
	v_mov_b32_e32 v6, v9
	s_lshl_b64 s[4:5], s[4:5], 3
	s_add_u32 s31, s31, s4
	v_lshlrev_b64 v[26:27], 3, v[5:6]
	s_addc_u32 s33, s33, s5
	v_mov_b32_e32 v6, s33
	v_add_co_u32_e32 v5, vcc, s31, v26
	v_addc_co_u32_e32 v6, vcc, v6, v27, vcc
	flat_load_dwordx2 v[30:31], v[5:6]
	s_mul_i32 s4, s10, s17
	s_mul_hi_u32 s5, s10, s16
	v_or_b32_e32 v9, 16, v15
	s_add_i32 s4, s5, s4
	s_mul_i32 s5, s11, s16
	v_mad_u64_u32 v[5:6], s[8:9], s12, v9, 0
	s_add_i32 s5, s4, s5
	s_mul_i32 s4, s10, s16
	s_lshl_b64 s[4:5], s[4:5], 3
	s_add_u32 s16, s7, s4
	s_addc_u32 s17, s28, s5
	v_mad_u64_u32 v[9:10], s[4:5], s13, v9, v[6:7]
	v_mad_u64_u32 v[10:11], s[4:5], s10, v0, 0
	v_cmp_le_i32_e64 s[8:9], s22, v7
	v_cmp_eq_u32_e64 s[4:5], s22, v7
	v_mov_b32_e32 v7, v11
	v_mad_u64_u32 v[11:12], s[14:15], s11, v0, v[7:8]
	v_mov_b32_e32 v6, v9
	v_mov_b32_e32 v7, 0x2000
	;; [unrolled: 1-line block ×3, first 2 shown]
	v_lshlrev_b64 v[28:29], 3, v[5:6]
	v_lshlrev_b64 v[18:19], 3, v[10:11]
	v_lshl_add_u32 v49, v8, 3, v7
	v_lshlrev_b32_e32 v47, 3, v0
	v_mov_b32_e32 v33, 0
	s_cmp_eq_u32 s34, 1
	v_add_u32_e32 v48, v22, v46
	s_cbranch_scc1 .LBB159_59
; %bb.32:
	v_mov_b32_e32 v22, 0
	v_mov_b32_e32 v21, s17
	v_lshlrev_b64 v[36:37], 3, v[16:17]
	v_mov_b32_e32 v24, 0
	v_mov_b32_e32 v7, 0
	;; [unrolled: 1-line block ×3, first 2 shown]
	s_lshl_b64 s[12:13], s[12:13], 8
	s_lshl_b64 s[14:15], s[10:11], 8
	s_add_i32 s34, s34, -2
	v_mov_b32_e32 v23, 0
	s_mov_b32 s35, 0
	v_mov_b32_e32 v20, s16
	s_lshl_b64 s[16:17], s[20:21], 3
	v_mov_b32_e32 v25, 0
	v_mov_b32_e32 v8, 0
	;; [unrolled: 1-line block ×3, first 2 shown]
	v_add_u32_e32 v50, 0x800, v47
.LBB159_33:                             ; =>This Loop Header: Depth=1
                                        ;     Child Loop BB159_55 Depth 2
	v_mov_b32_e32 v10, s33
	v_add_co_u32_e32 v9, vcc, s31, v28
	v_addc_co_u32_e32 v10, vcc, v10, v29, vcc
	flat_load_dwordx2 v[38:39], v[9:10]
	s_and_b64 vcc, exec, s[2:3]
	s_mov_b64 s[18:19], -1
                                        ; implicit-def: $vgpr32_vgpr33
                                        ; implicit-def: $vgpr34_vgpr35
	s_cbranch_vccnz .LBB159_37
; %bb.34:                               ;   in Loop: Header=BB159_33 Depth=1
	v_mov_b32_e32 v10, s30
	v_add_co_u32_e32 v9, vcc, s29, v36
	v_addc_co_u32_e32 v10, vcc, v10, v37, vcc
	v_mov_b32_e32 v12, s17
	v_add_co_u32_e32 v11, vcc, s16, v9
	v_addc_co_u32_e32 v12, vcc, v10, v12, vcc
	flat_load_dwordx2 v[34:35], v[9:10] offset:128
	flat_load_dwordx2 v[32:33], v[11:12] offset:128
	s_cbranch_execz .LBB159_38
.LBB159_35:                             ;   in Loop: Header=BB159_33 Depth=1
	ds_read_b128 v[9:12], v49
	s_and_b64 vcc, exec, s[2:3]
	s_mov_b64 s[18:19], -1
                                        ; implicit-def: $vgpr5_vgpr6_vgpr7_vgpr8
	s_cbranch_vccnz .LBB159_45
.LBB159_36:                             ;   in Loop: Header=BB159_33 Depth=1
	v_mov_b32_e32 v5, s30
	v_add_co_u32_e32 v40, vcc, s29, v36
	v_addc_co_u32_e32 v41, vcc, v5, v37, vcc
	v_mov_b32_e32 v5, s17
	v_add_co_u32_e32 v42, vcc, s16, v40
	v_addc_co_u32_e32 v43, vcc, v41, v5, vcc
	flat_load_dwordx2 v[5:6], v[40:41] offset:256
	flat_load_dwordx2 v[7:8], v[42:43] offset:256
	s_cbranch_execnz .LBB159_53
	s_branch .LBB159_46
.LBB159_37:                             ;   in Loop: Header=BB159_33 Depth=1
	s_andn2_b64 vcc, exec, s[18:19]
	s_cbranch_vccnz .LBB159_35
.LBB159_38:                             ;   in Loop: Header=BB159_33 Depth=1
	s_and_saveexec_b64 s[18:19], s[8:9]
	s_xor_b64 s[18:19], exec, s[18:19]
	s_cbranch_execz .LBB159_42
; %bb.39:                               ;   in Loop: Header=BB159_33 Depth=1
	s_and_saveexec_b64 s[22:23], s[4:5]
	s_cbranch_execz .LBB159_41
; %bb.40:                               ;   in Loop: Header=BB159_33 Depth=1
	v_mov_b32_e32 v8, s30
	v_add_co_u32_e32 v7, vcc, s29, v36
	v_addc_co_u32_e32 v8, vcc, v8, v37, vcc
	flat_load_dwordx2 v[7:8], v[7:8] offset:128
.LBB159_41:                             ;   in Loop: Header=BB159_33 Depth=1
	s_or_b64 exec, exec, s[22:23]
.LBB159_42:                             ;   in Loop: Header=BB159_33 Depth=1
	s_andn2_saveexec_b64 s[18:19], s[18:19]
	s_cbranch_execz .LBB159_44
; %bb.43:                               ;   in Loop: Header=BB159_33 Depth=1
	v_mov_b32_e32 v5, s30
	v_add_co_u32_e32 v9, vcc, s29, v36
	v_addc_co_u32_e32 v10, vcc, v5, v37, vcc
	v_mov_b32_e32 v5, s17
	v_add_co_u32_e32 v11, vcc, s16, v9
	v_addc_co_u32_e32 v12, vcc, v10, v5, vcc
	s_waitcnt vmcnt(0) lgkmcnt(0)
	flat_load_dwordx2 v[7:8], v[9:10] offset:128
	flat_load_dwordx2 v[5:6], v[11:12] offset:128
.LBB159_44:                             ;   in Loop: Header=BB159_33 Depth=1
	s_or_b64 exec, exec, s[18:19]
	s_waitcnt vmcnt(0) lgkmcnt(0)
	v_mov_b32_e32 v35, v8
	v_mov_b32_e32 v33, v6
	;; [unrolled: 1-line block ×4, first 2 shown]
	ds_read_b128 v[9:12], v49
	s_and_b64 vcc, exec, s[2:3]
	s_mov_b64 s[18:19], -1
                                        ; implicit-def: $vgpr5_vgpr6_vgpr7_vgpr8
	s_cbranch_vccz .LBB159_36
.LBB159_45:                             ;   in Loop: Header=BB159_33 Depth=1
	s_andn2_b64 vcc, exec, s[18:19]
	s_cbranch_vccnz .LBB159_53
.LBB159_46:                             ;   in Loop: Header=BB159_33 Depth=1
                                        ; implicit-def: $vgpr5_vgpr6_vgpr7_vgpr8
	s_and_saveexec_b64 s[18:19], s[8:9]
	s_xor_b64 s[18:19], exec, s[18:19]
	s_cbranch_execz .LBB159_50
; %bb.47:                               ;   in Loop: Header=BB159_33 Depth=1
	s_waitcnt vmcnt(0) lgkmcnt(0)
	v_mov_b32_e32 v8, v4
	v_mov_b32_e32 v7, v3
	;; [unrolled: 1-line block ×4, first 2 shown]
	s_and_saveexec_b64 s[22:23], s[4:5]
	s_cbranch_execz .LBB159_49
; %bb.48:                               ;   in Loop: Header=BB159_33 Depth=1
	v_mov_b32_e32 v6, s30
	v_add_co_u32_e32 v5, vcc, s29, v36
	v_addc_co_u32_e32 v6, vcc, v6, v37, vcc
	flat_load_dwordx2 v[40:41], v[5:6] offset:256
	v_mov_b32_e32 v8, v4
	v_mov_b32_e32 v6, v2
	;; [unrolled: 1-line block ×4, first 2 shown]
	s_waitcnt vmcnt(0) lgkmcnt(0)
	v_mov_b32_e32 v5, v40
	v_mov_b32_e32 v6, v41
.LBB159_49:                             ;   in Loop: Header=BB159_33 Depth=1
	s_or_b64 exec, exec, s[22:23]
.LBB159_50:                             ;   in Loop: Header=BB159_33 Depth=1
	s_andn2_saveexec_b64 s[18:19], s[18:19]
	s_cbranch_execz .LBB159_52
; %bb.51:                               ;   in Loop: Header=BB159_33 Depth=1
	s_waitcnt vmcnt(0) lgkmcnt(0)
	v_mov_b32_e32 v5, s30
	v_add_co_u32_e32 v40, vcc, s29, v36
	v_addc_co_u32_e32 v41, vcc, v5, v37, vcc
	v_mov_b32_e32 v5, s17
	v_add_co_u32_e32 v42, vcc, s16, v40
	v_addc_co_u32_e32 v43, vcc, v41, v5, vcc
	flat_load_dwordx2 v[5:6], v[40:41] offset:256
	flat_load_dwordx2 v[7:8], v[42:43] offset:256
.LBB159_52:                             ;   in Loop: Header=BB159_33 Depth=1
	s_or_b64 exec, exec, s[18:19]
.LBB159_53:                             ;   in Loop: Header=BB159_33 Depth=1
	s_add_u32 s31, s31, s12
	s_addc_u32 s33, s33, s13
	v_mov_b32_e32 v41, s33
	v_add_co_u32_e32 v40, vcc, s31, v26
	v_addc_co_u32_e32 v41, vcc, v41, v27, vcc
	flat_load_dwordx2 v[40:41], v[40:41]
	s_waitcnt vmcnt(0) lgkmcnt(0)
	v_fma_f64 v[42:43], v[1:2], v[9:10], 0
	v_fma_f64 v[9:10], v[34:35], v[9:10], 0
	s_barrier
	v_fma_f64 v[42:43], v[3:4], v[11:12], v[42:43]
	v_fma_f64 v[9:10], v[32:33], v[11:12], v[9:10]
	ds_write2_b64 v48, v[42:43], v[9:10] offset1:16
	s_waitcnt lgkmcnt(0)
	s_barrier
	s_and_saveexec_b64 s[18:19], s[0:1]
	s_cbranch_execz .LBB159_57
; %bb.54:                               ;   in Loop: Header=BB159_33 Depth=1
	ds_read2_b64 v[9:12], v47 offset1:32
	ds_read2_b64 v[51:54], v50 offset1:32
	s_mov_b64 s[22:23], 0
	s_waitcnt lgkmcnt(1)
	v_add_f64 v[9:10], v[9:10], 0
	v_add_f64 v[42:43], v[9:10], v[11:12]
	ds_read2_b64 v[9:12], v47 offset0:64 offset1:96
	s_waitcnt lgkmcnt(0)
	v_add_f64 v[9:10], v[42:43], v[9:10]
	v_add_f64 v[42:43], v[9:10], v[11:12]
	ds_read2_b64 v[9:12], v47 offset0:128 offset1:160
	;; [unrolled: 4-line block ×3, first 2 shown]
	s_waitcnt lgkmcnt(0)
	v_add_f64 v[9:10], v[42:43], v[9:10]
	v_add_co_u32_e32 v42, vcc, v20, v18
	v_addc_co_u32_e32 v43, vcc, v21, v19, vcc
	v_add_f64 v[9:10], v[9:10], v[11:12]
	flat_load_dwordx2 v[11:12], v[42:43]
	v_add_f64 v[9:10], v[9:10], v[51:52]
	v_add_f64 v[9:10], v[9:10], v[53:54]
	ds_read2_b64 v[51:54], v50 offset0:64 offset1:96
	s_waitcnt lgkmcnt(0)
	v_add_f64 v[9:10], v[9:10], v[51:52]
	v_add_f64 v[9:10], v[9:10], v[53:54]
	ds_read2_b64 v[51:54], v50 offset0:128 offset1:160
	s_waitcnt lgkmcnt(0)
	;; [unrolled: 4-line block ×3, first 2 shown]
	v_add_f64 v[9:10], v[9:10], v[51:52]
	v_add_f64 v[9:10], v[9:10], v[53:54]
	v_mul_f64 v[44:45], v[13:14], v[9:10]
.LBB159_55:                             ;   Parent Loop BB159_33 Depth=1
                                        ; =>  This Inner Loop Header: Depth=2
	s_waitcnt vmcnt(0)
	v_add_f64 v[9:10], v[11:12], v[44:45]
	flat_atomic_cmpswap_x2 v[9:10], v[42:43], v[9:12] glc
	s_waitcnt vmcnt(0) lgkmcnt(0)
	v_cmp_eq_u64_e32 vcc, v[9:10], v[11:12]
	v_mov_b32_e32 v12, v10
	s_or_b64 s[22:23], vcc, s[22:23]
	v_mov_b32_e32 v11, v9
	s_andn2_b64 exec, exec, s[22:23]
	s_cbranch_execnz .LBB159_55
; %bb.56:                               ;   in Loop: Header=BB159_33 Depth=1
	s_or_b64 exec, exec, s[22:23]
	v_mov_b32_e32 v9, s15
	v_add_co_u32_e32 v20, vcc, s14, v20
	v_addc_co_u32_e32 v21, vcc, v21, v9, vcc
.LBB159_57:                             ;   in Loop: Header=BB159_33 Depth=1
	s_or_b64 exec, exec, s[18:19]
	v_fma_f64 v[1:2], v[30:31], v[1:2], v[22:23]
	v_fma_f64 v[3:4], v[30:31], v[3:4], v[24:25]
	s_add_u32 s29, s29, 0x100
	s_addc_u32 s30, s30, 0
	s_add_i32 s18, s35, 1
	s_cmp_eq_u32 s35, s34
	v_fma_f64 v[22:23], v[38:39], v[34:35], v[1:2]
	v_fma_f64 v[24:25], v[38:39], v[32:33], v[3:4]
	s_cbranch_scc1 .LBB159_60
; %bb.58:                               ;   in Loop: Header=BB159_33 Depth=1
	v_mov_b32_e32 v1, v5
	v_mov_b32_e32 v30, v40
	;; [unrolled: 1-line block ×7, first 2 shown]
	s_mov_b32 s35, s18
	v_mov_b32_e32 v31, v41
	v_mov_b32_e32 v8, v35
	;; [unrolled: 1-line block ×3, first 2 shown]
	s_branch .LBB159_33
.LBB159_59:
	v_mov_b32_e32 v21, s17
	v_mov_b32_e32 v34, 0
	;; [unrolled: 1-line block ×4, first 2 shown]
	s_waitcnt vmcnt(0)
	v_mov_b32_e32 v8, v4
	s_waitcnt lgkmcnt(0)
	v_mov_b32_e32 v41, v31
	v_mov_b32_e32 v20, s16
	;; [unrolled: 1-line block ×9, first 2 shown]
.LBB159_60:
	v_mov_b32_e32 v2, s33
	v_add_co_u32_e32 v1, vcc, s31, v28
	v_addc_co_u32_e32 v2, vcc, v2, v29, vcc
	flat_load_dwordx2 v[9:10], v[1:2]
	s_and_b64 vcc, exec, s[2:3]
	s_cbranch_vccnz .LBB159_62
; %bb.61:
	v_lshlrev_b64 v[1:2], 3, v[16:17]
	v_mov_b32_e32 v3, s30
	v_add_co_u32_e32 v1, vcc, s29, v1
	v_addc_co_u32_e32 v2, vcc, v3, v2, vcc
	s_lshl_b64 s[2:3], s[20:21], 3
	v_mov_b32_e32 v4, s3
	v_add_co_u32_e32 v3, vcc, s2, v1
	v_addc_co_u32_e32 v4, vcc, v2, v4, vcc
	flat_load_dwordx2 v[11:12], v[1:2] offset:128
	flat_load_dwordx2 v[26:27], v[3:4] offset:128
	s_cbranch_execz .LBB159_63
	s_branch .LBB159_70
.LBB159_62:
                                        ; implicit-def: $vgpr26_vgpr27
                                        ; implicit-def: $vgpr11_vgpr12
.LBB159_63:
	s_and_saveexec_b64 s[2:3], s[8:9]
	s_xor_b64 s[2:3], exec, s[2:3]
	s_cbranch_execz .LBB159_67
; %bb.64:
	s_and_saveexec_b64 s[8:9], s[4:5]
	s_cbranch_execz .LBB159_66
; %bb.65:
	v_lshlrev_b64 v[1:2], 3, v[16:17]
	v_mov_b32_e32 v3, s30
	v_add_co_u32_e32 v1, vcc, s29, v1
	v_addc_co_u32_e32 v2, vcc, v3, v2, vcc
	flat_load_dwordx2 v[34:35], v[1:2] offset:128
.LBB159_66:
	s_or_b64 exec, exec, s[8:9]
                                        ; implicit-def: $vgpr16_vgpr17
.LBB159_67:
	s_andn2_saveexec_b64 s[2:3], s[2:3]
	s_cbranch_execz .LBB159_69
; %bb.68:
	v_lshlrev_b64 v[1:2], 3, v[16:17]
	v_mov_b32_e32 v3, s30
	v_add_co_u32_e32 v1, vcc, s29, v1
	v_addc_co_u32_e32 v2, vcc, v3, v2, vcc
	s_lshl_b64 s[4:5], s[20:21], 3
	v_mov_b32_e32 v4, s5
	v_add_co_u32_e32 v3, vcc, s4, v1
	v_addc_co_u32_e32 v4, vcc, v2, v4, vcc
	s_waitcnt vmcnt(0) lgkmcnt(0)
	flat_load_dwordx2 v[34:35], v[1:2] offset:128
	flat_load_dwordx2 v[32:33], v[3:4] offset:128
.LBB159_69:
	s_or_b64 exec, exec, s[2:3]
	s_waitcnt vmcnt(0) lgkmcnt(0)
	v_mov_b32_e32 v11, v34
	v_mov_b32_e32 v26, v32
	;; [unrolled: 1-line block ×4, first 2 shown]
.LBB159_70:
	ds_read_b128 v[1:4], v49
	s_mov_b64 s[2:3], 0
	s_waitcnt vmcnt(0) lgkmcnt(0)
	s_barrier
	v_fma_f64 v[16:17], v[5:6], v[1:2], 0
	v_fma_f64 v[1:2], v[11:12], v[1:2], 0
	;; [unrolled: 1-line block ×6, first 2 shown]
	ds_write2_b64 v48, v[16:17], v[1:2] offset1:16
	s_waitcnt lgkmcnt(0)
	s_barrier
	s_and_saveexec_b64 s[4:5], s[0:1]
	s_cbranch_execz .LBB159_73
; %bb.71:
	ds_read2_b64 v[1:4], v47 offset1:32
	v_add_u32_e32 v22, 0x800, v47
	s_waitcnt lgkmcnt(0)
	v_add_f64 v[1:2], v[1:2], 0
	v_add_f64 v[16:17], v[1:2], v[3:4]
	ds_read2_b64 v[1:4], v47 offset0:64 offset1:96
	s_waitcnt lgkmcnt(0)
	v_add_f64 v[1:2], v[16:17], v[1:2]
	v_add_f64 v[16:17], v[1:2], v[3:4]
	ds_read2_b64 v[1:4], v47 offset0:128 offset1:160
	;; [unrolled: 4-line block ×3, first 2 shown]
	s_waitcnt lgkmcnt(0)
	v_add_f64 v[1:2], v[16:17], v[1:2]
	v_add_co_u32_e32 v16, vcc, v20, v18
	v_addc_co_u32_e32 v17, vcc, v21, v19, vcc
	ds_read2_b64 v[18:21], v22 offset1:32
	v_add_f64 v[1:2], v[1:2], v[3:4]
	flat_load_dwordx2 v[3:4], v[16:17]
	s_waitcnt lgkmcnt(0)
	v_add_f64 v[1:2], v[1:2], v[18:19]
	v_add_f64 v[1:2], v[1:2], v[20:21]
	ds_read2_b64 v[18:21], v22 offset0:64 offset1:96
	s_waitcnt lgkmcnt(0)
	v_add_f64 v[1:2], v[1:2], v[18:19]
	v_add_f64 v[1:2], v[1:2], v[20:21]
	ds_read2_b64 v[18:21], v22 offset0:128 offset1:160
	;; [unrolled: 4-line block ×3, first 2 shown]
	s_waitcnt lgkmcnt(0)
	v_add_f64 v[1:2], v[1:2], v[18:19]
	v_add_f64 v[1:2], v[1:2], v[20:21]
	v_mul_f64 v[18:19], v[13:14], v[1:2]
.LBB159_72:                             ; =>This Inner Loop Header: Depth=1
	s_waitcnt vmcnt(0)
	v_add_f64 v[1:2], v[3:4], v[18:19]
	flat_atomic_cmpswap_x2 v[1:2], v[16:17], v[1:4] glc
	s_waitcnt vmcnt(0) lgkmcnt(0)
	v_cmp_eq_u64_e32 vcc, v[1:2], v[3:4]
	v_mov_b32_e32 v4, v2
	s_or_b64 s[2:3], vcc, s[2:3]
	v_mov_b32_e32 v3, v1
	s_andn2_b64 exec, exec, s[2:3]
	s_cbranch_execnz .LBB159_72
.LBB159_73:
	s_or_b64 exec, exec, s[4:5]
	v_fma_f64 v[11:12], v[9:10], v[11:12], v[5:6]
	v_fma_f64 v[5:6], v[9:10], v[26:27], v[7:8]
	v_mov_b32_e32 v9, v46
.LBB159_74:
	s_waitcnt vmcnt(0)
	v_lshl_add_u32 v1, v15, 3, v9
	v_add_u32_e32 v1, 0x1000, v1
	ds_write2_b64 v1, v[11:12], v[5:6] offset1:16
	s_waitcnt lgkmcnt(0)
	s_barrier
	s_and_b64 exec, exec, s[0:1]
	s_cbranch_execz .LBB159_78
; %bb.75:
	s_cmp_lt_u32 s6, s26
	v_cmp_gt_i32_e32 vcc, s27, v0
	s_cselect_b64 s[0:1], -1, 0
	s_or_b64 s[0:1], vcc, s[0:1]
	s_and_b64 exec, exec, s[0:1]
	s_cbranch_execz .LBB159_78
; %bb.76:
	v_mov_b32_e32 v1, 0x1000
	v_lshl_add_u32 v12, v0, 7, v1
	v_lshl_or_b32 v1, v15, 3, v12
	ds_read_b64 v[1:2], v1
	v_add_u32_e32 v4, 2, v0
	v_and_b32_e32 v4, 15, v4
	v_add_u32_e32 v3, 1, v0
	v_lshl_or_b32 v5, v4, 3, v12
	s_waitcnt lgkmcnt(0)
	v_add_f64 v[1:2], v[1:2], 0
	v_add_u32_e32 v4, 3, v0
	v_and_b32_e32 v3, 15, v3
	v_and_b32_e32 v4, 15, v4
	v_lshl_or_b32 v3, v3, 3, v12
	v_lshl_or_b32 v7, v4, 3, v12
	ds_read_b64 v[3:4], v3
	ds_read_b64 v[5:6], v5
	;; [unrolled: 1-line block ×3, first 2 shown]
	v_xor_b32_e32 v11, 8, v15
	v_add_u32_e32 v15, 9, v0
	s_waitcnt lgkmcnt(2)
	v_add_f64 v[1:2], v[1:2], v[3:4]
	v_add_u32_e32 v3, 4, v0
	v_add_u32_e32 v4, 5, v0
	v_and_b32_e32 v3, 15, v3
	v_and_b32_e32 v4, 15, v4
	v_lshl_or_b32 v3, v3, 3, v12
	v_add_u32_e32 v16, 10, v0
	v_and_b32_e32 v15, 15, v15
	s_waitcnt lgkmcnt(1)
	v_add_f64 v[1:2], v[1:2], v[5:6]
	v_add_u32_e32 v5, 6, v0
	v_add_u32_e32 v6, 7, v0
	v_and_b32_e32 v5, 15, v5
	v_and_b32_e32 v6, 15, v6
	v_lshl_or_b32 v9, v6, 3, v12
	s_mul_i32 s1, s10, s25
	s_mul_hi_u32 s4, s10, s24
	s_waitcnt lgkmcnt(0)
	v_add_f64 v[1:2], v[1:2], v[7:8]
	v_lshl_or_b32 v7, v4, 3, v12
	ds_read_b64 v[3:4], v3
	v_lshl_or_b32 v8, v5, 3, v12
	ds_read_b64 v[5:6], v7
	ds_read_b64 v[7:8], v8
	;; [unrolled: 1-line block ×3, first 2 shown]
	s_mul_i32 s5, s11, s24
	s_add_i32 s1, s4, s1
	s_mul_i32 s0, s10, s24
	s_waitcnt lgkmcnt(3)
	v_add_f64 v[1:2], v[1:2], v[3:4]
	v_mad_u64_u32 v[3:4], s[2:3], s10, v0, 0
	s_add_i32 s1, s1, s5
	s_lshl_b64 s[0:1], s[0:1], 3
	s_add_u32 s0, s7, s0
	s_addc_u32 s1, s28, s1
	s_waitcnt lgkmcnt(2)
	v_add_f64 v[1:2], v[1:2], v[5:6]
	v_and_b32_e32 v5, 15, v16
	v_lshl_or_b32 v6, v11, 3, v12
	v_lshl_or_b32 v11, v15, 3, v12
	v_lshl_or_b32 v15, v5, 3, v12
	v_mad_u64_u32 v[4:5], s[2:3], s11, v0, v[4:5]
	s_waitcnt lgkmcnt(1)
	v_add_f64 v[1:2], v[1:2], v[7:8]
	v_lshlrev_b64 v[4:5], 3, v[3:4]
	ds_read_b64 v[6:7], v6
	v_add_co_u32_e32 v4, vcc, s0, v4
	s_waitcnt lgkmcnt(1)
	v_add_f64 v[8:9], v[1:2], v[9:10]
	v_mov_b32_e32 v1, s1
	v_addc_co_u32_e32 v5, vcc, v1, v5, vcc
	flat_load_dwordx2 v[2:3], v[4:5]
	v_add_u32_e32 v1, 11, v0
	v_and_b32_e32 v1, 15, v1
	v_lshl_or_b32 v1, v1, 3, v12
	s_waitcnt lgkmcnt(0)
	v_add_f64 v[6:7], v[8:9], v[6:7]
	ds_read_b64 v[10:11], v11
	ds_read_b64 v[15:16], v15
	;; [unrolled: 1-line block ×3, first 2 shown]
	v_add_u32_e32 v1, 12, v0
	v_add_u32_e32 v8, 13, v0
	v_and_b32_e32 v1, 15, v1
	v_and_b32_e32 v8, 15, v8
	v_lshl_or_b32 v1, v1, 3, v12
	s_mov_b64 s[0:1], 0
	s_waitcnt lgkmcnt(0)
	v_add_f64 v[6:7], v[6:7], v[10:11]
	v_lshl_or_b32 v11, v8, 3, v12
	ds_read_b64 v[8:9], v1
	v_add_u32_e32 v10, 14, v0
	v_and_b32_e32 v1, 15, v10
	v_add_u32_e32 v0, -1, v0
	v_lshl_or_b32 v10, v1, 3, v12
	v_and_b32_e32 v0, 15, v0
	v_add_f64 v[6:7], v[6:7], v[15:16]
	v_lshl_or_b32 v12, v0, 3, v12
	ds_read_b64 v[0:1], v11
	ds_read_b64 v[10:11], v10
	;; [unrolled: 1-line block ×3, first 2 shown]
	v_add_f64 v[6:7], v[6:7], v[17:18]
	s_waitcnt lgkmcnt(0)
	v_add_f64 v[6:7], v[6:7], v[8:9]
	v_add_f64 v[0:1], v[6:7], v[0:1]
	;; [unrolled: 1-line block ×4, first 2 shown]
	v_mul_f64 v[6:7], v[13:14], v[0:1]
.LBB159_77:                             ; =>This Inner Loop Header: Depth=1
	s_waitcnt vmcnt(0)
	v_add_f64 v[0:1], v[2:3], v[6:7]
	flat_atomic_cmpswap_x2 v[0:1], v[4:5], v[0:3] glc
	s_waitcnt vmcnt(0) lgkmcnt(0)
	v_cmp_eq_u64_e32 vcc, v[0:1], v[2:3]
	v_mov_b32_e32 v3, v1
	s_or_b64 s[0:1], vcc, s[0:1]
	v_mov_b32_e32 v2, v0
	s_andn2_b64 exec, exec, s[0:1]
	s_cbranch_execnz .LBB159_77
.LBB159_78:
	s_endpgm
	.section	.rodata,"a",@progbits
	.p2align	6, 0x0
	.amdhsa_kernel _ZL62rocblas_symv_kernel_upper_double_buffered_non_diagonal_genericILi32ELi8ELi2ELi1E24rocblas_internal_val_ptrIdEPKPKdPKPdEvbiT3_lT4_lllSA_lllT5_lllii
		.amdhsa_group_segment_fixed_size 8448
		.amdhsa_private_segment_fixed_size 0
		.amdhsa_kernarg_size 384
		.amdhsa_user_sgpr_count 6
		.amdhsa_user_sgpr_private_segment_buffer 1
		.amdhsa_user_sgpr_dispatch_ptr 0
		.amdhsa_user_sgpr_queue_ptr 0
		.amdhsa_user_sgpr_kernarg_segment_ptr 1
		.amdhsa_user_sgpr_dispatch_id 0
		.amdhsa_user_sgpr_flat_scratch_init 0
		.amdhsa_user_sgpr_private_segment_size 0
		.amdhsa_uses_dynamic_stack 0
		.amdhsa_system_sgpr_private_segment_wavefront_offset 0
		.amdhsa_system_sgpr_workgroup_id_x 1
		.amdhsa_system_sgpr_workgroup_id_y 1
		.amdhsa_system_sgpr_workgroup_id_z 1
		.amdhsa_system_sgpr_workgroup_info 0
		.amdhsa_system_vgpr_workitem_id 1
		.amdhsa_next_free_vgpr 55
		.amdhsa_next_free_sgpr 77
		.amdhsa_reserve_vcc 1
		.amdhsa_reserve_flat_scratch 0
		.amdhsa_float_round_mode_32 0
		.amdhsa_float_round_mode_16_64 0
		.amdhsa_float_denorm_mode_32 3
		.amdhsa_float_denorm_mode_16_64 3
		.amdhsa_dx10_clamp 1
		.amdhsa_ieee_mode 1
		.amdhsa_fp16_overflow 0
		.amdhsa_exception_fp_ieee_invalid_op 0
		.amdhsa_exception_fp_denorm_src 0
		.amdhsa_exception_fp_ieee_div_zero 0
		.amdhsa_exception_fp_ieee_overflow 0
		.amdhsa_exception_fp_ieee_underflow 0
		.amdhsa_exception_fp_ieee_inexact 0
		.amdhsa_exception_int_div_zero 0
	.end_amdhsa_kernel
	.section	.text._ZL62rocblas_symv_kernel_upper_double_buffered_non_diagonal_genericILi32ELi8ELi2ELi1E24rocblas_internal_val_ptrIdEPKPKdPKPdEvbiT3_lT4_lllSA_lllT5_lllii,"axG",@progbits,_ZL62rocblas_symv_kernel_upper_double_buffered_non_diagonal_genericILi32ELi8ELi2ELi1E24rocblas_internal_val_ptrIdEPKPKdPKPdEvbiT3_lT4_lllSA_lllT5_lllii,comdat
.Lfunc_end159:
	.size	_ZL62rocblas_symv_kernel_upper_double_buffered_non_diagonal_genericILi32ELi8ELi2ELi1E24rocblas_internal_val_ptrIdEPKPKdPKPdEvbiT3_lT4_lllSA_lllT5_lllii, .Lfunc_end159-_ZL62rocblas_symv_kernel_upper_double_buffered_non_diagonal_genericILi32ELi8ELi2ELi1E24rocblas_internal_val_ptrIdEPKPKdPKPdEvbiT3_lT4_lllSA_lllT5_lllii
                                        ; -- End function
	.set _ZL62rocblas_symv_kernel_upper_double_buffered_non_diagonal_genericILi32ELi8ELi2ELi1E24rocblas_internal_val_ptrIdEPKPKdPKPdEvbiT3_lT4_lllSA_lllT5_lllii.num_vgpr, 55
	.set _ZL62rocblas_symv_kernel_upper_double_buffered_non_diagonal_genericILi32ELi8ELi2ELi1E24rocblas_internal_val_ptrIdEPKPKdPKPdEvbiT3_lT4_lllSA_lllT5_lllii.num_agpr, 0
	.set _ZL62rocblas_symv_kernel_upper_double_buffered_non_diagonal_genericILi32ELi8ELi2ELi1E24rocblas_internal_val_ptrIdEPKPKdPKPdEvbiT3_lT4_lllSA_lllT5_lllii.numbered_sgpr, 38
	.set _ZL62rocblas_symv_kernel_upper_double_buffered_non_diagonal_genericILi32ELi8ELi2ELi1E24rocblas_internal_val_ptrIdEPKPKdPKPdEvbiT3_lT4_lllSA_lllT5_lllii.num_named_barrier, 0
	.set _ZL62rocblas_symv_kernel_upper_double_buffered_non_diagonal_genericILi32ELi8ELi2ELi1E24rocblas_internal_val_ptrIdEPKPKdPKPdEvbiT3_lT4_lllSA_lllT5_lllii.private_seg_size, 0
	.set _ZL62rocblas_symv_kernel_upper_double_buffered_non_diagonal_genericILi32ELi8ELi2ELi1E24rocblas_internal_val_ptrIdEPKPKdPKPdEvbiT3_lT4_lllSA_lllT5_lllii.uses_vcc, 1
	.set _ZL62rocblas_symv_kernel_upper_double_buffered_non_diagonal_genericILi32ELi8ELi2ELi1E24rocblas_internal_val_ptrIdEPKPKdPKPdEvbiT3_lT4_lllSA_lllT5_lllii.uses_flat_scratch, 0
	.set _ZL62rocblas_symv_kernel_upper_double_buffered_non_diagonal_genericILi32ELi8ELi2ELi1E24rocblas_internal_val_ptrIdEPKPKdPKPdEvbiT3_lT4_lllSA_lllT5_lllii.has_dyn_sized_stack, 0
	.set _ZL62rocblas_symv_kernel_upper_double_buffered_non_diagonal_genericILi32ELi8ELi2ELi1E24rocblas_internal_val_ptrIdEPKPKdPKPdEvbiT3_lT4_lllSA_lllT5_lllii.has_recursion, 0
	.set _ZL62rocblas_symv_kernel_upper_double_buffered_non_diagonal_genericILi32ELi8ELi2ELi1E24rocblas_internal_val_ptrIdEPKPKdPKPdEvbiT3_lT4_lllSA_lllT5_lllii.has_indirect_call, 0
	.section	.AMDGPU.csdata,"",@progbits
; Kernel info:
; codeLenInByte = 3948
; TotalNumSgprs: 42
; NumVgprs: 55
; ScratchSize: 0
; MemoryBound: 1
; FloatMode: 240
; IeeeMode: 1
; LDSByteSize: 8448 bytes/workgroup (compile time only)
; SGPRBlocks: 10
; VGPRBlocks: 13
; NumSGPRsForWavesPerEU: 81
; NumVGPRsForWavesPerEU: 55
; Occupancy: 4
; WaveLimiterHint : 1
; COMPUTE_PGM_RSRC2:SCRATCH_EN: 0
; COMPUTE_PGM_RSRC2:USER_SGPR: 6
; COMPUTE_PGM_RSRC2:TRAP_HANDLER: 0
; COMPUTE_PGM_RSRC2:TGID_X_EN: 1
; COMPUTE_PGM_RSRC2:TGID_Y_EN: 1
; COMPUTE_PGM_RSRC2:TGID_Z_EN: 1
; COMPUTE_PGM_RSRC2:TIDIG_COMP_CNT: 1
	.section	.text._ZL26rocblas_hemvn_kernel_upperILb0ELi64ELi4ELi33ELi32ELi16ElPKdPKS1_PdEviT6_lT7_lT5_lS6_lS7_lS5_lT8_i,"axG",@progbits,_ZL26rocblas_hemvn_kernel_upperILb0ELi64ELi4ELi33ELi32ELi16ElPKdPKS1_PdEviT6_lT7_lT5_lS6_lS7_lS5_lT8_i,comdat
	.globl	_ZL26rocblas_hemvn_kernel_upperILb0ELi64ELi4ELi33ELi32ELi16ElPKdPKS1_PdEviT6_lT7_lT5_lS6_lS7_lS5_lT8_i ; -- Begin function _ZL26rocblas_hemvn_kernel_upperILb0ELi64ELi4ELi33ELi32ELi16ElPKdPKS1_PdEviT6_lT7_lT5_lS6_lS7_lS5_lT8_i
	.p2align	8
	.type	_ZL26rocblas_hemvn_kernel_upperILb0ELi64ELi4ELi33ELi32ELi16ElPKdPKS1_PdEviT6_lT7_lT5_lS6_lS7_lS5_lT8_i,@function
_ZL26rocblas_hemvn_kernel_upperILb0ELi64ELi4ELi33ELi32ELi16ElPKdPKS1_PdEviT6_lT7_lT5_lS6_lS7_lS5_lT8_i: ; @_ZL26rocblas_hemvn_kernel_upperILb0ELi64ELi4ELi33ELi32ELi16ElPKdPKS1_PdEviT6_lT7_lT5_lS6_lS7_lS5_lT8_i
; %bb.0:
	s_load_dwordx2 s[2:3], s[4:5], 0x84
	s_add_u32 s0, s4, 0x78
	s_mov_b32 s26, s7
	s_addc_u32 s1, s5, 0
	s_waitcnt lgkmcnt(0)
	s_lshr_b32 s7, s2, 16
	s_and_b32 s2, s2, 0xffff
	s_and_b32 s3, s3, 0xffff
	s_mul_i32 s2, s7, s2
	s_mul_i32 s2, s2, s3
	s_cmpk_lg_i32 s2, 0x100
	s_cbranch_scc1 .LBB160_4
; %bb.1:
	s_load_dwordx8 s[8:15], s[4:5], 0x8
	s_load_dwordx4 s[16:19], s[4:5], 0x58
	s_waitcnt lgkmcnt(0)
	s_mul_i32 s3, s11, s26
	s_mul_hi_u32 s7, s10, s26
	s_mul_i32 s2, s10, s26
	s_add_i32 s3, s7, s3
	s_lshl_b64 s[2:3], s[2:3], 3
	s_mul_i32 s10, s19, s26
	s_add_u32 s2, s8, s2
	s_mul_hi_u32 s7, s18, s26
	s_addc_u32 s3, s9, s3
	s_add_i32 s9, s7, s10
	s_mul_i32 s8, s18, s26
	s_lshl_b64 s[8:9], s[8:9], 3
	s_add_u32 s8, s16, s8
	s_addc_u32 s9, s17, s9
	s_load_dwordx2 s[2:3], s[2:3], 0x0
	s_nop 0
	s_load_dwordx2 s[10:11], s[8:9], 0x0
	s_waitcnt lgkmcnt(0)
	v_cmp_eq_f64_e64 s[8:9], s[2:3], 0
	v_cmp_eq_f64_e64 s[2:3], s[10:11], 1.0
	s_and_b64 s[2:3], s[8:9], s[2:3]
	s_and_b64 vcc, exec, s[2:3]
	s_cbranch_vccnz .LBB160_4
; %bb.2:
	s_mov_b64 s[2:3], 0
	s_and_b64 vcc, exec, s[8:9]
	s_cbranch_vccz .LBB160_5
; %bb.3:
	s_andn2_b64 vcc, exec, s[2:3]
	s_cbranch_vccz .LBB160_6
.LBB160_4:
	s_endpgm
.LBB160_5:
.LBB160_6:
	s_mov_b32 s27, 0
	s_load_dword s7, s[0:1], 0x0
	s_load_dwordx4 s[8:11], s[4:5], 0x38
	s_load_dwordx2 s[16:17], s[4:5], 0x48
	s_lshl_b64 s[0:1], s[26:27], 3
	s_add_u32 s12, s12, s0
	s_addc_u32 s13, s13, s1
	s_waitcnt lgkmcnt(0)
	s_add_u32 s0, s8, s0
	s_addc_u32 s1, s9, s1
	s_load_dwordx2 s[8:9], s[0:1], 0x0
	s_load_dwordx2 s[22:23], s[4:5], 0x28
	s_load_dword s33, s[4:5], 0x0
	s_load_dwordx2 s[2:3], s[12:13], 0x0
	s_lshl_b64 s[0:1], s[10:11], 3
	s_load_dwordx2 s[28:29], s[4:5], 0x68
	s_waitcnt lgkmcnt(0)
	s_add_u32 s4, s8, s0
	s_addc_u32 s5, s9, s1
	s_lshl_b32 s24, s6, 6
	s_ashr_i32 s38, s33, 31
	s_lshr_b32 s0, s38, 26
	v_add_u32_e32 v58, s24, v0
	s_add_i32 s0, s33, s0
	v_ashrrev_i32_e32 v59, 31, v58
	s_and_b32 s9, s0, 0xffffffc0
	v_mul_lo_u32 v4, s16, v59
	v_mul_lo_u32 v5, s17, v58
	v_mad_u64_u32 v[2:3], s[0:1], s16, v58, 0
	s_add_i32 s8, s7, -1
	s_sub_i32 s27, s33, s9
	v_add3_u32 v3, v3, v4, v5
	v_lshlrev_b64 v[2:3], 3, v[2:3]
	s_cmp_eq_u32 s6, s8
	v_mov_b32_e32 v4, s5
	v_add_co_u32_e32 v14, vcc, s4, v2
	s_cselect_b32 s18, s27, 0
	v_addc_co_u32_e32 v15, vcc, v4, v3, vcc
	v_cmp_eq_u32_e64 s[0:1], 0, v1
	s_and_saveexec_b64 s[4:5], s[0:1]
	s_cbranch_execz .LBB160_10
; %bb.7:
	s_cmp_eq_u32 s18, 0
	s_cselect_b64 s[8:9], -1, 0
	v_cmp_gt_i32_e32 vcc, s18, v0
	v_mov_b32_e32 v2, 0
	v_mov_b32_e32 v3, 0
	s_or_b64 s[10:11], s[8:9], vcc
	s_and_saveexec_b64 s[8:9], s[10:11]
	s_cbranch_execz .LBB160_9
; %bb.8:
	flat_load_dwordx2 v[2:3], v[14:15]
.LBB160_9:
	s_or_b64 exec, exec, s[8:9]
	v_lshlrev_b32_e32 v4, 3, v0
	s_waitcnt vmcnt(0) lgkmcnt(0)
	ds_write_b64 v4, v[2:3] offset:9088
.LBB160_10:
	s_or_b64 exec, exec, s[4:5]
	v_lshl_add_u32 v24, v1, 6, v0
	v_and_b32_e32 v2, 31, v0
	v_lshrrev_b32_e32 v13, 5, v24
	v_mov_b32_e32 v3, 0
	v_mad_u64_u32 v[3:4], s[8:9], s22, v13, v[2:3]
	s_lshl_b64 s[4:5], s[14:15], 3
	s_add_u32 s4, s2, s4
	s_addc_u32 s5, s3, s5
	v_mad_u64_u32 v[4:5], s[2:3], s23, v13, v[4:5]
	s_ashr_i32 s25, s24, 31
	s_lshl_b64 s[2:3], s[24:25], 3
	s_add_u32 s2, s4, s2
	v_lshlrev_b64 v[16:17], 3, v[3:4]
	s_addc_u32 s3, s5, s3
	v_mov_b32_e32 v3, s3
	v_add_co_u32_e32 v4, vcc, s2, v16
	s_mul_hi_u32 s2, s22, s24
	s_mul_i32 s3, s22, s25
	s_add_i32 s2, s2, s3
	s_mul_i32 s3, s23, s24
	s_add_i32 s3, s2, s3
	s_mul_i32 s2, s22, s24
	s_lshl_b64 s[2:3], s[2:3], 3
	v_addc_co_u32_e32 v3, vcc, v3, v17, vcc
	s_cmp_eq_u32 s18, 0
	v_mov_b32_e32 v6, s3
	v_add_co_u32_e32 v5, vcc, s2, v4
	s_cselect_b64 s[20:21], -1, 0
	s_cmp_lg_u32 s18, 0
	v_addc_co_u32_e32 v6, vcc, v3, v6, vcc
	s_cselect_b64 s[30:31], -1, 0
	s_and_b64 vcc, exec, s[30:31]
	v_cmp_gt_i32_e64 s[2:3], s18, v2
	v_lshlrev_b32_e32 v18, 3, v2
	s_cbranch_vccz .LBB160_20
; %bb.11:
	v_sub_co_u32_e32 v3, vcc, v5, v18
	s_ashr_i32 s19, s18, 31
	v_subbrev_co_u32_e32 v4, vcc, 0, v6, vcc
	s_lshl_b64 s[4:5], s[18:19], 3
	v_mov_b32_e32 v7, s5
	v_add_co_u32_e32 v3, vcc, s4, v3
	v_addc_co_u32_e32 v4, vcc, v4, v7, vcc
	v_add_co_u32_e32 v3, vcc, -8, v3
	v_addc_co_u32_e32 v4, vcc, -1, v4, vcc
	v_mov_b32_e32 v7, 0
	v_mov_b32_e32 v9, 0
	v_cndmask_b32_e64 v4, v4, v6, s[2:3]
	v_cndmask_b32_e64 v3, v3, v5, s[2:3]
	v_mov_b32_e32 v8, 0
	v_mov_b32_e32 v10, 0
	v_cmp_gt_i32_e32 vcc, s18, v13
	s_and_saveexec_b64 s[8:9], vcc
	s_cbranch_execz .LBB160_13
; %bb.12:
	flat_load_dwordx2 v[9:10], v[3:4]
.LBB160_13:
	s_or_b64 exec, exec, s[8:9]
	v_lshlrev_b32_e32 v11, 3, v2
	s_movk_i32 s8, 0x108
	v_mad_u32_u24 v19, v13, s8, v11
	s_waitcnt vmcnt(0) lgkmcnt(0)
	ds_write_b64 v19, v[9:10]
	v_add_u32_e32 v9, 8, v13
	v_mul_u32_u24_e32 v12, 0x108, v13
	v_cmp_gt_i32_e32 vcc, s18, v9
	s_and_saveexec_b64 s[8:9], vcc
	s_cbranch_execz .LBB160_15
; %bb.14:
	s_lshl_b64 s[10:11], s[22:23], 6
	v_mov_b32_e32 v8, s11
	v_add_co_u32_e32 v7, vcc, s10, v3
	v_addc_co_u32_e32 v8, vcc, v4, v8, vcc
	flat_load_dwordx2 v[7:8], v[7:8]
.LBB160_15:
	s_or_b64 exec, exec, s[8:9]
	v_add_u32_e32 v11, v12, v11
	s_waitcnt vmcnt(0) lgkmcnt(0)
	ds_write_b64 v11, v[7:8] offset:2112
	v_add_u32_e32 v12, 16, v13
	v_mov_b32_e32 v7, 0
	v_mov_b32_e32 v9, 0
	v_mov_b32_e32 v8, 0
	v_mov_b32_e32 v10, 0
	v_cmp_gt_i32_e32 vcc, s18, v12
	s_and_saveexec_b64 s[8:9], vcc
	s_cbranch_execz .LBB160_17
; %bb.16:
	s_lshl_b64 s[10:11], s[22:23], 7
	v_mov_b32_e32 v10, s11
	v_add_co_u32_e32 v9, vcc, s10, v3
	v_addc_co_u32_e32 v10, vcc, v4, v10, vcc
	flat_load_dwordx2 v[9:10], v[9:10]
.LBB160_17:
	s_or_b64 exec, exec, s[8:9]
	s_waitcnt vmcnt(0) lgkmcnt(0)
	ds_write_b64 v11, v[9:10] offset:4224
	v_add_u32_e32 v9, 24, v13
	v_cmp_gt_i32_e32 vcc, s18, v9
	s_and_saveexec_b64 s[8:9], vcc
	s_cbranch_execz .LBB160_19
; %bb.18:
	v_mov_b32_e32 v7, 0xc0
	v_mad_u64_u32 v[7:8], s[10:11], s22, v7, v[3:4]
	s_mul_i32 s10, s23, 0xc0
	v_add_u32_e32 v8, s10, v8
	flat_load_dwordx2 v[7:8], v[7:8]
.LBB160_19:
	s_or_b64 exec, exec, s[8:9]
	v_add_co_u32_e32 v3, vcc, v3, v18
	v_addc_co_u32_e32 v4, vcc, 0, v4, vcc
	s_waitcnt vmcnt(0) lgkmcnt(0)
	ds_write_b64 v11, v[7:8] offset:6336
	v_mov_b32_e32 v7, s5
	v_subrev_co_u32_e32 v3, vcc, s4, v3
	v_subb_co_u32_e32 v4, vcc, v4, v7, vcc
	v_add_co_u32_e32 v3, vcc, 8, v3
	v_addc_co_u32_e32 v4, vcc, 0, v4, vcc
	v_cndmask_b32_e64 v4, v4, v6, s[2:3]
	v_cndmask_b32_e64 v3, v3, v5, s[2:3]
	s_branch .LBB160_22
.LBB160_20:
                                        ; implicit-def: $vgpr3_vgpr4
	s_cbranch_execz .LBB160_22
; %bb.21:
	s_lshl_b64 s[2:3], s[22:23], 6
	v_mov_b32_e32 v10, s3
	v_add_co_u32_e32 v3, vcc, s2, v5
	v_addc_co_u32_e32 v4, vcc, v6, v10, vcc
	v_add_co_u32_e32 v7, vcc, s2, v3
	v_addc_co_u32_e32 v8, vcc, v4, v10, vcc
	;; [unrolled: 2-line block ×3, first 2 shown]
	flat_load_dwordx2 v[11:12], v[5:6]
	flat_load_dwordx2 v[19:20], v[3:4]
	;; [unrolled: 1-line block ×4, first 2 shown]
	v_mul_u32_u24_e32 v3, 0x108, v13
	v_lshl_add_u32 v3, v2, 3, v3
	s_waitcnt vmcnt(0) lgkmcnt(0)
	ds_write_b64 v3, v[11:12]
	ds_write_b64 v3, v[19:20] offset:2112
	ds_write_b64 v3, v[21:22] offset:4224
	;; [unrolled: 1-line block ×3, first 2 shown]
	v_mov_b32_e32 v3, v5
	v_mov_b32_e32 v4, v6
.LBB160_22:
	v_lshlrev_b32_e32 v20, 3, v2
	v_lshlrev_b32_e32 v19, 2, v13
	v_lshl_or_b32 v5, v2, 8, v20
	v_cmp_gt_u32_e64 s[4:5], v19, v2
	v_lshl_add_u32 v5, v19, 3, v5
	s_waitcnt lgkmcnt(0)
	s_barrier
	s_and_saveexec_b64 s[2:3], s[4:5]
	s_cbranch_execz .LBB160_24
; %bb.23:
	s_movk_i32 s8, 0x420
	v_mad_u32_u24 v6, v13, s8, v20
	ds_read_b64 v[6:7], v6
	s_waitcnt lgkmcnt(0)
	ds_write_b64 v5, v[6:7]
.LBB160_24:
	s_or_b64 exec, exec, s[2:3]
	v_or_b32_e32 v22, 1, v19
	v_cmp_ge_u32_e64 s[14:15], v19, v2
	s_and_saveexec_b64 s[2:3], s[14:15]
	s_cbranch_execz .LBB160_26
; %bb.25:
	s_movk_i32 s8, 0x108
	v_mad_u32_u24 v6, v22, s8, v20
	ds_read_b64 v[6:7], v6
	s_waitcnt lgkmcnt(0)
	ds_write_b64 v5, v[6:7] offset:8
.LBB160_26:
	s_or_b64 exec, exec, s[2:3]
	v_or_b32_e32 v6, 2, v19
	v_cmp_gt_u32_e64 s[8:9], v6, v2
	s_and_saveexec_b64 s[2:3], s[8:9]
	s_cbranch_execz .LBB160_28
; %bb.27:
	s_movk_i32 s10, 0x108
	v_mad_u32_u24 v6, v6, s10, v20
	ds_read_b64 v[6:7], v6
	s_waitcnt lgkmcnt(0)
	ds_write_b64 v5, v[6:7] offset:16
.LBB160_28:
	s_or_b64 exec, exec, s[2:3]
	v_or_b32_e32 v7, 3, v19
	v_cmp_gt_u32_e64 s[10:11], v7, v2
	v_cmp_le_u32_e32 vcc, v7, v2
                                        ; implicit-def: $vgpr6
	s_and_saveexec_b64 s[2:3], vcc
	s_xor_b64 s[2:3], exec, s[2:3]
; %bb.29:
	v_mul_u32_u24_e32 v6, 0x108, v7
                                        ; implicit-def: $vgpr7
                                        ; implicit-def: $vgpr5
; %bb.30:
	s_andn2_saveexec_b64 s[2:3], s[2:3]
	s_cbranch_execz .LBB160_32
; %bb.31:
	s_movk_i32 s12, 0x108
	v_mad_u32_u24 v6, v7, s12, v20
	ds_read_b64 v[8:9], v6
	v_mul_u32_u24_e32 v6, 0x108, v7
	s_waitcnt lgkmcnt(0)
	ds_write_b64 v5, v[8:9] offset:24
.LBB160_32:
	s_or_b64 exec, exec, s[2:3]
	s_movk_i32 s2, 0x420
	v_mad_u32_u24 v5, v13, s2, v20
	s_waitcnt lgkmcnt(0)
	s_barrier
	v_lshlrev_b32_e32 v23, 3, v19
	ds_read_b64 v[11:12], v5
	ds_read_b128 v[7:10], v23 offset:9088
	s_movk_i32 s2, 0x108
	v_mad_u32_u24 v5, v22, s2, v20
	ds_read2_b64 v[25:28], v5 offset1:33
	v_add_u32_e32 v21, v20, v6
	s_waitcnt lgkmcnt(1)
	v_fma_f64 v[7:8], v[11:12], v[7:8], 0
	v_mov_b32_e32 v60, 0
	v_mov_b32_e32 v61, 0
	v_cmp_gt_u32_e64 s[2:3], 32, v24
	ds_read_b64 v[5:6], v21
	s_waitcnt lgkmcnt(1)
	v_fma_f64 v[11:12], v[25:26], v[9:10], v[7:8]
	ds_read_b128 v[7:10], v23 offset:9104
	s_waitcnt lgkmcnt(0)
	s_barrier
	v_fma_f64 v[7:8], v[27:28], v[7:8], v[11:12]
	v_fma_f64 v[5:6], v[5:6], v[9:10], v[7:8]
	v_mul_u32_u24_e32 v7, 33, v2
	v_lshlrev_b32_e32 v25, 3, v7
	v_lshl_add_u32 v26, v13, 3, v25
	ds_write_b64 v26, v[5:6]
	s_waitcnt lgkmcnt(0)
	s_barrier
	s_and_saveexec_b64 s[12:13], s[2:3]
	s_cbranch_execz .LBB160_34
; %bb.33:
	ds_read2_b64 v[5:8], v25 offset1:1
	ds_read2_b64 v[9:12], v25 offset0:2 offset1:3
	s_waitcnt lgkmcnt(1)
	v_add_f64 v[5:6], v[5:6], v[7:8]
	s_waitcnt lgkmcnt(0)
	v_add_f64 v[5:6], v[5:6], v[9:10]
	v_add_f64 v[27:28], v[5:6], v[11:12]
	ds_read2_b64 v[5:8], v25 offset0:4 offset1:5
	ds_read2_b64 v[9:12], v25 offset0:6 offset1:7
	s_waitcnt lgkmcnt(1)
	v_add_f64 v[5:6], v[27:28], v[5:6]
	v_add_f64 v[5:6], v[5:6], v[7:8]
	s_waitcnt lgkmcnt(0)
	v_add_f64 v[5:6], v[5:6], v[9:10]
	v_add_f64 v[60:61], v[5:6], v[11:12]
.LBB160_34:
	s_or_b64 exec, exec, s[12:13]
	s_lshl_b64 s[12:13], s[22:23], 8
	v_mov_b32_e32 v6, s13
	v_add_co_u32_e32 v5, vcc, s12, v3
	v_addc_co_u32_e32 v6, vcc, v4, v6, vcc
	v_add_co_u32_e32 v3, vcc, 0x100, v5
	v_addc_co_u32_e32 v4, vcc, 0, v6, vcc
	s_and_b64 vcc, exec, s[30:31]
	s_barrier
	s_cbranch_vccz .LBB160_44
; %bb.35:
	v_sub_co_u32_e32 v8, vcc, v5, v18
	s_ashr_i32 s19, s18, 31
	v_subbrev_co_u32_e32 v9, vcc, 0, v6, vcc
	s_lshl_b64 s[34:35], s[18:19], 3
	v_mov_b32_e32 v10, s35
	v_add_co_u32_e32 v8, vcc, s34, v8
	v_or_b32_e32 v7, 32, v2
	v_addc_co_u32_e32 v9, vcc, v9, v10, vcc
	v_add_co_u32_e32 v10, vcc, -8, v8
	v_cmp_gt_i32_e64 s[12:13], s18, v7
	v_addc_co_u32_e32 v8, vcc, -1, v9, vcc
	v_cndmask_b32_e64 v7, v10, v3, s[12:13]
	s_sub_i32 s19, s18, 32
	v_mov_b32_e32 v9, 0
	v_mov_b32_e32 v11, 0
	v_cndmask_b32_e64 v8, v8, v4, s[12:13]
	v_mov_b32_e32 v10, 0
	v_mov_b32_e32 v12, 0
	v_cmp_gt_i32_e32 vcc, s19, v13
	s_and_saveexec_b64 s[36:37], vcc
	s_cbranch_execz .LBB160_37
; %bb.36:
	flat_load_dwordx2 v[11:12], v[7:8]
.LBB160_37:
	s_or_b64 exec, exec, s[36:37]
	s_movk_i32 s36, 0x108
	v_mad_u32_u24 v28, v13, s36, v20
	s_waitcnt vmcnt(0) lgkmcnt(0)
	ds_write_b64 v28, v[11:12]
	v_add_u32_e32 v11, 8, v13
	v_mul_u32_u24_e32 v27, 0x108, v13
	v_cmp_gt_i32_e32 vcc, s19, v11
	s_and_saveexec_b64 s[36:37], vcc
	s_cbranch_execz .LBB160_39
; %bb.38:
	s_lshl_b64 s[40:41], s[22:23], 6
	v_mov_b32_e32 v10, s41
	v_add_co_u32_e32 v9, vcc, s40, v7
	v_addc_co_u32_e32 v10, vcc, v8, v10, vcc
	flat_load_dwordx2 v[9:10], v[9:10]
.LBB160_39:
	s_or_b64 exec, exec, s[36:37]
	v_add_u32_e32 v27, v27, v20
	s_waitcnt vmcnt(0) lgkmcnt(0)
	ds_write_b64 v27, v[9:10] offset:2112
	v_add_u32_e32 v28, 16, v13
	v_mov_b32_e32 v9, 0
	v_mov_b32_e32 v11, 0
	;; [unrolled: 1-line block ×4, first 2 shown]
	v_cmp_gt_i32_e32 vcc, s19, v28
	s_and_saveexec_b64 s[36:37], vcc
	s_cbranch_execz .LBB160_41
; %bb.40:
	s_lshl_b64 s[40:41], s[22:23], 7
	v_mov_b32_e32 v12, s41
	v_add_co_u32_e32 v11, vcc, s40, v7
	v_addc_co_u32_e32 v12, vcc, v8, v12, vcc
	flat_load_dwordx2 v[11:12], v[11:12]
.LBB160_41:
	s_or_b64 exec, exec, s[36:37]
	s_waitcnt vmcnt(0) lgkmcnt(0)
	ds_write_b64 v27, v[11:12] offset:4224
	v_add_u32_e32 v11, 24, v13
	v_cmp_gt_i32_e32 vcc, s19, v11
	s_and_saveexec_b64 s[36:37], vcc
	s_cbranch_execz .LBB160_43
; %bb.42:
	v_mov_b32_e32 v9, 0xc0
	v_mad_u64_u32 v[9:10], s[40:41], s22, v9, v[7:8]
	s_mul_i32 s19, s23, 0xc0
	v_add_u32_e32 v10, s19, v10
	flat_load_dwordx2 v[9:10], v[9:10]
.LBB160_43:
	s_or_b64 exec, exec, s[36:37]
	v_add_co_u32_e32 v7, vcc, v7, v18
	v_addc_co_u32_e32 v8, vcc, 0, v8, vcc
	s_waitcnt vmcnt(0) lgkmcnt(0)
	ds_write_b64 v27, v[9:10] offset:6336
	v_mov_b32_e32 v9, s35
	v_subrev_co_u32_e32 v7, vcc, s34, v7
	v_subb_co_u32_e32 v8, vcc, v8, v9, vcc
	v_add_co_u32_e32 v7, vcc, 0x108, v7
	v_addc_co_u32_e32 v8, vcc, 0, v8, vcc
	v_cndmask_b32_e64 v8, v8, v4, s[12:13]
	v_cndmask_b32_e64 v7, v7, v3, s[12:13]
	v_mul_u32_u24_e32 v9, 0x420, v13
	s_branch .LBB160_46
.LBB160_44:
                                        ; implicit-def: $vgpr7_vgpr8
	v_mul_u32_u24_e32 v9, 0x420, v13
	s_cbranch_execz .LBB160_46
; %bb.45:
	s_lshl_b64 s[12:13], s[22:23], 6
	v_mov_b32_e32 v12, s13
	v_add_co_u32_e32 v7, vcc, s12, v5
	v_addc_co_u32_e32 v8, vcc, v6, v12, vcc
	v_add_co_u32_e32 v10, vcc, s12, v7
	v_addc_co_u32_e32 v11, vcc, v8, v12, vcc
	;; [unrolled: 2-line block ×3, first 2 shown]
	flat_load_dwordx2 v[29:30], v[5:6] offset:256
	flat_load_dwordx2 v[31:32], v[7:8] offset:256
	;; [unrolled: 1-line block ×4, first 2 shown]
	s_movk_i32 s12, 0x108
	v_mov_b32_e32 v8, v4
	v_mad_u32_u24 v5, v13, s12, v20
	v_mov_b32_e32 v7, v3
	s_waitcnt vmcnt(0) lgkmcnt(0)
	ds_write_b64 v5, v[29:30]
	ds_write_b64 v5, v[31:32] offset:2112
	ds_write_b64 v5, v[33:34] offset:4224
	;; [unrolled: 1-line block ×3, first 2 shown]
.LBB160_46:
	v_mul_u32_u24_e32 v4, 0x108, v22
	v_add_u32_e32 v11, v20, v9
	v_lshl_add_u32 v3, v19, 3, v25
	s_waitcnt lgkmcnt(0)
	s_barrier
	s_and_saveexec_b64 s[12:13], s[4:5]
	s_cbranch_execz .LBB160_50
; %bb.47:
	ds_read_b64 v[5:6], v11
	s_waitcnt lgkmcnt(0)
	ds_write_b64 v3, v[5:6]
	s_or_b64 exec, exec, s[12:13]
	v_add_u32_e32 v27, v20, v4
	s_and_saveexec_b64 s[4:5], s[14:15]
	s_cbranch_execnz .LBB160_51
.LBB160_48:
	s_or_b64 exec, exec, s[4:5]
	s_and_saveexec_b64 s[4:5], s[8:9]
	s_cbranch_execz .LBB160_52
.LBB160_49:
	ds_read_b64 v[4:5], v27 offset:264
	s_waitcnt lgkmcnt(0)
	ds_write_b64 v3, v[4:5] offset:16
	s_or_b64 exec, exec, s[4:5]
	v_add_u32_e32 v28, 0x2380, v23
	s_and_saveexec_b64 s[4:5], s[10:11]
	s_cbranch_execnz .LBB160_53
	s_branch .LBB160_54
.LBB160_50:
	s_or_b64 exec, exec, s[12:13]
	v_add_u32_e32 v27, v20, v4
	s_and_saveexec_b64 s[4:5], s[14:15]
	s_cbranch_execz .LBB160_48
.LBB160_51:
	ds_read_b64 v[4:5], v27
	s_waitcnt lgkmcnt(0)
	ds_write_b64 v3, v[4:5] offset:8
	s_or_b64 exec, exec, s[4:5]
	s_and_saveexec_b64 s[4:5], s[8:9]
	s_cbranch_execnz .LBB160_49
.LBB160_52:
	s_or_b64 exec, exec, s[4:5]
	v_add_u32_e32 v28, 0x2380, v23
	s_and_saveexec_b64 s[4:5], s[10:11]
	s_cbranch_execz .LBB160_54
.LBB160_53:
	ds_read_b64 v[4:5], v21
	s_waitcnt lgkmcnt(0)
	ds_write_b64 v3, v[4:5] offset:24
.LBB160_54:
	s_or_b64 exec, exec, s[4:5]
	s_waitcnt lgkmcnt(0)
	s_barrier
	ds_read_b64 v[9:10], v11
	ds_read_b128 v[3:6], v28 offset:256
	ds_read_b128 v[29:32], v28 offset:272
	ds_read_b64 v[22:23], v21
	ds_read2_b64 v[33:36], v27 offset1:33
	v_cmp_eq_u32_e64 s[4:5], 1, v13
	s_waitcnt lgkmcnt(3)
	v_fma_f64 v[3:4], v[9:10], v[3:4], 0
	s_waitcnt lgkmcnt(0)
	s_barrier
	v_fma_f64 v[3:4], v[33:34], v[5:6], v[3:4]
	v_fma_f64 v[3:4], v[35:36], v[29:30], v[3:4]
	;; [unrolled: 1-line block ×3, first 2 shown]
	ds_write_b64 v26, v[3:4]
	s_waitcnt lgkmcnt(0)
	s_barrier
	s_and_saveexec_b64 s[8:9], s[4:5]
	s_cbranch_execz .LBB160_56
; %bb.55:
	ds_read2_b64 v[3:6], v25 offset1:1
	ds_read2_b64 v[29:32], v25 offset0:2 offset1:3
	s_waitcnt lgkmcnt(1)
	v_add_f64 v[3:4], v[3:4], v[5:6]
	s_waitcnt lgkmcnt(0)
	v_add_f64 v[3:4], v[3:4], v[29:30]
	v_add_f64 v[9:10], v[3:4], v[31:32]
	ds_read2_b64 v[3:6], v25 offset0:4 offset1:5
	ds_read2_b64 v[29:32], v25 offset0:6 offset1:7
	s_waitcnt lgkmcnt(1)
	v_add_f64 v[3:4], v[9:10], v[3:4]
	v_add_f64 v[3:4], v[3:4], v[5:6]
	s_waitcnt lgkmcnt(0)
	v_add_f64 v[3:4], v[3:4], v[29:30]
	v_add_f64 v[60:61], v[3:4], v[31:32]
.LBB160_56:
	s_or_b64 exec, exec, s[8:9]
	v_add_co_u32_e32 v3, vcc, 0xffffff00, v7
	v_addc_co_u32_e32 v4, vcc, -1, v8, vcc
	s_and_b64 vcc, exec, s[30:31]
	s_barrier
	s_cbranch_vccz .LBB160_66
; %bb.57:
	v_sub_co_u32_e32 v5, vcc, v3, v18
	s_ashr_i32 s19, s18, 31
	v_subbrev_co_u32_e32 v6, vcc, 0, v4, vcc
	s_lshl_b64 s[10:11], s[18:19], 3
	v_mov_b32_e32 v7, s11
	v_add_co_u32_e32 v5, vcc, s10, v5
	v_addc_co_u32_e32 v6, vcc, v6, v7, vcc
	v_add_co_u32_e32 v5, vcc, -8, v5
	v_addc_co_u32_e32 v6, vcc, -1, v6, vcc
	v_cmp_gt_i32_e32 vcc, s18, v2
	s_sub_i32 s14, s18, 32
	v_mov_b32_e32 v7, 0
	v_mov_b32_e32 v9, 0
	v_cndmask_b32_e32 v6, v6, v4, vcc
	v_cndmask_b32_e32 v5, v5, v3, vcc
	v_mov_b32_e32 v8, 0
	v_mov_b32_e32 v10, 0
	v_cmp_gt_i32_e64 s[8:9], s14, v13
	s_and_saveexec_b64 s[12:13], s[8:9]
	s_cbranch_execz .LBB160_59
; %bb.58:
	flat_load_dwordx2 v[9:10], v[5:6]
.LBB160_59:
	s_or_b64 exec, exec, s[12:13]
	s_movk_i32 s8, 0x108
	v_mad_u32_u24 v2, v13, s8, v20
	s_waitcnt vmcnt(0) lgkmcnt(0)
	ds_write_b64 v2, v[9:10]
	v_add_u32_e32 v2, 8, v13
	v_mul_u32_u24_e32 v12, 0x108, v13
	v_cmp_gt_i32_e64 s[8:9], s14, v2
	s_and_saveexec_b64 s[12:13], s[8:9]
	s_cbranch_execz .LBB160_61
; %bb.60:
	s_lshl_b64 s[8:9], s[22:23], 6
	v_mov_b32_e32 v8, s9
	v_add_co_u32_e64 v7, s[8:9], s8, v5
	v_addc_co_u32_e64 v8, s[8:9], v6, v8, s[8:9]
	flat_load_dwordx2 v[7:8], v[7:8]
.LBB160_61:
	s_or_b64 exec, exec, s[12:13]
	v_add_u32_e32 v19, v12, v20
	s_waitcnt vmcnt(0) lgkmcnt(0)
	ds_write_b64 v19, v[7:8] offset:2112
	v_add_u32_e32 v12, 16, v13
	v_mov_b32_e32 v7, 0
	v_mov_b32_e32 v9, 0
	;; [unrolled: 1-line block ×4, first 2 shown]
	v_cmp_gt_i32_e64 s[8:9], s14, v12
	s_and_saveexec_b64 s[12:13], s[8:9]
	s_cbranch_execz .LBB160_63
; %bb.62:
	s_lshl_b64 s[8:9], s[22:23], 7
	v_mov_b32_e32 v10, s9
	v_add_co_u32_e64 v9, s[8:9], s8, v5
	v_addc_co_u32_e64 v10, s[8:9], v6, v10, s[8:9]
	flat_load_dwordx2 v[9:10], v[9:10]
.LBB160_63:
	s_or_b64 exec, exec, s[12:13]
	s_waitcnt vmcnt(0) lgkmcnt(0)
	ds_write_b64 v19, v[9:10] offset:4224
	v_add_u32_e32 v9, 24, v13
	v_cmp_gt_i32_e64 s[8:9], s14, v9
	s_and_saveexec_b64 s[12:13], s[8:9]
	s_cbranch_execz .LBB160_65
; %bb.64:
	v_mov_b32_e32 v7, 0xc0
	v_mad_u64_u32 v[7:8], s[8:9], s22, v7, v[5:6]
	s_mul_i32 s8, s23, 0xc0
	v_add_u32_e32 v8, s8, v8
	flat_load_dwordx2 v[7:8], v[7:8]
.LBB160_65:
	s_or_b64 exec, exec, s[12:13]
	v_add_co_u32_e64 v5, s[8:9], v5, v18
	v_addc_co_u32_e64 v6, s[8:9], 0, v6, s[8:9]
	s_waitcnt vmcnt(0) lgkmcnt(0)
	ds_write_b64 v19, v[7:8] offset:6336
	v_mov_b32_e32 v7, s11
	v_subrev_co_u32_e64 v5, s[8:9], s10, v5
	v_subb_co_u32_e64 v6, s[8:9], v6, v7, s[8:9]
	v_add_co_u32_e64 v5, s[8:9], 8, v5
	v_addc_co_u32_e64 v6, s[8:9], 0, v6, s[8:9]
	v_cndmask_b32_e32 v19, v6, v4, vcc
	v_cndmask_b32_e32 v18, v5, v3, vcc
	s_branch .LBB160_68
.LBB160_66:
                                        ; implicit-def: $vgpr18_vgpr19
                                        ; implicit-def: $vgpr2
                                        ; implicit-def: $vgpr12
                                        ; implicit-def: $vgpr9
	s_cbranch_execz .LBB160_68
; %bb.67:
	s_lshl_b64 s[8:9], s[22:23], 6
	v_mov_b32_e32 v2, s9
	v_add_co_u32_e32 v5, vcc, s8, v3
	v_addc_co_u32_e32 v6, vcc, v4, v2, vcc
	v_add_co_u32_e32 v7, vcc, s8, v5
	v_addc_co_u32_e32 v8, vcc, v6, v2, vcc
	;; [unrolled: 2-line block ×3, first 2 shown]
	flat_load_dwordx2 v[18:19], v[3:4]
	flat_load_dwordx2 v[22:23], v[5:6]
	;; [unrolled: 1-line block ×4, first 2 shown]
	s_movk_i32 s8, 0x108
	v_mad_u32_u24 v5, v13, s8, v20
	v_add_u32_e32 v2, 8, v13
	v_add_u32_e32 v12, 16, v13
	;; [unrolled: 1-line block ×3, first 2 shown]
	s_waitcnt vmcnt(0) lgkmcnt(0)
	ds_write_b64 v5, v[18:19]
	ds_write_b64 v5, v[22:23] offset:2112
	ds_write_b64 v5, v[29:30] offset:4224
	;; [unrolled: 1-line block ×3, first 2 shown]
	v_mov_b32_e32 v19, v4
	v_mov_b32_e32 v18, v3
.LBB160_68:
	v_lshlrev_b32_e32 v6, 3, v13
	v_add_u32_e32 v3, v25, v6
	s_waitcnt lgkmcnt(0)
	s_barrier
	v_lshlrev_b32_e32 v8, 3, v2
	ds_read_b64 v[2:3], v3
	ds_read_b64 v[4:5], v8 offset:9088
	ds_read_b64 v[6:7], v6 offset:9088
	ds_read_b64 v[20:21], v21
	v_lshlrev_b32_e32 v10, 3, v12
	v_lshlrev_b32_e32 v22, 3, v9
	s_waitcnt lgkmcnt(1)
	v_fma_f64 v[2:3], v[2:3], v[6:7], 0
	v_add_u32_e32 v6, v25, v8
	ds_read_b64 v[6:7], v6
	ds_read_b64 v[8:9], v22 offset:9088
	ds_read_b64 v[12:13], v10 offset:9088
	s_waitcnt lgkmcnt(2)
	v_fma_f64 v[2:3], v[6:7], v[4:5], v[2:3]
	v_add_u32_e32 v4, v25, v10
	ds_read_b64 v[4:5], v4
	s_waitcnt lgkmcnt(0)
	v_fma_f64 v[2:3], v[4:5], v[12:13], v[2:3]
	v_add_u32_e32 v4, v25, v22
	ds_read_b64 v[4:5], v4
	ds_read_b64 v[22:23], v11
	s_waitcnt lgkmcnt(1)
	v_fma_f64 v[29:30], v[4:5], v[8:9], v[2:3]
	ds_read_b128 v[10:13], v28 offset:256
	ds_read_b128 v[2:5], v28 offset:272
	ds_read2_b64 v[6:9], v27 offset1:33
	s_waitcnt lgkmcnt(0)
	s_barrier
	ds_write_b64 v26, v[29:30]
	s_waitcnt lgkmcnt(0)
	s_barrier
	s_and_saveexec_b64 s[8:9], s[4:5]
	s_cbranch_execz .LBB160_70
; %bb.69:
	ds_read2_b64 v[27:30], v25 offset1:1
	ds_read2_b64 v[31:34], v25 offset0:2 offset1:3
	s_waitcnt lgkmcnt(1)
	v_add_f64 v[27:28], v[60:61], v[27:28]
	v_add_f64 v[27:28], v[27:28], v[29:30]
	s_waitcnt lgkmcnt(0)
	v_add_f64 v[27:28], v[27:28], v[31:32]
	v_add_f64 v[35:36], v[27:28], v[33:34]
	ds_read2_b64 v[27:30], v25 offset0:4 offset1:5
	ds_read2_b64 v[31:34], v25 offset0:6 offset1:7
	s_waitcnt lgkmcnt(1)
	v_add_f64 v[27:28], v[35:36], v[27:28]
	v_add_f64 v[27:28], v[27:28], v[29:30]
	s_waitcnt lgkmcnt(0)
	v_add_f64 v[27:28], v[27:28], v[31:32]
	v_add_f64 v[60:61], v[27:28], v[33:34]
.LBB160_70:
	s_or_b64 exec, exec, s[8:9]
	v_fma_f64 v[10:11], v[22:23], v[10:11], 0
	s_barrier
	v_fma_f64 v[6:7], v[6:7], v[12:13], v[10:11]
	v_fma_f64 v[2:3], v[8:9], v[2:3], v[6:7]
	;; [unrolled: 1-line block ×3, first 2 shown]
	ds_write_b64 v26, v[2:3]
	s_waitcnt lgkmcnt(0)
	s_barrier
	s_and_saveexec_b64 s[4:5], s[2:3]
	s_cbranch_execz .LBB160_72
; %bb.71:
	ds_read2_b64 v[2:5], v25 offset1:1
	ds_read2_b64 v[6:9], v25 offset0:2 offset1:3
	s_waitcnt lgkmcnt(1)
	v_add_f64 v[2:3], v[60:61], v[2:3]
	v_add_f64 v[2:3], v[2:3], v[4:5]
	s_waitcnt lgkmcnt(0)
	v_add_f64 v[2:3], v[2:3], v[6:7]
	v_add_f64 v[10:11], v[2:3], v[8:9]
	ds_read2_b64 v[2:5], v25 offset0:4 offset1:5
	ds_read2_b64 v[6:9], v25 offset0:6 offset1:7
	s_waitcnt lgkmcnt(1)
	v_add_f64 v[2:3], v[10:11], v[2:3]
	v_add_f64 v[2:3], v[2:3], v[4:5]
	s_waitcnt lgkmcnt(0)
	v_add_f64 v[2:3], v[2:3], v[6:7]
	v_add_f64 v[60:61], v[2:3], v[8:9]
.LBB160_72:
	s_or_b64 exec, exec, s[4:5]
	s_mul_hi_u32 s2, s33, s26
	s_mul_i32 s38, s38, s26
	s_add_i32 s2, s2, s38
	s_mul_i32 s4, s33, s26
	s_mul_i32 s2, s2, s7
	s_mul_hi_u32 s3, s4, s7
	s_add_i32 s3, s3, s2
	s_mul_i32 s2, s4, s7
	s_lshl_b64 s[2:3], s[2:3], 3
	s_add_u32 s4, s28, s2
	s_addc_u32 s5, s29, s3
	s_mul_hi_i32 s3, s33, s6
	s_mul_i32 s2, s33, s6
	s_lshl_b64 s[2:3], s[2:3], 3
	s_add_u32 s14, s4, s2
	s_addc_u32 s15, s5, s3
	s_add_i32 s2, s6, 1
	s_cmp_ge_u32 s2, s7
	v_lshlrev_b32_e32 v94, 3, v0
	s_barrier
	s_cbranch_scc1 .LBB160_129
; %bb.73:
	v_lshlrev_b32_e32 v7, 5, v1
	v_add_u32_e32 v4, 0x110, v7
	v_mad_u64_u32 v[2:3], s[2:3], s22, v4, 0
	v_add_u32_e32 v6, 0x118, v7
	v_add_u32_e32 v20, 0x190, v7
	v_mad_u64_u32 v[3:4], s[2:3], s23, v4, v[3:4]
	v_mad_u64_u32 v[4:5], s[2:3], s22, v6, 0
	v_sub_co_u32_e32 v8, vcc, v2, v16
	v_mov_b32_e32 v2, v5
	v_subb_co_u32_e32 v9, vcc, v3, v17, vcc
	v_mad_u64_u32 v[2:3], s[2:3], s23, v6, v[2:3]
	v_add_u32_e32 v3, 0x108, v7
	v_mad_u64_u32 v[5:6], s[2:3], s22, v3, 0
	v_sub_co_u32_e32 v10, vcc, v4, v16
	v_subb_co_u32_e32 v11, vcc, v2, v17, vcc
	v_mov_b32_e32 v2, v6
	v_mad_u64_u32 v[2:3], s[2:3], s23, v3, v[2:3]
	v_add_u32_e32 v6, 0x100, v7
	v_mad_u64_u32 v[3:4], s[2:3], s22, v6, 0
	v_sub_co_u32_e32 v12, vcc, v5, v16
	v_subb_co_u32_e32 v13, vcc, v2, v17, vcc
	v_mov_b32_e32 v2, v4
	v_mad_u64_u32 v[4:5], s[2:3], s23, v6, v[2:3]
	v_mad_u64_u32 v[5:6], s[2:3], s22, v20, 0
	v_sub_co_u32_e32 v21, vcc, v3, v16
	v_mov_b32_e32 v2, v6
	v_mad_u64_u32 v[2:3], s[2:3], s23, v20, v[2:3]
	v_add_u32_e32 v6, 0x198, v7
	v_subb_co_u32_e32 v22, vcc, v4, v17, vcc
	v_mad_u64_u32 v[3:4], s[2:3], s22, v6, 0
	v_sub_co_u32_e32 v20, vcc, v5, v16
	v_subb_co_u32_e32 v23, vcc, v2, v17, vcc
	v_mov_b32_e32 v2, v4
	v_mad_u64_u32 v[4:5], s[2:3], s23, v6, v[2:3]
	v_add_u32_e32 v25, 0x188, v7
	v_mad_u64_u32 v[5:6], s[2:3], s22, v25, 0
	v_sub_co_u32_e32 v26, vcc, v3, v16
	v_mov_b32_e32 v2, v6
	v_mad_u64_u32 v[2:3], s[2:3], s23, v25, v[2:3]
	v_add_u32_e32 v6, 0x180, v7
	v_subb_co_u32_e32 v27, vcc, v4, v17, vcc
	v_mad_u64_u32 v[3:4], s[2:3], s22, v6, 0
	v_sub_co_u32_e32 v25, vcc, v5, v16
	v_subb_co_u32_e32 v28, vcc, v2, v17, vcc
	v_mov_b32_e32 v2, v4
	v_mad_u64_u32 v[4:5], s[2:3], s23, v6, v[2:3]
	v_add_u32_e32 v29, 0x210, v7
	;; [unrolled: 12-line block ×5, first 2 shown]
	v_mad_u64_u32 v[5:6], s[2:3], s22, v41, 0
	v_sub_co_u32_e32 v42, vcc, v3, v16
	v_mov_b32_e32 v2, v6
	v_mad_u64_u32 v[2:3], s[2:3], s23, v41, v[2:3]
	v_add_u32_e32 v6, 0x280, v7
	v_subb_co_u32_e32 v43, vcc, v4, v17, vcc
	v_mad_u64_u32 v[3:4], s[2:3], s22, v6, 0
	v_sub_co_u32_e32 v41, vcc, v5, v16
	v_subb_co_u32_e32 v44, vcc, v2, v17, vcc
	v_mov_b32_e32 v2, v4
	v_mad_u64_u32 v[4:5], s[2:3], s23, v6, v[2:3]
	s_mul_i32 s2, s16, s25
	s_mul_hi_u32 s3, s16, s24
	s_add_i32 s2, s3, s2
	s_mul_i32 s3, s17, s24
	v_sub_co_u32_e32 v2, vcc, v3, v16
	s_add_i32 s3, s2, s3
	s_mul_i32 s2, s16, s24
	v_subb_co_u32_e32 v3, vcc, v4, v17, vcc
	s_lshl_b64 s[2:3], s[2:3], 3
	v_mov_b32_e32 v4, s3
	v_subrev_co_u32_e32 v96, vcc, s2, v14
	v_subb_co_u32_e32 v97, vcc, v15, v4, vcc
	v_add_co_u32_e32 v99, vcc, v18, v8
	v_addc_co_u32_e32 v100, vcc, v19, v9, vcc
	v_add_co_u32_e32 v101, vcc, v18, v10
	v_addc_co_u32_e32 v102, vcc, v19, v11, vcc
	;; [unrolled: 2-line block ×15, first 2 shown]
	v_add_co_u32_e32 v129, vcc, v18, v2
	v_and_b32_e32 v2, 48, v0
	v_lshrrev_b32_e32 v4, 4, v24
	v_and_b32_e32 v5, 15, v0
	s_movk_i32 s4, 0x218
	v_lshlrev_b32_e32 v2, 3, v2
	v_lshlrev_b32_e32 v6, 5, v4
	v_mad_u32_u24 v131, v5, s4, v2
	v_or_b32_e32 v2, 0x78, v94
	v_lshlrev_b32_e32 v95, 2, v1
	v_mad_u32_u24 v98, v5, s4, v6
	v_mad_u32_u24 v132, v5, s4, v2
	s_movk_i32 s4, 0x860
	v_mul_i32_i24_e32 v2, 0xffffffe8, v4
	s_add_i32 s19, s7, -2
	v_cmp_gt_u32_e64 s[2:3], 64, v24
	v_addc_co_u32_e32 v130, vcc, v19, v3, vcc
	v_add_u32_e32 v133, 0x2180, v94
	v_add_u32_e32 v134, 0x2180, v7
	s_add_i32 s24, s24, 64
	s_lshl_b64 s[8:9], s[22:23], 9
	v_add_u32_e32 v135, v98, v2
	v_add_u32_e32 v136, 0x2380, v94
	v_mad_u32_u24 v137, v1, s4, v94
	v_or_b32_e32 v138, 1, v95
	v_or_b32_e32 v139, 2, v95
	;; [unrolled: 1-line block ×3, first 2 shown]
	v_add_u32_e32 v141, 16, v95
	v_add_u32_e32 v142, 17, v95
	;; [unrolled: 1-line block ×12, first 2 shown]
	s_cmp_eq_u32 s19, s6
	s_cselect_b32 s22, s27, 0
	s_and_saveexec_b64 s[4:5], s[0:1]
	s_cbranch_execz .LBB160_78
	s_branch .LBB160_75
.LBB160_74:                             ;   in Loop: Header=BB160_78 Depth=1
	s_mov_b32 s6, s4
	s_cmp_eq_u32 s19, s6
	s_cselect_b32 s22, s27, 0
	s_and_saveexec_b64 s[4:5], s[0:1]
	s_cbranch_execz .LBB160_78
.LBB160_75:
	s_cmp_eq_u32 s22, 0
	s_cselect_b64 s[10:11], -1, 0
	v_cmp_gt_i32_e32 vcc, s22, v0
	v_mov_b32_e32 v2, 0
	v_mov_b32_e32 v3, 0
	s_or_b64 s[12:13], s[10:11], vcc
	s_and_saveexec_b64 s[10:11], s[12:13]
	s_cbranch_execz .LBB160_77
; %bb.76:
	s_ashr_i32 s12, s24, 31
	s_mul_hi_u32 s13, s16, s24
	s_mul_i32 s12, s16, s12
	s_add_i32 s12, s13, s12
	s_mul_i32 s13, s17, s24
	s_add_i32 s13, s12, s13
	s_mul_i32 s12, s16, s24
	s_lshl_b64 s[12:13], s[12:13], 3
	v_mov_b32_e32 v3, s13
	v_add_co_u32_e32 v2, vcc, s12, v96
	v_addc_co_u32_e32 v3, vcc, v97, v3, vcc
	flat_load_dwordx2 v[2:3], v[2:3]
.LBB160_77:
	s_or_b64 exec, exec, s[10:11]
	s_waitcnt vmcnt(0) lgkmcnt(0)
	ds_write_b64 v133, v[2:3]
.LBB160_78:                             ; =>This Inner Loop Header: Depth=1
	s_or_b64 exec, exec, s[4:5]
	s_cmp_eq_u32 s22, 0
	v_add_co_u32_e32 v2, vcc, v105, v94
	s_cselect_b64 s[10:11], -1, 0
	s_cmp_lg_u32 s22, 0
	v_addc_co_u32_e32 v3, vcc, 0, v106, vcc
	s_cselect_b64 s[12:13], -1, 0
	s_mov_b64 s[4:5], -1
	s_and_b64 vcc, exec, s[12:13]
	s_waitcnt lgkmcnt(0)
	s_barrier
                                        ; implicit-def: $vgpr68_vgpr69
                                        ; implicit-def: $vgpr66_vgpr67
                                        ; implicit-def: $vgpr64_vgpr65
                                        ; implicit-def: $vgpr62_vgpr63
	s_cbranch_vccz .LBB160_88
; %bb.79:                               ;   in Loop: Header=BB160_78 Depth=1
	v_mov_b32_e32 v64, 0
	v_mov_b32_e32 v62, 0
	;; [unrolled: 1-line block ×4, first 2 shown]
	v_cmp_gt_i32_e32 vcc, s22, v95
	s_and_saveexec_b64 s[4:5], vcc
	s_cbranch_execz .LBB160_81
; %bb.80:                               ;   in Loop: Header=BB160_78 Depth=1
	flat_load_dwordx2 v[62:63], v[2:3]
.LBB160_81:                             ;   in Loop: Header=BB160_78 Depth=1
	s_or_b64 exec, exec, s[4:5]
	v_cmp_gt_i32_e32 vcc, s22, v138
	s_and_saveexec_b64 s[4:5], vcc
	s_cbranch_execz .LBB160_83
; %bb.82:                               ;   in Loop: Header=BB160_78 Depth=1
	v_add_co_u32_e32 v4, vcc, v103, v94
	v_addc_co_u32_e32 v5, vcc, 0, v104, vcc
	flat_load_dwordx2 v[64:65], v[4:5]
.LBB160_83:                             ;   in Loop: Header=BB160_78 Depth=1
	s_or_b64 exec, exec, s[4:5]
	v_mov_b32_e32 v68, 0
	v_mov_b32_e32 v66, 0
	;; [unrolled: 1-line block ×4, first 2 shown]
	v_cmp_gt_i32_e32 vcc, s22, v139
	s_and_saveexec_b64 s[4:5], vcc
	s_cbranch_execz .LBB160_85
; %bb.84:                               ;   in Loop: Header=BB160_78 Depth=1
	v_add_co_u32_e32 v4, vcc, v99, v94
	v_addc_co_u32_e32 v5, vcc, 0, v100, vcc
	flat_load_dwordx2 v[66:67], v[4:5]
.LBB160_85:                             ;   in Loop: Header=BB160_78 Depth=1
	s_or_b64 exec, exec, s[4:5]
	v_cmp_gt_i32_e32 vcc, s22, v140
	s_and_saveexec_b64 s[4:5], vcc
	s_cbranch_execz .LBB160_87
; %bb.86:                               ;   in Loop: Header=BB160_78 Depth=1
	v_add_co_u32_e32 v4, vcc, v101, v94
	v_addc_co_u32_e32 v5, vcc, 0, v102, vcc
	flat_load_dwordx2 v[68:69], v[4:5]
.LBB160_87:                             ;   in Loop: Header=BB160_78 Depth=1
	s_or_b64 exec, exec, s[4:5]
	s_mov_b64 s[4:5], 0
.LBB160_88:                             ;   in Loop: Header=BB160_78 Depth=1
	s_and_b64 vcc, exec, s[4:5]
	s_cbranch_vccz .LBB160_90
; %bb.89:                               ;   in Loop: Header=BB160_78 Depth=1
	s_waitcnt vmcnt(0) lgkmcnt(0)
	flat_load_dwordx2 v[62:63], v[2:3]
	v_add_co_u32_e32 v2, vcc, v103, v94
	v_addc_co_u32_e32 v3, vcc, 0, v104, vcc
	flat_load_dwordx2 v[64:65], v[2:3]
	v_add_co_u32_e32 v2, vcc, v99, v94
	v_addc_co_u32_e32 v3, vcc, 0, v100, vcc
	flat_load_dwordx2 v[66:67], v[2:3]
	v_add_co_u32_e32 v2, vcc, v101, v94
	v_addc_co_u32_e32 v3, vcc, 0, v102, vcc
	flat_load_dwordx2 v[68:69], v[2:3]
.LBB160_90:                             ;   in Loop: Header=BB160_78 Depth=1
	ds_read_b64 v[2:3], v136
	v_add_co_u32_e32 v18, vcc, v113, v94
	v_addc_co_u32_e32 v19, vcc, 0, v114, vcc
	s_waitcnt vmcnt(0) lgkmcnt(0)
	v_mul_f64 v[10:11], v[62:63], v[2:3]
	v_mul_f64 v[12:13], v[64:65], v[2:3]
	;; [unrolled: 1-line block ×4, first 2 shown]
	ds_read_b128 v[6:9], v134
	ds_read_b128 v[2:5], v134 offset:16
	v_cndmask_b32_e64 v20, 0, 1, s[12:13]
	v_cmp_ne_u32_e64 s[4:5], 1, v20
	s_andn2_b64 vcc, exec, s[12:13]
	ds_write2_b64 v137, v[10:11], v[12:13] offset1:67
	ds_write2_b64 v137, v[14:15], v[16:17] offset0:134 offset1:201
	s_waitcnt lgkmcnt(0)
	s_barrier
	ds_read2_b64 v[14:17], v98 offset1:1
	ds_read2_b64 v[10:13], v98 offset0:2 offset1:3
	s_mov_b64 s[12:13], -1
	s_waitcnt lgkmcnt(0)
	s_barrier
                                        ; implicit-def: $vgpr76_vgpr77
                                        ; implicit-def: $vgpr74_vgpr75
                                        ; implicit-def: $vgpr72_vgpr73
                                        ; implicit-def: $vgpr70_vgpr71
	s_cbranch_vccnz .LBB160_100
; %bb.91:                               ;   in Loop: Header=BB160_78 Depth=1
	v_mov_b32_e32 v72, 0
	v_mov_b32_e32 v70, 0
	;; [unrolled: 1-line block ×4, first 2 shown]
	v_cmp_gt_i32_e32 vcc, s22, v141
	s_and_saveexec_b64 s[12:13], vcc
	s_cbranch_execz .LBB160_93
; %bb.92:                               ;   in Loop: Header=BB160_78 Depth=1
	flat_load_dwordx2 v[70:71], v[18:19]
.LBB160_93:                             ;   in Loop: Header=BB160_78 Depth=1
	s_or_b64 exec, exec, s[12:13]
	v_cmp_gt_i32_e32 vcc, s22, v142
	s_and_saveexec_b64 s[12:13], vcc
	s_cbranch_execz .LBB160_95
; %bb.94:                               ;   in Loop: Header=BB160_78 Depth=1
	v_add_co_u32_e32 v20, vcc, v111, v94
	v_addc_co_u32_e32 v21, vcc, 0, v112, vcc
	flat_load_dwordx2 v[72:73], v[20:21]
.LBB160_95:                             ;   in Loop: Header=BB160_78 Depth=1
	s_or_b64 exec, exec, s[12:13]
	v_mov_b32_e32 v76, 0
	v_mov_b32_e32 v74, 0
	;; [unrolled: 1-line block ×4, first 2 shown]
	v_cmp_gt_i32_e32 vcc, s22, v143
	s_and_saveexec_b64 s[12:13], vcc
	s_cbranch_execz .LBB160_97
; %bb.96:                               ;   in Loop: Header=BB160_78 Depth=1
	v_add_co_u32_e32 v20, vcc, v107, v94
	v_addc_co_u32_e32 v21, vcc, 0, v108, vcc
	flat_load_dwordx2 v[74:75], v[20:21]
.LBB160_97:                             ;   in Loop: Header=BB160_78 Depth=1
	s_or_b64 exec, exec, s[12:13]
	v_cmp_gt_i32_e32 vcc, s22, v144
	s_and_saveexec_b64 s[12:13], vcc
	s_cbranch_execz .LBB160_99
; %bb.98:                               ;   in Loop: Header=BB160_78 Depth=1
	v_add_co_u32_e32 v20, vcc, v109, v94
	v_addc_co_u32_e32 v21, vcc, 0, v110, vcc
	flat_load_dwordx2 v[76:77], v[20:21]
.LBB160_99:                             ;   in Loop: Header=BB160_78 Depth=1
	s_or_b64 exec, exec, s[12:13]
	s_mov_b64 s[12:13], 0
.LBB160_100:                            ;   in Loop: Header=BB160_78 Depth=1
	s_and_b64 vcc, exec, s[12:13]
	s_cbranch_vccz .LBB160_102
; %bb.101:                              ;   in Loop: Header=BB160_78 Depth=1
	s_waitcnt vmcnt(0) lgkmcnt(0)
	flat_load_dwordx2 v[70:71], v[18:19]
	v_add_co_u32_e32 v18, vcc, v111, v94
	v_addc_co_u32_e32 v19, vcc, 0, v112, vcc
	flat_load_dwordx2 v[72:73], v[18:19]
	v_add_co_u32_e32 v18, vcc, v107, v94
	v_addc_co_u32_e32 v19, vcc, 0, v108, vcc
	;; [unrolled: 3-line block ×3, first 2 shown]
	flat_load_dwordx2 v[76:77], v[18:19]
.LBB160_102:                            ;   in Loop: Header=BB160_78 Depth=1
	ds_read_b64 v[18:19], v136
	s_mov_b64 s[12:13], -1
                                        ; implicit-def: $vgpr82_vgpr83
                                        ; implicit-def: $vgpr84_vgpr85
                                        ; implicit-def: $vgpr80_vgpr81
                                        ; implicit-def: $vgpr78_vgpr79
	s_waitcnt vmcnt(0) lgkmcnt(0)
	v_mul_f64 v[26:27], v[70:71], v[18:19]
	v_mul_f64 v[28:29], v[72:73], v[18:19]
	;; [unrolled: 1-line block ×4, first 2 shown]
	ds_read_b128 v[22:25], v134 offset:128
	ds_read_b128 v[18:21], v134 offset:144
	ds_write2_b64 v137, v[26:27], v[28:29] offset1:67
	ds_write2_b64 v137, v[30:31], v[32:33] offset0:134 offset1:201
	s_waitcnt lgkmcnt(0)
	s_barrier
	ds_read2_b64 v[38:41], v98 offset1:1
	ds_read2_b64 v[34:37], v98 offset0:2 offset1:3
	v_add_co_u32_e32 v26, vcc, v121, v94
	v_addc_co_u32_e32 v27, vcc, 0, v122, vcc
	s_and_b64 vcc, exec, s[4:5]
	s_waitcnt lgkmcnt(0)
	s_barrier
	s_cbranch_vccnz .LBB160_112
; %bb.103:                              ;   in Loop: Header=BB160_78 Depth=1
	v_mov_b32_e32 v80, 0
	v_mov_b32_e32 v78, 0
	;; [unrolled: 1-line block ×4, first 2 shown]
	v_cmp_gt_i32_e32 vcc, s22, v145
	s_and_saveexec_b64 s[12:13], vcc
	s_cbranch_execz .LBB160_105
; %bb.104:                              ;   in Loop: Header=BB160_78 Depth=1
	flat_load_dwordx2 v[78:79], v[26:27]
.LBB160_105:                            ;   in Loop: Header=BB160_78 Depth=1
	s_or_b64 exec, exec, s[12:13]
	v_cmp_gt_i32_e32 vcc, s22, v146
	s_and_saveexec_b64 s[12:13], vcc
	s_cbranch_execz .LBB160_107
; %bb.106:                              ;   in Loop: Header=BB160_78 Depth=1
	v_add_co_u32_e32 v28, vcc, v119, v94
	v_addc_co_u32_e32 v29, vcc, 0, v120, vcc
	flat_load_dwordx2 v[80:81], v[28:29]
.LBB160_107:                            ;   in Loop: Header=BB160_78 Depth=1
	s_or_b64 exec, exec, s[12:13]
	v_mov_b32_e32 v82, 0
	v_mov_b32_e32 v84, 0
	;; [unrolled: 1-line block ×4, first 2 shown]
	v_cmp_gt_i32_e32 vcc, s22, v147
	s_and_saveexec_b64 s[12:13], vcc
	s_cbranch_execz .LBB160_109
; %bb.108:                              ;   in Loop: Header=BB160_78 Depth=1
	v_add_co_u32_e32 v28, vcc, v115, v94
	v_addc_co_u32_e32 v29, vcc, 0, v116, vcc
	flat_load_dwordx2 v[84:85], v[28:29]
.LBB160_109:                            ;   in Loop: Header=BB160_78 Depth=1
	s_or_b64 exec, exec, s[12:13]
	v_cmp_gt_i32_e32 vcc, s22, v148
	s_and_saveexec_b64 s[12:13], vcc
	s_cbranch_execz .LBB160_111
; %bb.110:                              ;   in Loop: Header=BB160_78 Depth=1
	v_add_co_u32_e32 v28, vcc, v117, v94
	v_addc_co_u32_e32 v29, vcc, 0, v118, vcc
	flat_load_dwordx2 v[82:83], v[28:29]
.LBB160_111:                            ;   in Loop: Header=BB160_78 Depth=1
	s_or_b64 exec, exec, s[12:13]
	s_mov_b64 s[12:13], 0
.LBB160_112:                            ;   in Loop: Header=BB160_78 Depth=1
	s_and_b64 vcc, exec, s[12:13]
	s_cbranch_vccz .LBB160_114
; %bb.113:                              ;   in Loop: Header=BB160_78 Depth=1
	s_waitcnt vmcnt(0) lgkmcnt(0)
	flat_load_dwordx2 v[78:79], v[26:27]
	v_add_co_u32_e32 v26, vcc, v119, v94
	v_addc_co_u32_e32 v27, vcc, 0, v120, vcc
	flat_load_dwordx2 v[80:81], v[26:27]
	v_add_co_u32_e32 v26, vcc, v115, v94
	v_addc_co_u32_e32 v27, vcc, 0, v116, vcc
	;; [unrolled: 3-line block ×3, first 2 shown]
	flat_load_dwordx2 v[82:83], v[26:27]
.LBB160_114:                            ;   in Loop: Header=BB160_78 Depth=1
	ds_read_b64 v[26:27], v136
                                        ; implicit-def: $vgpr90_vgpr91
                                        ; implicit-def: $vgpr92_vgpr93
                                        ; implicit-def: $vgpr86_vgpr87
                                        ; implicit-def: $vgpr88_vgpr89
	s_waitcnt vmcnt(0) lgkmcnt(0)
	v_mul_f64 v[42:43], v[78:79], v[26:27]
	v_mul_f64 v[44:45], v[80:81], v[26:27]
	;; [unrolled: 1-line block ×4, first 2 shown]
	ds_read_b128 v[30:33], v134 offset:256
	ds_read_b128 v[26:29], v134 offset:272
	ds_write2_b64 v137, v[42:43], v[44:45] offset1:67
	ds_write2_b64 v137, v[46:47], v[48:49] offset0:134 offset1:201
	s_waitcnt lgkmcnt(0)
	s_barrier
	ds_read2_b64 v[54:57], v98 offset1:1
	ds_read2_b64 v[50:53], v98 offset0:2 offset1:3
	v_add_co_u32_e32 v42, vcc, v129, v94
	v_addc_co_u32_e32 v43, vcc, 0, v130, vcc
	s_and_b64 vcc, exec, s[4:5]
	s_mov_b64 s[4:5], -1
	s_waitcnt lgkmcnt(0)
	s_barrier
	s_cbranch_vccnz .LBB160_124
; %bb.115:                              ;   in Loop: Header=BB160_78 Depth=1
	v_mov_b32_e32 v86, 0
	v_mov_b32_e32 v88, 0
	;; [unrolled: 1-line block ×4, first 2 shown]
	v_cmp_gt_i32_e32 vcc, s22, v149
	s_and_saveexec_b64 s[4:5], vcc
	s_cbranch_execz .LBB160_117
; %bb.116:                              ;   in Loop: Header=BB160_78 Depth=1
	flat_load_dwordx2 v[88:89], v[42:43]
.LBB160_117:                            ;   in Loop: Header=BB160_78 Depth=1
	s_or_b64 exec, exec, s[4:5]
	v_cmp_gt_i32_e32 vcc, s22, v150
	s_and_saveexec_b64 s[4:5], vcc
	s_cbranch_execz .LBB160_119
; %bb.118:                              ;   in Loop: Header=BB160_78 Depth=1
	v_add_co_u32_e32 v44, vcc, v127, v94
	v_addc_co_u32_e32 v45, vcc, 0, v128, vcc
	flat_load_dwordx2 v[86:87], v[44:45]
.LBB160_119:                            ;   in Loop: Header=BB160_78 Depth=1
	s_or_b64 exec, exec, s[4:5]
	v_mov_b32_e32 v90, 0
	v_mov_b32_e32 v92, 0
	;; [unrolled: 1-line block ×4, first 2 shown]
	v_cmp_gt_i32_e32 vcc, s22, v151
	s_and_saveexec_b64 s[4:5], vcc
	s_cbranch_execz .LBB160_121
; %bb.120:                              ;   in Loop: Header=BB160_78 Depth=1
	v_add_co_u32_e32 v44, vcc, v123, v94
	v_addc_co_u32_e32 v45, vcc, 0, v124, vcc
	flat_load_dwordx2 v[92:93], v[44:45]
.LBB160_121:                            ;   in Loop: Header=BB160_78 Depth=1
	s_or_b64 exec, exec, s[4:5]
	v_cmp_gt_i32_e32 vcc, s22, v152
	s_and_saveexec_b64 s[4:5], vcc
	s_cbranch_execz .LBB160_123
; %bb.122:                              ;   in Loop: Header=BB160_78 Depth=1
	v_add_co_u32_e32 v44, vcc, v125, v94
	v_addc_co_u32_e32 v45, vcc, 0, v126, vcc
	flat_load_dwordx2 v[90:91], v[44:45]
.LBB160_123:                            ;   in Loop: Header=BB160_78 Depth=1
	s_or_b64 exec, exec, s[4:5]
	s_mov_b64 s[4:5], 0
.LBB160_124:                            ;   in Loop: Header=BB160_78 Depth=1
	s_and_b64 vcc, exec, s[4:5]
	s_cbranch_vccz .LBB160_126
; %bb.125:                              ;   in Loop: Header=BB160_78 Depth=1
	s_waitcnt vmcnt(0) lgkmcnt(0)
	flat_load_dwordx2 v[88:89], v[42:43]
	v_add_co_u32_e32 v42, vcc, v127, v94
	v_addc_co_u32_e32 v43, vcc, 0, v128, vcc
	flat_load_dwordx2 v[86:87], v[42:43]
	v_add_co_u32_e32 v42, vcc, v123, v94
	v_addc_co_u32_e32 v43, vcc, 0, v124, vcc
	;; [unrolled: 3-line block ×3, first 2 shown]
	flat_load_dwordx2 v[90:91], v[42:43]
.LBB160_126:                            ;   in Loop: Header=BB160_78 Depth=1
	ds_read_b64 v[42:43], v136
	v_add_f64 v[38:39], v[38:39], 0
	v_add_f64 v[14:15], v[14:15], 0
	;; [unrolled: 1-line block ×3, first 2 shown]
	v_cmp_gt_i32_e32 vcc, s22, v0
	s_waitcnt vmcnt(0) lgkmcnt(0)
	v_mul_f64 v[153:154], v[88:89], v[42:43]
	v_mul_f64 v[155:156], v[86:87], v[42:43]
	;; [unrolled: 1-line block ×4, first 2 shown]
	ds_read_b128 v[46:49], v134 offset:384
	ds_read_b128 v[42:45], v134 offset:400
	v_add_f64 v[38:39], v[38:39], v[40:41]
	v_add_f64 v[14:15], v[14:15], v[16:17]
	;; [unrolled: 1-line block ×3, first 2 shown]
	ds_write2_b64 v137, v[153:154], v[155:156] offset1:67
	ds_write2_b64 v137, v[157:158], v[159:160] offset0:134 offset1:201
	s_waitcnt lgkmcnt(0)
	s_barrier
	ds_read2_b64 v[153:156], v98 offset1:1
	ds_read2_b64 v[157:160], v98 offset0:2 offset1:3
	v_add_f64 v[34:35], v[38:39], v[34:35]
	v_add_f64 v[10:11], v[14:15], v[10:11]
	;; [unrolled: 1-line block ×3, first 2 shown]
	s_waitcnt lgkmcnt(1)
	v_add_f64 v[153:154], v[153:154], 0
	s_or_b64 s[4:5], s[10:11], vcc
	s_and_b64 s[10:11], s[2:3], s[4:5]
	s_waitcnt lgkmcnt(0)
	s_barrier
	v_add_f64 v[34:35], v[34:35], v[36:37]
	v_add_f64 v[10:11], v[10:11], v[12:13]
	;; [unrolled: 1-line block ×6, first 2 shown]
	ds_write2_b64 v135, v[10:11], v[34:35] offset1:16
	ds_write2_b64 v135, v[16:17], v[12:13] offset0:32 offset1:48
	s_waitcnt lgkmcnt(0)
	s_barrier
	s_and_saveexec_b64 s[4:5], s[10:11]
	s_cbranch_execz .LBB160_128
; %bb.127:                              ;   in Loop: Header=BB160_78 Depth=1
	ds_read2_b64 v[10:13], v131 offset1:1
	ds_read2_b64 v[14:17], v131 offset0:2 offset1:3
	s_waitcnt lgkmcnt(1)
	v_add_f64 v[10:11], v[10:11], v[12:13]
	s_waitcnt lgkmcnt(0)
	v_add_f64 v[10:11], v[10:11], v[14:15]
	v_add_f64 v[34:35], v[10:11], v[16:17]
	ds_read2_b64 v[10:13], v131 offset0:4 offset1:5
	ds_read2_b64 v[14:17], v131 offset0:6 offset1:7
	s_waitcnt lgkmcnt(1)
	v_add_f64 v[10:11], v[34:35], v[10:11]
	v_add_f64 v[10:11], v[10:11], v[12:13]
	s_waitcnt lgkmcnt(0)
	v_add_f64 v[10:11], v[10:11], v[14:15]
	v_add_f64 v[34:35], v[10:11], v[16:17]
	ds_read2_b64 v[10:13], v131 offset0:8 offset1:9
	ds_read2_b64 v[14:17], v131 offset0:10 offset1:11
	s_waitcnt lgkmcnt(1)
	v_add_f64 v[10:11], v[34:35], v[10:11]
	v_add_f64 v[10:11], v[10:11], v[12:13]
	s_waitcnt lgkmcnt(0)
	v_add_f64 v[10:11], v[10:11], v[14:15]
	v_add_f64 v[14:15], v[10:11], v[16:17]
	ds_read2_b64 v[10:13], v131 offset0:12 offset1:13
	ds_read_b64 v[16:17], v131 offset:112
	s_waitcnt lgkmcnt(1)
	v_add_f64 v[10:11], v[14:15], v[10:11]
	v_mov_b32_e32 v14, s15
	v_add_f64 v[10:11], v[10:11], v[12:13]
	ds_read_b64 v[12:13], v132
	s_waitcnt lgkmcnt(1)
	v_add_f64 v[10:11], v[10:11], v[16:17]
	s_waitcnt lgkmcnt(0)
	v_add_f64 v[10:11], v[10:11], v[12:13]
	v_add_u32_e32 v12, s24, v0
	v_ashrrev_i32_e32 v13, 31, v12
	v_lshlrev_b64 v[12:13], 3, v[12:13]
	v_add_co_u32_e32 v12, vcc, s14, v12
	v_addc_co_u32_e32 v13, vcc, v14, v13, vcc
	global_store_dwordx2 v[12:13], v[10:11], off
.LBB160_128:                            ;   in Loop: Header=BB160_78 Depth=1
	s_or_b64 exec, exec, s[4:5]
	v_fma_f64 v[6:7], v[62:63], v[6:7], v[60:61]
	v_add_co_u32_e32 v99, vcc, s8, v99
	s_add_i32 s4, s6, 1
	s_add_i32 s24, s24, 64
	;; [unrolled: 1-line block ×3, first 2 shown]
	s_cmp_ge_u32 s5, s7
	v_fma_f64 v[6:7], v[64:65], v[8:9], v[6:7]
	s_waitcnt vmcnt(0)
	s_barrier
	v_fma_f64 v[2:3], v[66:67], v[2:3], v[6:7]
	v_fma_f64 v[2:3], v[68:69], v[4:5], v[2:3]
	v_mov_b32_e32 v4, s9
	v_addc_co_u32_e32 v100, vcc, v100, v4, vcc
	v_add_co_u32_e32 v101, vcc, s8, v101
	v_addc_co_u32_e32 v102, vcc, v102, v4, vcc
	v_fma_f64 v[2:3], v[70:71], v[22:23], v[2:3]
	v_add_co_u32_e32 v103, vcc, s8, v103
	v_addc_co_u32_e32 v104, vcc, v104, v4, vcc
	v_add_co_u32_e32 v105, vcc, s8, v105
	v_addc_co_u32_e32 v106, vcc, v106, v4, vcc
	v_fma_f64 v[2:3], v[72:73], v[24:25], v[2:3]
	v_add_co_u32_e32 v107, vcc, s8, v107
	;; [unrolled: 5-line block ×7, first 2 shown]
	v_addc_co_u32_e32 v128, vcc, v128, v4, vcc
	v_add_co_u32_e32 v129, vcc, s8, v129
	v_addc_co_u32_e32 v130, vcc, v130, v4, vcc
	v_fma_f64 v[2:3], v[82:83], v[28:29], v[2:3]
	v_fma_f64 v[2:3], v[88:89], v[46:47], v[2:3]
	;; [unrolled: 1-line block ×5, first 2 shown]
	s_cbranch_scc0 .LBB160_74
.LBB160_129:
	s_movk_i32 s2, 0x218
	v_cmp_gt_i32_e32 vcc, s18, v0
	v_mad_u32_u24 v1, v1, s2, v94
	s_or_b64 s[2:3], s[20:21], vcc
	s_and_b64 s[0:1], s[0:1], s[2:3]
	ds_write_b64 v1, v[60:61]
	s_waitcnt lgkmcnt(0)
	s_barrier
	s_and_saveexec_b64 s[2:3], s[0:1]
	s_cbranch_execz .LBB160_4
; %bb.130:
	ds_read2_b64 v[0:3], v94 offset1:67
	s_waitcnt lgkmcnt(0)
	v_add_f64 v[4:5], v[0:1], v[2:3]
	ds_read2_b64 v[0:3], v94 offset0:134 offset1:201
	s_waitcnt lgkmcnt(0)
	v_add_f64 v[0:1], v[4:5], v[0:1]
	v_mov_b32_e32 v4, s15
	v_add_f64 v[0:1], v[0:1], v[2:3]
	v_lshlrev_b64 v[2:3], 3, v[58:59]
	v_add_co_u32_e32 v2, vcc, s14, v2
	v_addc_co_u32_e32 v3, vcc, v4, v3, vcc
	global_store_dwordx2 v[2:3], v[0:1], off
	s_endpgm
	.section	.rodata,"a",@progbits
	.p2align	6, 0x0
	.amdhsa_kernel _ZL26rocblas_hemvn_kernel_upperILb0ELi64ELi4ELi33ELi32ELi16ElPKdPKS1_PdEviT6_lT7_lT5_lS6_lS7_lS5_lT8_i
		.amdhsa_group_segment_fixed_size 9600
		.amdhsa_private_segment_fixed_size 0
		.amdhsa_kernarg_size 376
		.amdhsa_user_sgpr_count 6
		.amdhsa_user_sgpr_private_segment_buffer 1
		.amdhsa_user_sgpr_dispatch_ptr 0
		.amdhsa_user_sgpr_queue_ptr 0
		.amdhsa_user_sgpr_kernarg_segment_ptr 1
		.amdhsa_user_sgpr_dispatch_id 0
		.amdhsa_user_sgpr_flat_scratch_init 0
		.amdhsa_user_sgpr_private_segment_size 0
		.amdhsa_uses_dynamic_stack 0
		.amdhsa_system_sgpr_private_segment_wavefront_offset 0
		.amdhsa_system_sgpr_workgroup_id_x 1
		.amdhsa_system_sgpr_workgroup_id_y 0
		.amdhsa_system_sgpr_workgroup_id_z 1
		.amdhsa_system_sgpr_workgroup_info 0
		.amdhsa_system_vgpr_workitem_id 1
		.amdhsa_next_free_vgpr 161
		.amdhsa_next_free_sgpr 93
		.amdhsa_reserve_vcc 1
		.amdhsa_reserve_flat_scratch 0
		.amdhsa_float_round_mode_32 0
		.amdhsa_float_round_mode_16_64 0
		.amdhsa_float_denorm_mode_32 3
		.amdhsa_float_denorm_mode_16_64 3
		.amdhsa_dx10_clamp 1
		.amdhsa_ieee_mode 1
		.amdhsa_fp16_overflow 0
		.amdhsa_exception_fp_ieee_invalid_op 0
		.amdhsa_exception_fp_denorm_src 0
		.amdhsa_exception_fp_ieee_div_zero 0
		.amdhsa_exception_fp_ieee_overflow 0
		.amdhsa_exception_fp_ieee_underflow 0
		.amdhsa_exception_fp_ieee_inexact 0
		.amdhsa_exception_int_div_zero 0
	.end_amdhsa_kernel
	.section	.text._ZL26rocblas_hemvn_kernel_upperILb0ELi64ELi4ELi33ELi32ELi16ElPKdPKS1_PdEviT6_lT7_lT5_lS6_lS7_lS5_lT8_i,"axG",@progbits,_ZL26rocblas_hemvn_kernel_upperILb0ELi64ELi4ELi33ELi32ELi16ElPKdPKS1_PdEviT6_lT7_lT5_lS6_lS7_lS5_lT8_i,comdat
.Lfunc_end160:
	.size	_ZL26rocblas_hemvn_kernel_upperILb0ELi64ELi4ELi33ELi32ELi16ElPKdPKS1_PdEviT6_lT7_lT5_lS6_lS7_lS5_lT8_i, .Lfunc_end160-_ZL26rocblas_hemvn_kernel_upperILb0ELi64ELi4ELi33ELi32ELi16ElPKdPKS1_PdEviT6_lT7_lT5_lS6_lS7_lS5_lT8_i
                                        ; -- End function
	.set _ZL26rocblas_hemvn_kernel_upperILb0ELi64ELi4ELi33ELi32ELi16ElPKdPKS1_PdEviT6_lT7_lT5_lS6_lS7_lS5_lT8_i.num_vgpr, 161
	.set _ZL26rocblas_hemvn_kernel_upperILb0ELi64ELi4ELi33ELi32ELi16ElPKdPKS1_PdEviT6_lT7_lT5_lS6_lS7_lS5_lT8_i.num_agpr, 0
	.set _ZL26rocblas_hemvn_kernel_upperILb0ELi64ELi4ELi33ELi32ELi16ElPKdPKS1_PdEviT6_lT7_lT5_lS6_lS7_lS5_lT8_i.numbered_sgpr, 42
	.set _ZL26rocblas_hemvn_kernel_upperILb0ELi64ELi4ELi33ELi32ELi16ElPKdPKS1_PdEviT6_lT7_lT5_lS6_lS7_lS5_lT8_i.num_named_barrier, 0
	.set _ZL26rocblas_hemvn_kernel_upperILb0ELi64ELi4ELi33ELi32ELi16ElPKdPKS1_PdEviT6_lT7_lT5_lS6_lS7_lS5_lT8_i.private_seg_size, 0
	.set _ZL26rocblas_hemvn_kernel_upperILb0ELi64ELi4ELi33ELi32ELi16ElPKdPKS1_PdEviT6_lT7_lT5_lS6_lS7_lS5_lT8_i.uses_vcc, 1
	.set _ZL26rocblas_hemvn_kernel_upperILb0ELi64ELi4ELi33ELi32ELi16ElPKdPKS1_PdEviT6_lT7_lT5_lS6_lS7_lS5_lT8_i.uses_flat_scratch, 0
	.set _ZL26rocblas_hemvn_kernel_upperILb0ELi64ELi4ELi33ELi32ELi16ElPKdPKS1_PdEviT6_lT7_lT5_lS6_lS7_lS5_lT8_i.has_dyn_sized_stack, 0
	.set _ZL26rocblas_hemvn_kernel_upperILb0ELi64ELi4ELi33ELi32ELi16ElPKdPKS1_PdEviT6_lT7_lT5_lS6_lS7_lS5_lT8_i.has_recursion, 0
	.set _ZL26rocblas_hemvn_kernel_upperILb0ELi64ELi4ELi33ELi32ELi16ElPKdPKS1_PdEviT6_lT7_lT5_lS6_lS7_lS5_lT8_i.has_indirect_call, 0
	.section	.AMDGPU.csdata,"",@progbits
; Kernel info:
; codeLenInByte = 7328
; TotalNumSgprs: 46
; NumVgprs: 161
; ScratchSize: 0
; MemoryBound: 0
; FloatMode: 240
; IeeeMode: 1
; LDSByteSize: 9600 bytes/workgroup (compile time only)
; SGPRBlocks: 12
; VGPRBlocks: 40
; NumSGPRsForWavesPerEU: 97
; NumVGPRsForWavesPerEU: 161
; Occupancy: 1
; WaveLimiterHint : 1
; COMPUTE_PGM_RSRC2:SCRATCH_EN: 0
; COMPUTE_PGM_RSRC2:USER_SGPR: 6
; COMPUTE_PGM_RSRC2:TRAP_HANDLER: 0
; COMPUTE_PGM_RSRC2:TGID_X_EN: 1
; COMPUTE_PGM_RSRC2:TGID_Y_EN: 0
; COMPUTE_PGM_RSRC2:TGID_Z_EN: 1
; COMPUTE_PGM_RSRC2:TIDIG_COMP_CNT: 1
	.section	.text._ZL36rocblas_hemvn_kernel_upper_block_sumILi64ElPKdPKPddEviT1_lS5_lT2_lT0_lPT3_i,"axG",@progbits,_ZL36rocblas_hemvn_kernel_upper_block_sumILi64ElPKdPKPddEviT1_lS5_lT2_lT0_lPT3_i,comdat
	.globl	_ZL36rocblas_hemvn_kernel_upper_block_sumILi64ElPKdPKPddEviT1_lS5_lT2_lT0_lPT3_i ; -- Begin function _ZL36rocblas_hemvn_kernel_upper_block_sumILi64ElPKdPKPddEviT1_lS5_lT2_lT0_lPT3_i
	.p2align	8
	.type	_ZL36rocblas_hemvn_kernel_upper_block_sumILi64ElPKdPKPddEviT1_lS5_lT2_lT0_lPT3_i,@function
_ZL36rocblas_hemvn_kernel_upper_block_sumILi64ElPKdPKPddEviT1_lS5_lT2_lT0_lPT3_i: ; @_ZL36rocblas_hemvn_kernel_upper_block_sumILi64ElPKdPKPddEviT1_lS5_lT2_lT0_lPT3_i
; %bb.0:
	s_load_dwordx8 s[16:23], s[4:5], 0x8
	s_waitcnt lgkmcnt(0)
	s_mul_i32 s0, s19, s7
	s_mul_hi_u32 s1, s18, s7
	s_add_i32 s1, s1, s0
	s_mul_i32 s0, s18, s7
	s_lshl_b64 s[0:1], s[0:1], 3
	s_add_u32 s0, s16, s0
	s_addc_u32 s1, s17, s1
	s_load_dwordx2 s[8:9], s[0:1], 0x0
	s_mul_i32 s0, s23, s7
	s_mul_hi_u32 s1, s22, s7
	s_add_i32 s1, s1, s0
	s_mul_i32 s0, s22, s7
	s_lshl_b64 s[0:1], s[0:1], 3
	s_add_u32 s0, s20, s0
	s_addc_u32 s1, s21, s1
	s_load_dwordx2 s[10:11], s[0:1], 0x0
	s_waitcnt lgkmcnt(0)
	v_cmp_eq_f64_e64 s[0:1], s[8:9], 0
	v_cmp_eq_f64_e64 s[2:3], s[10:11], 1.0
	s_and_b64 s[0:1], s[0:1], s[2:3]
	s_and_b64 vcc, exec, s[0:1]
	s_cbranch_vccnz .LBB161_19
; %bb.1:
	s_load_dwordx2 s[12:13], s[4:5], 0x28
	s_mov_b32 s14, s7
	s_mov_b32 s15, 0
	s_lshl_b64 s[18:19], s[14:15], 3
	s_load_dword s16, s[4:5], 0x0
	s_load_dwordx4 s[0:3], s[4:5], 0x30
	s_waitcnt lgkmcnt(0)
	s_add_u32 s12, s12, s18
	s_addc_u32 s13, s13, s19
	v_cmp_neq_f64_e64 s[18:19], s[8:9], 0
	s_load_dwordx2 s[20:21], s[12:13], 0x0
	s_lshl_b64 s[0:1], s[0:1], 3
	v_lshl_or_b32 v0, s6, 6, v0
	s_mov_b64 s[12:13], 0
	s_waitcnt lgkmcnt(0)
	s_add_u32 s7, s20, s0
	s_addc_u32 s15, s21, s1
	s_and_b64 vcc, exec, s[18:19]
	v_cmp_gt_i32_e64 s[0:1], s16, v0
	s_cbranch_vccnz .LBB161_6
; %bb.2:
	s_mov_b64 s[18:19], 0
                                        ; implicit-def: $vgpr3_vgpr4
                                        ; implicit-def: $vgpr1_vgpr2
	s_and_saveexec_b64 s[20:21], s[0:1]
	s_cbranch_execz .LBB161_7
; %bb.3:
	v_cmp_eq_f64_e64 s[0:1], s[10:11], 0
	v_ashrrev_i32_e32 v1, 31, v0
	v_mul_lo_u32 v5, s3, v0
	v_mul_lo_u32 v6, s2, v1
	v_mad_u64_u32 v[1:2], s[12:13], s2, v0, 0
	v_mov_b32_e32 v3, 0
	v_mov_b32_e32 v4, 0
	v_add3_u32 v2, v2, v6, v5
	s_and_b64 vcc, exec, s[0:1]
	s_cbranch_vccnz .LBB161_5
; %bb.4:
	v_lshlrev_b64 v[3:4], 3, v[1:2]
	v_mov_b32_e32 v5, s15
	v_add_co_u32_e32 v3, vcc, s7, v3
	v_addc_co_u32_e32 v4, vcc, v5, v4, vcc
	flat_load_dwordx2 v[3:4], v[3:4]
	s_waitcnt vmcnt(0) lgkmcnt(0)
	v_mul_f64 v[3:4], s[10:11], v[3:4]
.LBB161_5:
	s_mov_b64 s[12:13], exec
	s_or_b64 exec, exec, s[20:21]
	s_and_b64 vcc, exec, s[18:19]
	s_cbranch_vccnz .LBB161_8
	s_branch .LBB161_17
.LBB161_6:
                                        ; implicit-def: $vgpr3_vgpr4
                                        ; implicit-def: $vgpr1_vgpr2
	s_cbranch_execnz .LBB161_8
	s_branch .LBB161_17
.LBB161_7:
	s_or_b64 exec, exec, s[20:21]
	s_and_b64 vcc, exec, s[18:19]
	s_cbranch_vccz .LBB161_17
.LBB161_8:
	v_cmp_gt_i32_e32 vcc, s16, v0
                                        ; implicit-def: $vgpr3_vgpr4
                                        ; implicit-def: $vgpr1_vgpr2
	s_and_saveexec_b64 s[0:1], vcc
	s_cbranch_execz .LBB161_16
; %bb.9:
	v_mov_b32_e32 v5, 0
	v_mov_b32_e32 v6, 0
	s_cmp_lt_i32 s6, 0
	v_ashrrev_i32_e32 v1, 31, v0
	s_cbranch_scc1 .LBB161_12
; %bb.10:
	s_load_dwordx2 s[18:19], s[4:5], 0x48
	s_load_dword s20, s[4:5], 0x58
	s_ashr_i32 s17, s16, 31
	s_mul_hi_u32 s4, s16, s14
	s_mul_i32 s5, s17, s14
	s_add_i32 s4, s4, s5
	s_mul_i32 s14, s16, s14
	s_waitcnt lgkmcnt(0)
	s_mul_i32 s4, s4, s20
	s_mul_hi_u32 s5, s14, s20
	s_add_i32 s5, s5, s4
	s_mul_i32 s4, s14, s20
	s_lshl_b64 s[4:5], s[4:5], 3
	s_add_u32 s4, s18, s4
	v_lshlrev_b64 v[2:3], 3, v[0:1]
	s_addc_u32 s5, s19, s5
	v_mov_b32_e32 v4, s5
	v_add_co_u32_e32 v2, vcc, s4, v2
	s_lshl_b64 s[4:5], s[16:17], 3
	v_mov_b32_e32 v5, 0
	v_addc_co_u32_e32 v3, vcc, v4, v3, vcc
	s_add_i32 s6, s6, 1
	v_mov_b32_e32 v6, 0
	v_mov_b32_e32 v4, s5
.LBB161_11:                             ; =>This Inner Loop Header: Depth=1
	global_load_dwordx2 v[7:8], v[2:3], off
	s_add_i32 s6, s6, -1
	v_add_co_u32_e32 v2, vcc, s4, v2
	s_cmp_eq_u32 s6, 0
	v_addc_co_u32_e32 v3, vcc, v3, v4, vcc
	s_waitcnt vmcnt(0)
	v_add_f64 v[5:6], v[5:6], v[7:8]
	s_cbranch_scc0 .LBB161_11
.LBB161_12:
	v_cmp_eq_f64_e64 s[16:17], s[10:11], 0
	v_mul_lo_u32 v7, s3, v0
	v_mul_lo_u32 v8, s2, v1
	s_mov_b64 s[4:5], 0
	s_and_b64 vcc, exec, s[16:17]
	s_cbranch_vccz .LBB161_20
; %bb.13:
	v_mad_u64_u32 v[1:2], s[16:17], s2, v0, 0
	v_mul_f64 v[3:4], s[8:9], v[5:6]
	v_add3_u32 v2, v2, v8, v7
	s_andn2_b64 vcc, exec, s[4:5]
	s_cbranch_vccnz .LBB161_15
.LBB161_14:
	v_mad_u64_u32 v[1:2], s[2:3], s2, v0, 0
	v_mov_b32_e32 v0, s15
	v_add3_u32 v2, v2, v8, v7
	v_lshlrev_b64 v[3:4], 3, v[1:2]
	v_add_co_u32_e32 v3, vcc, s7, v3
	v_addc_co_u32_e32 v4, vcc, v0, v4, vcc
	flat_load_dwordx2 v[3:4], v[3:4]
	s_waitcnt vmcnt(0) lgkmcnt(0)
	v_mul_f64 v[3:4], s[10:11], v[3:4]
	v_fma_f64 v[3:4], s[8:9], v[5:6], v[3:4]
.LBB161_15:
	s_or_b64 s[12:13], s[12:13], exec
.LBB161_16:
	s_or_b64 exec, exec, s[0:1]
.LBB161_17:
	s_and_saveexec_b64 s[0:1], s[12:13]
	s_cbranch_execz .LBB161_19
; %bb.18:
	v_lshlrev_b64 v[0:1], 3, v[1:2]
	v_mov_b32_e32 v2, s15
	v_add_co_u32_e32 v0, vcc, s7, v0
	v_addc_co_u32_e32 v1, vcc, v2, v1, vcc
	flat_store_dwordx2 v[0:1], v[3:4]
.LBB161_19:
	s_endpgm
.LBB161_20:
                                        ; implicit-def: $vgpr3_vgpr4
                                        ; implicit-def: $vgpr1_vgpr2
	s_branch .LBB161_14
	.section	.rodata,"a",@progbits
	.p2align	6, 0x0
	.amdhsa_kernel _ZL36rocblas_hemvn_kernel_upper_block_sumILi64ElPKdPKPddEviT1_lS5_lT2_lT0_lPT3_i
		.amdhsa_group_segment_fixed_size 0
		.amdhsa_private_segment_fixed_size 0
		.amdhsa_kernarg_size 344
		.amdhsa_user_sgpr_count 6
		.amdhsa_user_sgpr_private_segment_buffer 1
		.amdhsa_user_sgpr_dispatch_ptr 0
		.amdhsa_user_sgpr_queue_ptr 0
		.amdhsa_user_sgpr_kernarg_segment_ptr 1
		.amdhsa_user_sgpr_dispatch_id 0
		.amdhsa_user_sgpr_flat_scratch_init 0
		.amdhsa_user_sgpr_private_segment_size 0
		.amdhsa_uses_dynamic_stack 0
		.amdhsa_system_sgpr_private_segment_wavefront_offset 0
		.amdhsa_system_sgpr_workgroup_id_x 1
		.amdhsa_system_sgpr_workgroup_id_y 0
		.amdhsa_system_sgpr_workgroup_id_z 1
		.amdhsa_system_sgpr_workgroup_info 0
		.amdhsa_system_vgpr_workitem_id 0
		.amdhsa_next_free_vgpr 9
		.amdhsa_next_free_sgpr 24
		.amdhsa_reserve_vcc 1
		.amdhsa_reserve_flat_scratch 0
		.amdhsa_float_round_mode_32 0
		.amdhsa_float_round_mode_16_64 0
		.amdhsa_float_denorm_mode_32 3
		.amdhsa_float_denorm_mode_16_64 3
		.amdhsa_dx10_clamp 1
		.amdhsa_ieee_mode 1
		.amdhsa_fp16_overflow 0
		.amdhsa_exception_fp_ieee_invalid_op 0
		.amdhsa_exception_fp_denorm_src 0
		.amdhsa_exception_fp_ieee_div_zero 0
		.amdhsa_exception_fp_ieee_overflow 0
		.amdhsa_exception_fp_ieee_underflow 0
		.amdhsa_exception_fp_ieee_inexact 0
		.amdhsa_exception_int_div_zero 0
	.end_amdhsa_kernel
	.section	.text._ZL36rocblas_hemvn_kernel_upper_block_sumILi64ElPKdPKPddEviT1_lS5_lT2_lT0_lPT3_i,"axG",@progbits,_ZL36rocblas_hemvn_kernel_upper_block_sumILi64ElPKdPKPddEviT1_lS5_lT2_lT0_lPT3_i,comdat
.Lfunc_end161:
	.size	_ZL36rocblas_hemvn_kernel_upper_block_sumILi64ElPKdPKPddEviT1_lS5_lT2_lT0_lPT3_i, .Lfunc_end161-_ZL36rocblas_hemvn_kernel_upper_block_sumILi64ElPKdPKPddEviT1_lS5_lT2_lT0_lPT3_i
                                        ; -- End function
	.set _ZL36rocblas_hemvn_kernel_upper_block_sumILi64ElPKdPKPddEviT1_lS5_lT2_lT0_lPT3_i.num_vgpr, 9
	.set _ZL36rocblas_hemvn_kernel_upper_block_sumILi64ElPKdPKPddEviT1_lS5_lT2_lT0_lPT3_i.num_agpr, 0
	.set _ZL36rocblas_hemvn_kernel_upper_block_sumILi64ElPKdPKPddEviT1_lS5_lT2_lT0_lPT3_i.numbered_sgpr, 24
	.set _ZL36rocblas_hemvn_kernel_upper_block_sumILi64ElPKdPKPddEviT1_lS5_lT2_lT0_lPT3_i.num_named_barrier, 0
	.set _ZL36rocblas_hemvn_kernel_upper_block_sumILi64ElPKdPKPddEviT1_lS5_lT2_lT0_lPT3_i.private_seg_size, 0
	.set _ZL36rocblas_hemvn_kernel_upper_block_sumILi64ElPKdPKPddEviT1_lS5_lT2_lT0_lPT3_i.uses_vcc, 1
	.set _ZL36rocblas_hemvn_kernel_upper_block_sumILi64ElPKdPKPddEviT1_lS5_lT2_lT0_lPT3_i.uses_flat_scratch, 0
	.set _ZL36rocblas_hemvn_kernel_upper_block_sumILi64ElPKdPKPddEviT1_lS5_lT2_lT0_lPT3_i.has_dyn_sized_stack, 0
	.set _ZL36rocblas_hemvn_kernel_upper_block_sumILi64ElPKdPKPddEviT1_lS5_lT2_lT0_lPT3_i.has_recursion, 0
	.set _ZL36rocblas_hemvn_kernel_upper_block_sumILi64ElPKdPKPddEviT1_lS5_lT2_lT0_lPT3_i.has_indirect_call, 0
	.section	.AMDGPU.csdata,"",@progbits
; Kernel info:
; codeLenInByte = 740
; TotalNumSgprs: 28
; NumVgprs: 9
; ScratchSize: 0
; MemoryBound: 0
; FloatMode: 240
; IeeeMode: 1
; LDSByteSize: 0 bytes/workgroup (compile time only)
; SGPRBlocks: 3
; VGPRBlocks: 2
; NumSGPRsForWavesPerEU: 28
; NumVGPRsForWavesPerEU: 9
; Occupancy: 10
; WaveLimiterHint : 1
; COMPUTE_PGM_RSRC2:SCRATCH_EN: 0
; COMPUTE_PGM_RSRC2:USER_SGPR: 6
; COMPUTE_PGM_RSRC2:TRAP_HANDLER: 0
; COMPUTE_PGM_RSRC2:TGID_X_EN: 1
; COMPUTE_PGM_RSRC2:TGID_Y_EN: 0
; COMPUTE_PGM_RSRC2:TGID_Z_EN: 1
; COMPUTE_PGM_RSRC2:TIDIG_COMP_CNT: 0
	.section	.text._ZL26rocblas_hemvn_kernel_upperILb0ELi64ELi4ELi33ELi32ELi16EiPKdPKS1_PdEviT6_lT7_lT5_lS6_lS7_lS5_lT8_i,"axG",@progbits,_ZL26rocblas_hemvn_kernel_upperILb0ELi64ELi4ELi33ELi32ELi16EiPKdPKS1_PdEviT6_lT7_lT5_lS6_lS7_lS5_lT8_i,comdat
	.globl	_ZL26rocblas_hemvn_kernel_upperILb0ELi64ELi4ELi33ELi32ELi16EiPKdPKS1_PdEviT6_lT7_lT5_lS6_lS7_lS5_lT8_i ; -- Begin function _ZL26rocblas_hemvn_kernel_upperILb0ELi64ELi4ELi33ELi32ELi16EiPKdPKS1_PdEviT6_lT7_lT5_lS6_lS7_lS5_lT8_i
	.p2align	8
	.type	_ZL26rocblas_hemvn_kernel_upperILb0ELi64ELi4ELi33ELi32ELi16EiPKdPKS1_PdEviT6_lT7_lT5_lS6_lS7_lS5_lT8_i,@function
_ZL26rocblas_hemvn_kernel_upperILb0ELi64ELi4ELi33ELi32ELi16EiPKdPKS1_PdEviT6_lT7_lT5_lS6_lS7_lS5_lT8_i: ; @_ZL26rocblas_hemvn_kernel_upperILb0ELi64ELi4ELi33ELi32ELi16EiPKdPKS1_PdEviT6_lT7_lT5_lS6_lS7_lS5_lT8_i
; %bb.0:
	s_load_dwordx2 s[2:3], s[4:5], 0x84
	s_add_u32 s0, s4, 0x78
	s_mov_b32 s22, s7
	s_addc_u32 s1, s5, 0
	s_waitcnt lgkmcnt(0)
	s_lshr_b32 s7, s2, 16
	s_and_b32 s2, s2, 0xffff
	s_and_b32 s3, s3, 0xffff
	s_mul_i32 s2, s7, s2
	s_mul_i32 s2, s2, s3
	s_cmpk_lg_i32 s2, 0x100
	s_cbranch_scc1 .LBB162_4
; %bb.1:
	s_load_dwordx8 s[8:15], s[4:5], 0x8
	s_load_dwordx4 s[16:19], s[4:5], 0x58
	s_waitcnt lgkmcnt(0)
	s_mul_i32 s3, s11, s22
	s_mul_hi_u32 s7, s10, s22
	s_mul_i32 s2, s10, s22
	s_add_i32 s3, s7, s3
	s_lshl_b64 s[2:3], s[2:3], 3
	s_mul_i32 s10, s19, s22
	s_add_u32 s2, s8, s2
	s_mul_hi_u32 s7, s18, s22
	s_addc_u32 s3, s9, s3
	s_add_i32 s9, s7, s10
	s_mul_i32 s8, s18, s22
	s_lshl_b64 s[8:9], s[8:9], 3
	s_add_u32 s8, s16, s8
	s_addc_u32 s9, s17, s9
	s_load_dwordx2 s[2:3], s[2:3], 0x0
	s_nop 0
	s_load_dwordx2 s[10:11], s[8:9], 0x0
	s_waitcnt lgkmcnt(0)
	v_cmp_eq_f64_e64 s[8:9], s[2:3], 0
	v_cmp_eq_f64_e64 s[2:3], s[10:11], 1.0
	s_and_b64 s[2:3], s[8:9], s[2:3]
	s_and_b64 vcc, exec, s[2:3]
	s_cbranch_vccnz .LBB162_4
; %bb.2:
	s_mov_b64 s[2:3], 0
	s_and_b64 vcc, exec, s[8:9]
	s_cbranch_vccz .LBB162_5
; %bb.3:
	s_andn2_b64 vcc, exec, s[2:3]
	s_cbranch_vccz .LBB162_6
.LBB162_4:
	s_endpgm
.LBB162_5:
.LBB162_6:
	s_mov_b32 s23, 0
	s_load_dwordx4 s[8:11], s[4:5], 0x38
	s_load_dword s40, s[4:5], 0x48
	s_lshl_b64 s[2:3], s[22:23], 3
	s_add_u32 s12, s12, s2
	s_addc_u32 s13, s13, s3
	s_waitcnt lgkmcnt(0)
	s_add_u32 s8, s8, s2
	s_addc_u32 s9, s9, s3
	s_load_dwordx2 s[16:17], s[8:9], 0x0
	s_load_dwordx2 s[26:27], s[4:5], 0x68
	s_load_dword s23, s[4:5], 0x0
	s_load_dword s7, s[0:1], 0x0
	s_load_dwordx2 s[2:3], s[12:13], 0x0
	s_lshl_b64 s[0:1], s[10:11], 3
	s_waitcnt lgkmcnt(0)
	s_add_u32 s0, s16, s0
	s_addc_u32 s1, s17, s1
	s_lshl_b32 s24, s6, 6
	v_add_u32_e32 v58, s24, v0
	v_mul_lo_u32 v2, s40, v58
	s_ashr_i32 s41, s23, 31
	s_lshr_b32 s9, s41, 26
	s_add_i32 s9, s23, s9
	v_ashrrev_i32_e32 v3, 31, v2
	s_andn2_b32 s9, s9, 63
	v_lshlrev_b64 v[2:3], 3, v[2:3]
	s_add_i32 s8, s7, -1
	s_sub_i32 s33, s23, s9
	s_cmp_eq_u32 s6, s8
	v_mov_b32_e32 v4, s1
	v_add_co_u32_e32 v16, vcc, s0, v2
	s_cselect_b32 s16, s33, 0
	v_addc_co_u32_e32 v17, vcc, v4, v3, vcc
	v_cmp_eq_u32_e64 s[0:1], 0, v1
	s_and_saveexec_b64 s[8:9], s[0:1]
	s_cbranch_execz .LBB162_10
; %bb.7:
	s_cmp_eq_u32 s16, 0
	s_cselect_b64 s[10:11], -1, 0
	v_cmp_gt_i32_e32 vcc, s16, v0
	v_mov_b32_e32 v2, 0
	v_mov_b32_e32 v3, 0
	s_or_b64 s[12:13], s[10:11], vcc
	s_and_saveexec_b64 s[10:11], s[12:13]
	s_cbranch_execz .LBB162_9
; %bb.8:
	flat_load_dwordx2 v[2:3], v[16:17]
.LBB162_9:
	s_or_b64 exec, exec, s[10:11]
	v_lshlrev_b32_e32 v4, 3, v0
	s_waitcnt vmcnt(0) lgkmcnt(0)
	ds_write_b64 v4, v[2:3] offset:9088
.LBB162_10:
	s_or_b64 exec, exec, s[8:9]
	s_load_dword s20, s[4:5], 0x28
	s_lshl_b64 s[8:9], s[14:15], 3
	v_lshl_add_u32 v24, v1, 6, v0
	s_add_u32 s8, s2, s8
	v_and_b32_e32 v2, 31, v0
	v_lshrrev_b32_e32 v13, 5, v24
	s_addc_u32 s9, s3, s9
	s_waitcnt lgkmcnt(0)
	v_mad_u64_u32 v[3:4], s[2:3], s20, v13, v[2:3]
	s_ashr_i32 s25, s24, 31
	s_lshl_b64 s[2:3], s[24:25], 3
	v_ashrrev_i32_e32 v4, 31, v3
	v_lshlrev_b64 v[14:15], 3, v[3:4]
	s_add_u32 s2, s8, s2
	s_addc_u32 s3, s9, s3
	v_add_co_u32_e32 v4, vcc, s2, v14
	s_mul_i32 s2, s20, s24
	v_mov_b32_e32 v3, s3
	s_ashr_i32 s3, s2, 31
	s_lshl_b64 s[2:3], s[2:3], 3
	v_addc_co_u32_e32 v5, vcc, v3, v15, vcc
	s_cmp_eq_u32 s16, 0
	v_mov_b32_e32 v6, s3
	v_add_co_u32_e32 v3, vcc, s2, v4
	s_cselect_b64 s[18:19], -1, 0
	s_cmp_lg_u32 s16, 0
	v_addc_co_u32_e32 v4, vcc, v5, v6, vcc
	s_cselect_b64 s[34:35], -1, 0
	s_and_b64 vcc, exec, s[34:35]
	v_cmp_gt_i32_e64 s[2:3], s16, v2
	v_lshlrev_b32_e32 v20, 3, v2
	s_cbranch_vccz .LBB162_20
; %bb.11:
	v_sub_co_u32_e32 v5, vcc, v3, v20
	s_ashr_i32 s17, s16, 31
	v_subbrev_co_u32_e32 v6, vcc, 0, v4, vcc
	s_lshl_b64 s[4:5], s[16:17], 3
	v_mov_b32_e32 v7, s5
	v_add_co_u32_e32 v5, vcc, s4, v5
	v_addc_co_u32_e32 v6, vcc, v6, v7, vcc
	v_add_co_u32_e32 v5, vcc, -8, v5
	v_addc_co_u32_e32 v6, vcc, -1, v6, vcc
	v_mov_b32_e32 v7, 0
	v_mov_b32_e32 v9, 0
	v_cndmask_b32_e64 v6, v6, v4, s[2:3]
	v_cndmask_b32_e64 v5, v5, v3, s[2:3]
	v_mov_b32_e32 v8, 0
	v_mov_b32_e32 v10, 0
	v_cmp_gt_i32_e32 vcc, s16, v13
	s_and_saveexec_b64 s[8:9], vcc
	s_cbranch_execz .LBB162_13
; %bb.12:
	flat_load_dwordx2 v[9:10], v[5:6]
.LBB162_13:
	s_or_b64 exec, exec, s[8:9]
	s_movk_i32 s8, 0x108
	v_mad_u32_u24 v12, v13, s8, v20
	s_waitcnt vmcnt(0) lgkmcnt(0)
	ds_write_b64 v12, v[9:10]
	v_add_u32_e32 v9, 8, v13
	v_mul_u32_u24_e32 v11, 0x108, v13
	v_cmp_gt_i32_e32 vcc, s16, v9
	s_and_saveexec_b64 s[8:9], vcc
	s_cbranch_execz .LBB162_15
; %bb.14:
	s_lshl_b32 s10, s20, 3
	s_ashr_i32 s11, s10, 31
	s_lshl_b64 s[10:11], s[10:11], 3
	v_mov_b32_e32 v8, s11
	v_add_co_u32_e32 v7, vcc, s10, v5
	v_addc_co_u32_e32 v8, vcc, v6, v8, vcc
	flat_load_dwordx2 v[7:8], v[7:8]
.LBB162_15:
	s_or_b64 exec, exec, s[8:9]
	v_add_u32_e32 v11, v11, v20
	s_waitcnt vmcnt(0) lgkmcnt(0)
	ds_write_b64 v11, v[7:8] offset:2112
	v_add_u32_e32 v12, 16, v13
	v_mov_b32_e32 v7, 0
	v_mov_b32_e32 v9, 0
	;; [unrolled: 1-line block ×4, first 2 shown]
	v_cmp_gt_i32_e32 vcc, s16, v12
	s_and_saveexec_b64 s[8:9], vcc
	s_cbranch_execz .LBB162_17
; %bb.16:
	s_lshl_b32 s10, s20, 4
	s_ashr_i32 s11, s10, 31
	s_lshl_b64 s[10:11], s[10:11], 3
	v_mov_b32_e32 v10, s11
	v_add_co_u32_e32 v9, vcc, s10, v5
	v_addc_co_u32_e32 v10, vcc, v6, v10, vcc
	flat_load_dwordx2 v[9:10], v[9:10]
.LBB162_17:
	s_or_b64 exec, exec, s[8:9]
	s_waitcnt vmcnt(0) lgkmcnt(0)
	ds_write_b64 v11, v[9:10] offset:4224
	v_add_u32_e32 v9, 24, v13
	v_cmp_gt_i32_e32 vcc, s16, v9
	s_and_saveexec_b64 s[8:9], vcc
	s_cbranch_execz .LBB162_19
; %bb.18:
	s_mul_i32 s10, s20, 24
	s_ashr_i32 s11, s10, 31
	s_lshl_b64 s[10:11], s[10:11], 3
	v_mov_b32_e32 v8, s11
	v_add_co_u32_e32 v7, vcc, s10, v5
	v_addc_co_u32_e32 v8, vcc, v6, v8, vcc
	flat_load_dwordx2 v[7:8], v[7:8]
.LBB162_19:
	s_or_b64 exec, exec, s[8:9]
	v_add_co_u32_e32 v5, vcc, v5, v20
	v_addc_co_u32_e32 v6, vcc, 0, v6, vcc
	s_waitcnt vmcnt(0) lgkmcnt(0)
	ds_write_b64 v11, v[7:8] offset:6336
	v_mov_b32_e32 v7, s5
	v_subrev_co_u32_e32 v5, vcc, s4, v5
	v_subb_co_u32_e32 v6, vcc, v6, v7, vcc
	v_add_co_u32_e32 v5, vcc, 8, v5
	v_addc_co_u32_e32 v6, vcc, 0, v6, vcc
	v_cndmask_b32_e64 v6, v6, v4, s[2:3]
	v_cndmask_b32_e64 v5, v5, v3, s[2:3]
	s_branch .LBB162_22
.LBB162_20:
                                        ; implicit-def: $vgpr5_vgpr6
	s_cbranch_execz .LBB162_22
; %bb.21:
	s_lshl_b32 s2, s20, 3
	s_ashr_i32 s3, s2, 31
	s_lshl_b64 s[2:3], s[2:3], 3
	v_mov_b32_e32 v6, s3
	v_add_co_u32_e32 v5, vcc, s2, v3
	s_ashr_i32 s21, s20, 31
	v_addc_co_u32_e32 v6, vcc, v4, v6, vcc
	s_lshl_b64 s[2:3], s[20:21], 6
	v_mov_b32_e32 v10, s3
	v_add_co_u32_e32 v7, vcc, s2, v5
	v_addc_co_u32_e32 v8, vcc, v6, v10, vcc
	v_add_co_u32_e32 v9, vcc, s2, v7
	v_addc_co_u32_e32 v10, vcc, v8, v10, vcc
	flat_load_dwordx2 v[11:12], v[3:4]
	flat_load_dwordx2 v[18:19], v[5:6]
	;; [unrolled: 1-line block ×4, first 2 shown]
	v_mul_u32_u24_e32 v5, 0x108, v13
	v_lshl_add_u32 v5, v2, 3, v5
	s_waitcnt vmcnt(0) lgkmcnt(0)
	ds_write_b64 v5, v[11:12]
	ds_write_b64 v5, v[18:19] offset:2112
	ds_write_b64 v5, v[21:22] offset:4224
	;; [unrolled: 1-line block ×3, first 2 shown]
	v_mov_b32_e32 v6, v4
	v_mov_b32_e32 v5, v3
.LBB162_22:
	v_lshlrev_b32_e32 v18, 2, v13
	v_lshl_or_b32 v3, v2, 8, v20
	v_cmp_gt_u32_e64 s[4:5], v18, v2
	v_lshl_add_u32 v3, v18, 3, v3
	s_waitcnt lgkmcnt(0)
	s_barrier
	s_and_saveexec_b64 s[2:3], s[4:5]
	s_cbranch_execz .LBB162_24
; %bb.23:
	s_movk_i32 s8, 0x420
	v_mad_u32_u24 v4, v13, s8, v20
	ds_read_b64 v[7:8], v4
	s_waitcnt lgkmcnt(0)
	ds_write_b64 v3, v[7:8]
.LBB162_24:
	s_or_b64 exec, exec, s[2:3]
	v_or_b32_e32 v19, 1, v18
	v_cmp_ge_u32_e64 s[14:15], v18, v2
	s_and_saveexec_b64 s[2:3], s[14:15]
	s_cbranch_execz .LBB162_26
; %bb.25:
	s_movk_i32 s8, 0x108
	v_mad_u32_u24 v4, v19, s8, v20
	ds_read_b64 v[7:8], v4
	s_waitcnt lgkmcnt(0)
	ds_write_b64 v3, v[7:8] offset:8
.LBB162_26:
	s_or_b64 exec, exec, s[2:3]
	v_or_b32_e32 v4, 2, v18
	v_cmp_gt_u32_e64 s[8:9], v4, v2
	s_and_saveexec_b64 s[2:3], s[8:9]
	s_cbranch_execz .LBB162_28
; %bb.27:
	s_movk_i32 s10, 0x108
	v_mad_u32_u24 v4, v4, s10, v20
	ds_read_b64 v[7:8], v4
	s_waitcnt lgkmcnt(0)
	ds_write_b64 v3, v[7:8] offset:16
.LBB162_28:
	s_or_b64 exec, exec, s[2:3]
	v_or_b32_e32 v7, 3, v18
	v_cmp_gt_u32_e64 s[10:11], v7, v2
	v_cmp_le_u32_e32 vcc, v7, v2
                                        ; implicit-def: $vgpr4
	s_and_saveexec_b64 s[2:3], vcc
	s_xor_b64 s[2:3], exec, s[2:3]
; %bb.29:
	v_mul_u32_u24_e32 v4, 0x108, v7
                                        ; implicit-def: $vgpr7
                                        ; implicit-def: $vgpr3
; %bb.30:
	s_andn2_saveexec_b64 s[2:3], s[2:3]
	s_cbranch_execz .LBB162_32
; %bb.31:
	s_movk_i32 s12, 0x108
	v_mad_u32_u24 v4, v7, s12, v20
	ds_read_b64 v[8:9], v4
	v_mul_u32_u24_e32 v4, 0x108, v7
	s_waitcnt lgkmcnt(0)
	ds_write_b64 v3, v[8:9] offset:24
.LBB162_32:
	s_or_b64 exec, exec, s[2:3]
	s_movk_i32 s2, 0x420
	v_mad_u32_u24 v3, v13, s2, v20
	s_waitcnt lgkmcnt(0)
	s_barrier
	v_lshlrev_b32_e32 v22, 3, v18
	ds_read_b64 v[11:12], v3
	ds_read_b128 v[7:10], v22 offset:9088
	s_movk_i32 s2, 0x108
	v_mad_u32_u24 v3, v19, s2, v20
	ds_read2_b64 v[25:28], v3 offset1:33
	v_add_u32_e32 v21, v20, v4
	s_waitcnt lgkmcnt(1)
	v_fma_f64 v[7:8], v[11:12], v[7:8], 0
	v_mov_b32_e32 v59, 0
	v_mov_b32_e32 v60, 0
	v_cmp_gt_u32_e64 s[2:3], 32, v24
	ds_read_b64 v[3:4], v21
	s_waitcnt lgkmcnt(1)
	v_fma_f64 v[11:12], v[25:26], v[9:10], v[7:8]
	ds_read_b128 v[7:10], v22 offset:9104
	s_waitcnt lgkmcnt(0)
	s_barrier
	v_fma_f64 v[7:8], v[27:28], v[7:8], v[11:12]
	v_fma_f64 v[3:4], v[3:4], v[9:10], v[7:8]
	v_mul_u32_u24_e32 v7, 33, v2
	v_lshlrev_b32_e32 v25, 3, v7
	v_lshl_add_u32 v26, v13, 3, v25
	ds_write_b64 v26, v[3:4]
	s_waitcnt lgkmcnt(0)
	s_barrier
	s_and_saveexec_b64 s[12:13], s[2:3]
	s_cbranch_execz .LBB162_34
; %bb.33:
	ds_read2_b64 v[7:10], v25 offset1:1
	ds_read2_b64 v[27:30], v25 offset0:2 offset1:3
	s_waitcnt lgkmcnt(1)
	v_add_f64 v[3:4], v[7:8], v[9:10]
	s_waitcnt lgkmcnt(0)
	v_add_f64 v[3:4], v[3:4], v[27:28]
	v_add_f64 v[3:4], v[3:4], v[29:30]
	ds_read2_b64 v[7:10], v25 offset0:4 offset1:5
	ds_read2_b64 v[27:30], v25 offset0:6 offset1:7
	s_waitcnt lgkmcnt(1)
	v_add_f64 v[3:4], v[3:4], v[7:8]
	v_add_f64 v[3:4], v[3:4], v[9:10]
	s_waitcnt lgkmcnt(0)
	v_add_f64 v[3:4], v[3:4], v[27:28]
	v_add_f64 v[59:60], v[3:4], v[29:30]
.LBB162_34:
	s_or_b64 exec, exec, s[12:13]
	s_lshl_b32 s30, s20, 5
	s_ashr_i32 s31, s30, 31
	s_lshl_b64 s[28:29], s[30:31], 3
	v_mov_b32_e32 v3, s29
	v_add_co_u32_e32 v5, vcc, s28, v5
	v_addc_co_u32_e32 v6, vcc, v6, v3, vcc
	v_add_co_u32_e32 v3, vcc, 0x100, v5
	v_addc_co_u32_e32 v4, vcc, 0, v6, vcc
	s_and_b64 vcc, exec, s[34:35]
	s_barrier
	s_cbranch_vccz .LBB162_44
; %bb.35:
	v_sub_co_u32_e32 v8, vcc, v5, v20
	s_ashr_i32 s17, s16, 31
	v_subbrev_co_u32_e32 v9, vcc, 0, v6, vcc
	s_lshl_b64 s[36:37], s[16:17], 3
	v_mov_b32_e32 v10, s37
	v_add_co_u32_e32 v8, vcc, s36, v8
	v_or_b32_e32 v7, 32, v2
	v_addc_co_u32_e32 v9, vcc, v9, v10, vcc
	v_add_co_u32_e32 v10, vcc, -8, v8
	v_cmp_gt_i32_e64 s[12:13], s16, v7
	v_addc_co_u32_e32 v8, vcc, -1, v9, vcc
	v_cndmask_b32_e64 v7, v10, v3, s[12:13]
	s_sub_i32 s17, s16, 32
	v_mov_b32_e32 v9, 0
	v_mov_b32_e32 v11, 0
	v_cndmask_b32_e64 v8, v8, v4, s[12:13]
	v_mov_b32_e32 v10, 0
	v_mov_b32_e32 v12, 0
	v_cmp_gt_i32_e32 vcc, s17, v13
	s_and_saveexec_b64 s[38:39], vcc
	s_cbranch_execz .LBB162_37
; %bb.36:
	flat_load_dwordx2 v[11:12], v[7:8]
.LBB162_37:
	s_or_b64 exec, exec, s[38:39]
	s_movk_i32 s21, 0x108
	v_mad_u32_u24 v27, v13, s21, v20
	s_waitcnt vmcnt(0) lgkmcnt(0)
	ds_write_b64 v27, v[11:12]
	v_add_u32_e32 v11, 8, v13
	v_mul_u32_u24_e32 v23, 0x108, v13
	v_cmp_gt_i32_e32 vcc, s17, v11
	s_and_saveexec_b64 s[38:39], vcc
	s_cbranch_execz .LBB162_39
; %bb.38:
	s_lshl_b32 s42, s20, 3
	s_ashr_i32 s43, s42, 31
	s_lshl_b64 s[42:43], s[42:43], 3
	v_mov_b32_e32 v10, s43
	v_add_co_u32_e32 v9, vcc, s42, v7
	v_addc_co_u32_e32 v10, vcc, v8, v10, vcc
	flat_load_dwordx2 v[9:10], v[9:10]
.LBB162_39:
	s_or_b64 exec, exec, s[38:39]
	v_add_u32_e32 v23, v23, v20
	s_waitcnt vmcnt(0) lgkmcnt(0)
	ds_write_b64 v23, v[9:10] offset:2112
	v_add_u32_e32 v27, 16, v13
	v_mov_b32_e32 v9, 0
	v_mov_b32_e32 v11, 0
	;; [unrolled: 1-line block ×4, first 2 shown]
	v_cmp_gt_i32_e32 vcc, s17, v27
	s_and_saveexec_b64 s[38:39], vcc
	s_cbranch_execz .LBB162_41
; %bb.40:
	s_lshl_b32 s42, s20, 4
	s_ashr_i32 s43, s42, 31
	s_lshl_b64 s[42:43], s[42:43], 3
	v_mov_b32_e32 v12, s43
	v_add_co_u32_e32 v11, vcc, s42, v7
	v_addc_co_u32_e32 v12, vcc, v8, v12, vcc
	flat_load_dwordx2 v[11:12], v[11:12]
.LBB162_41:
	s_or_b64 exec, exec, s[38:39]
	s_waitcnt vmcnt(0) lgkmcnt(0)
	ds_write_b64 v23, v[11:12] offset:4224
	v_add_u32_e32 v11, 24, v13
	v_cmp_gt_i32_e32 vcc, s17, v11
	s_and_saveexec_b64 s[38:39], vcc
	s_cbranch_execz .LBB162_43
; %bb.42:
	s_mul_i32 s42, s20, 24
	s_ashr_i32 s43, s42, 31
	s_lshl_b64 s[42:43], s[42:43], 3
	v_mov_b32_e32 v10, s43
	v_add_co_u32_e32 v9, vcc, s42, v7
	v_addc_co_u32_e32 v10, vcc, v8, v10, vcc
	flat_load_dwordx2 v[9:10], v[9:10]
.LBB162_43:
	s_or_b64 exec, exec, s[38:39]
	v_add_co_u32_e32 v7, vcc, v7, v20
	v_addc_co_u32_e32 v8, vcc, 0, v8, vcc
	s_waitcnt vmcnt(0) lgkmcnt(0)
	ds_write_b64 v23, v[9:10] offset:6336
	v_mov_b32_e32 v9, s37
	v_subrev_co_u32_e32 v7, vcc, s36, v7
	v_subb_co_u32_e32 v8, vcc, v8, v9, vcc
	v_add_co_u32_e32 v7, vcc, 0x108, v7
	v_addc_co_u32_e32 v8, vcc, 0, v8, vcc
	v_cndmask_b32_e64 v8, v8, v4, s[12:13]
	v_cndmask_b32_e64 v7, v7, v3, s[12:13]
	v_mul_u32_u24_e32 v9, 0x420, v13
	s_branch .LBB162_46
.LBB162_44:
                                        ; implicit-def: $vgpr7_vgpr8
	v_mul_u32_u24_e32 v9, 0x420, v13
	s_cbranch_execz .LBB162_46
; %bb.45:
	s_lshl_b32 s12, s20, 3
	s_ashr_i32 s13, s12, 31
	s_lshl_b64 s[12:13], s[12:13], 3
	v_mov_b32_e32 v8, s13
	v_add_co_u32_e32 v7, vcc, s12, v5
	s_ashr_i32 s21, s20, 31
	v_addc_co_u32_e32 v8, vcc, v6, v8, vcc
	s_lshl_b64 s[12:13], s[20:21], 6
	v_mov_b32_e32 v12, s13
	v_add_co_u32_e32 v10, vcc, s12, v7
	v_addc_co_u32_e32 v11, vcc, v8, v12, vcc
	v_add_co_u32_e32 v27, vcc, s12, v10
	v_addc_co_u32_e32 v28, vcc, v11, v12, vcc
	flat_load_dwordx2 v[29:30], v[5:6] offset:256
	flat_load_dwordx2 v[31:32], v[7:8] offset:256
	;; [unrolled: 1-line block ×4, first 2 shown]
	s_movk_i32 s12, 0x108
	v_mov_b32_e32 v8, v4
	v_mad_u32_u24 v5, v13, s12, v20
	v_mov_b32_e32 v7, v3
	s_waitcnt vmcnt(0) lgkmcnt(0)
	ds_write_b64 v5, v[29:30]
	ds_write_b64 v5, v[31:32] offset:2112
	ds_write_b64 v5, v[33:34] offset:4224
	;; [unrolled: 1-line block ×3, first 2 shown]
.LBB162_46:
	v_mul_u32_u24_e32 v4, 0x108, v19
	v_add_u32_e32 v11, v20, v9
	v_lshl_add_u32 v3, v18, 3, v25
	s_waitcnt lgkmcnt(0)
	s_barrier
	s_and_saveexec_b64 s[12:13], s[4:5]
	s_cbranch_execz .LBB162_50
; %bb.47:
	ds_read_b64 v[5:6], v11
	s_waitcnt lgkmcnt(0)
	ds_write_b64 v3, v[5:6]
	s_or_b64 exec, exec, s[12:13]
	v_add_u32_e32 v27, v20, v4
	s_and_saveexec_b64 s[4:5], s[14:15]
	s_cbranch_execnz .LBB162_51
.LBB162_48:
	s_or_b64 exec, exec, s[4:5]
	s_and_saveexec_b64 s[4:5], s[8:9]
	s_cbranch_execz .LBB162_52
.LBB162_49:
	ds_read_b64 v[4:5], v27 offset:264
	s_waitcnt lgkmcnt(0)
	ds_write_b64 v3, v[4:5] offset:16
	s_or_b64 exec, exec, s[4:5]
	v_add_u32_e32 v28, 0x2380, v22
	s_and_saveexec_b64 s[4:5], s[10:11]
	s_cbranch_execnz .LBB162_53
	s_branch .LBB162_54
.LBB162_50:
	s_or_b64 exec, exec, s[12:13]
	v_add_u32_e32 v27, v20, v4
	s_and_saveexec_b64 s[4:5], s[14:15]
	s_cbranch_execz .LBB162_48
.LBB162_51:
	ds_read_b64 v[4:5], v27
	s_waitcnt lgkmcnt(0)
	ds_write_b64 v3, v[4:5] offset:8
	s_or_b64 exec, exec, s[4:5]
	s_and_saveexec_b64 s[4:5], s[8:9]
	s_cbranch_execnz .LBB162_49
.LBB162_52:
	s_or_b64 exec, exec, s[4:5]
	v_add_u32_e32 v28, 0x2380, v22
	s_and_saveexec_b64 s[4:5], s[10:11]
	s_cbranch_execz .LBB162_54
.LBB162_53:
	ds_read_b64 v[4:5], v21
	s_waitcnt lgkmcnt(0)
	ds_write_b64 v3, v[4:5] offset:24
.LBB162_54:
	s_or_b64 exec, exec, s[4:5]
	s_waitcnt lgkmcnt(0)
	s_barrier
	ds_read_b64 v[9:10], v11
	ds_read_b128 v[3:6], v28 offset:256
	ds_read_b128 v[29:32], v28 offset:272
	ds_read_b64 v[18:19], v21
	ds_read2_b64 v[33:36], v27 offset1:33
	v_cmp_eq_u32_e64 s[4:5], 1, v13
	s_waitcnt lgkmcnt(3)
	v_fma_f64 v[3:4], v[9:10], v[3:4], 0
	s_waitcnt lgkmcnt(0)
	s_barrier
	v_fma_f64 v[3:4], v[33:34], v[5:6], v[3:4]
	v_fma_f64 v[3:4], v[35:36], v[29:30], v[3:4]
	;; [unrolled: 1-line block ×3, first 2 shown]
	ds_write_b64 v26, v[3:4]
	s_waitcnt lgkmcnt(0)
	s_barrier
	s_and_saveexec_b64 s[8:9], s[4:5]
	s_cbranch_execz .LBB162_56
; %bb.55:
	ds_read2_b64 v[3:6], v25 offset1:1
	ds_read2_b64 v[29:32], v25 offset0:2 offset1:3
	s_waitcnt lgkmcnt(1)
	v_add_f64 v[3:4], v[3:4], v[5:6]
	s_waitcnt lgkmcnt(0)
	v_add_f64 v[3:4], v[3:4], v[29:30]
	v_add_f64 v[9:10], v[3:4], v[31:32]
	ds_read2_b64 v[3:6], v25 offset0:4 offset1:5
	ds_read2_b64 v[29:32], v25 offset0:6 offset1:7
	s_waitcnt lgkmcnt(1)
	v_add_f64 v[3:4], v[9:10], v[3:4]
	v_add_f64 v[3:4], v[3:4], v[5:6]
	s_waitcnt lgkmcnt(0)
	v_add_f64 v[3:4], v[3:4], v[29:30]
	v_add_f64 v[59:60], v[3:4], v[31:32]
.LBB162_56:
	s_or_b64 exec, exec, s[8:9]
	v_add_co_u32_e32 v3, vcc, 0xffffff00, v7
	v_addc_co_u32_e32 v4, vcc, -1, v8, vcc
	s_and_b64 vcc, exec, s[34:35]
	s_barrier
	s_cbranch_vccz .LBB162_66
; %bb.57:
	v_sub_co_u32_e32 v5, vcc, v3, v20
	s_ashr_i32 s17, s16, 31
	v_subbrev_co_u32_e32 v6, vcc, 0, v4, vcc
	s_lshl_b64 s[10:11], s[16:17], 3
	v_mov_b32_e32 v7, s11
	v_add_co_u32_e32 v5, vcc, s10, v5
	v_addc_co_u32_e32 v6, vcc, v6, v7, vcc
	v_add_co_u32_e32 v5, vcc, -8, v5
	v_addc_co_u32_e32 v6, vcc, -1, v6, vcc
	v_cmp_gt_i32_e32 vcc, s16, v2
	s_sub_i32 s14, s16, 32
	v_mov_b32_e32 v7, 0
	v_mov_b32_e32 v9, 0
	v_cndmask_b32_e32 v6, v6, v4, vcc
	v_cndmask_b32_e32 v5, v5, v3, vcc
	v_mov_b32_e32 v8, 0
	v_mov_b32_e32 v10, 0
	v_cmp_gt_i32_e64 s[8:9], s14, v13
	s_and_saveexec_b64 s[12:13], s[8:9]
	s_cbranch_execz .LBB162_59
; %bb.58:
	flat_load_dwordx2 v[9:10], v[5:6]
.LBB162_59:
	s_or_b64 exec, exec, s[12:13]
	s_movk_i32 s8, 0x108
	v_mad_u32_u24 v2, v13, s8, v20
	s_waitcnt vmcnt(0) lgkmcnt(0)
	ds_write_b64 v2, v[9:10]
	v_add_u32_e32 v2, 8, v13
	v_mul_u32_u24_e32 v12, 0x108, v13
	v_cmp_gt_i32_e64 s[8:9], s14, v2
	s_and_saveexec_b64 s[12:13], s[8:9]
	s_cbranch_execz .LBB162_61
; %bb.60:
	s_lshl_b32 s8, s20, 3
	s_ashr_i32 s9, s8, 31
	s_lshl_b64 s[8:9], s[8:9], 3
	v_mov_b32_e32 v8, s9
	v_add_co_u32_e64 v7, s[8:9], s8, v5
	v_addc_co_u32_e64 v8, s[8:9], v6, v8, s[8:9]
	flat_load_dwordx2 v[7:8], v[7:8]
.LBB162_61:
	s_or_b64 exec, exec, s[12:13]
	v_add_u32_e32 v18, v12, v20
	s_waitcnt vmcnt(0) lgkmcnt(0)
	ds_write_b64 v18, v[7:8] offset:2112
	v_add_u32_e32 v12, 16, v13
	v_mov_b32_e32 v7, 0
	v_mov_b32_e32 v9, 0
	;; [unrolled: 1-line block ×4, first 2 shown]
	v_cmp_gt_i32_e64 s[8:9], s14, v12
	s_and_saveexec_b64 s[12:13], s[8:9]
	s_cbranch_execz .LBB162_63
; %bb.62:
	s_lshl_b32 s8, s20, 4
	s_ashr_i32 s9, s8, 31
	s_lshl_b64 s[8:9], s[8:9], 3
	v_mov_b32_e32 v10, s9
	v_add_co_u32_e64 v9, s[8:9], s8, v5
	v_addc_co_u32_e64 v10, s[8:9], v6, v10, s[8:9]
	flat_load_dwordx2 v[9:10], v[9:10]
.LBB162_63:
	s_or_b64 exec, exec, s[12:13]
	s_waitcnt vmcnt(0) lgkmcnt(0)
	ds_write_b64 v18, v[9:10] offset:4224
	v_add_u32_e32 v9, 24, v13
	v_cmp_gt_i32_e64 s[8:9], s14, v9
	s_and_saveexec_b64 s[12:13], s[8:9]
	s_cbranch_execz .LBB162_65
; %bb.64:
	s_mul_i32 s8, s20, 24
	s_ashr_i32 s9, s8, 31
	s_lshl_b64 s[8:9], s[8:9], 3
	v_mov_b32_e32 v8, s9
	v_add_co_u32_e64 v7, s[8:9], s8, v5
	v_addc_co_u32_e64 v8, s[8:9], v6, v8, s[8:9]
	flat_load_dwordx2 v[7:8], v[7:8]
.LBB162_65:
	s_or_b64 exec, exec, s[12:13]
	v_add_co_u32_e64 v5, s[8:9], v5, v20
	v_addc_co_u32_e64 v6, s[8:9], 0, v6, s[8:9]
	s_waitcnt vmcnt(0) lgkmcnt(0)
	ds_write_b64 v18, v[7:8] offset:6336
	v_mov_b32_e32 v7, s11
	v_subrev_co_u32_e64 v5, s[8:9], s10, v5
	v_subb_co_u32_e64 v6, s[8:9], v6, v7, s[8:9]
	v_add_co_u32_e64 v5, s[8:9], 8, v5
	v_addc_co_u32_e64 v6, s[8:9], 0, v6, s[8:9]
	v_cndmask_b32_e32 v19, v6, v4, vcc
	v_cndmask_b32_e32 v18, v5, v3, vcc
	s_branch .LBB162_68
.LBB162_66:
                                        ; implicit-def: $vgpr18_vgpr19
                                        ; implicit-def: $vgpr2
                                        ; implicit-def: $vgpr12
                                        ; implicit-def: $vgpr9
	s_cbranch_execz .LBB162_68
; %bb.67:
	s_lshl_b32 s8, s20, 3
	s_ashr_i32 s9, s8, 31
	s_lshl_b64 s[8:9], s[8:9], 3
	v_mov_b32_e32 v2, s9
	v_add_co_u32_e32 v5, vcc, s8, v3
	s_ashr_i32 s21, s20, 31
	v_addc_co_u32_e32 v6, vcc, v4, v2, vcc
	s_lshl_b64 s[8:9], s[20:21], 6
	v_mov_b32_e32 v2, s9
	v_add_co_u32_e32 v7, vcc, s8, v5
	v_addc_co_u32_e32 v8, vcc, v6, v2, vcc
	v_add_co_u32_e32 v9, vcc, s8, v7
	v_addc_co_u32_e32 v10, vcc, v8, v2, vcc
	flat_load_dwordx2 v[18:19], v[3:4]
	flat_load_dwordx2 v[22:23], v[5:6]
	;; [unrolled: 1-line block ×4, first 2 shown]
	s_movk_i32 s8, 0x108
	v_mad_u32_u24 v5, v13, s8, v20
	v_add_u32_e32 v2, 8, v13
	v_add_u32_e32 v12, 16, v13
	;; [unrolled: 1-line block ×3, first 2 shown]
	s_waitcnt vmcnt(0) lgkmcnt(0)
	ds_write_b64 v5, v[18:19]
	ds_write_b64 v5, v[22:23] offset:2112
	ds_write_b64 v5, v[29:30] offset:4224
	ds_write_b64 v5, v[31:32] offset:6336
	v_mov_b32_e32 v19, v4
	v_mov_b32_e32 v18, v3
.LBB162_68:
	v_lshlrev_b32_e32 v6, 3, v13
	v_add_u32_e32 v3, v25, v6
	s_waitcnt lgkmcnt(0)
	s_barrier
	v_lshlrev_b32_e32 v8, 3, v2
	ds_read_b64 v[2:3], v3
	ds_read_b64 v[4:5], v8 offset:9088
	ds_read_b64 v[6:7], v6 offset:9088
	ds_read_b64 v[20:21], v21
	v_lshlrev_b32_e32 v10, 3, v12
	v_lshlrev_b32_e32 v22, 3, v9
	s_waitcnt lgkmcnt(1)
	v_fma_f64 v[2:3], v[2:3], v[6:7], 0
	v_add_u32_e32 v6, v25, v8
	ds_read_b64 v[6:7], v6
	ds_read_b64 v[8:9], v22 offset:9088
	ds_read_b64 v[12:13], v10 offset:9088
	s_waitcnt lgkmcnt(2)
	v_fma_f64 v[2:3], v[6:7], v[4:5], v[2:3]
	v_add_u32_e32 v4, v25, v10
	ds_read_b64 v[4:5], v4
	s_waitcnt lgkmcnt(0)
	v_fma_f64 v[2:3], v[4:5], v[12:13], v[2:3]
	v_add_u32_e32 v4, v25, v22
	ds_read_b64 v[4:5], v4
	ds_read_b64 v[22:23], v11
	s_waitcnt lgkmcnt(1)
	v_fma_f64 v[29:30], v[4:5], v[8:9], v[2:3]
	ds_read_b128 v[10:13], v28 offset:256
	ds_read_b128 v[2:5], v28 offset:272
	ds_read2_b64 v[6:9], v27 offset1:33
	s_waitcnt lgkmcnt(0)
	s_barrier
	ds_write_b64 v26, v[29:30]
	s_waitcnt lgkmcnt(0)
	s_barrier
	s_and_saveexec_b64 s[8:9], s[4:5]
	s_cbranch_execz .LBB162_70
; %bb.69:
	ds_read2_b64 v[27:30], v25 offset1:1
	ds_read2_b64 v[31:34], v25 offset0:2 offset1:3
	s_waitcnt lgkmcnt(1)
	v_add_f64 v[27:28], v[59:60], v[27:28]
	v_add_f64 v[27:28], v[27:28], v[29:30]
	s_waitcnt lgkmcnt(0)
	v_add_f64 v[27:28], v[27:28], v[31:32]
	v_add_f64 v[35:36], v[27:28], v[33:34]
	ds_read2_b64 v[27:30], v25 offset0:4 offset1:5
	ds_read2_b64 v[31:34], v25 offset0:6 offset1:7
	s_waitcnt lgkmcnt(1)
	v_add_f64 v[27:28], v[35:36], v[27:28]
	v_add_f64 v[27:28], v[27:28], v[29:30]
	s_waitcnt lgkmcnt(0)
	v_add_f64 v[27:28], v[27:28], v[31:32]
	v_add_f64 v[59:60], v[27:28], v[33:34]
.LBB162_70:
	s_or_b64 exec, exec, s[8:9]
	v_fma_f64 v[10:11], v[22:23], v[10:11], 0
	s_barrier
	v_fma_f64 v[6:7], v[6:7], v[12:13], v[10:11]
	v_fma_f64 v[2:3], v[8:9], v[2:3], v[6:7]
	;; [unrolled: 1-line block ×3, first 2 shown]
	ds_write_b64 v26, v[2:3]
	s_waitcnt lgkmcnt(0)
	s_barrier
	s_and_saveexec_b64 s[4:5], s[2:3]
	s_cbranch_execz .LBB162_72
; %bb.71:
	ds_read2_b64 v[2:5], v25 offset1:1
	ds_read2_b64 v[6:9], v25 offset0:2 offset1:3
	s_waitcnt lgkmcnt(1)
	v_add_f64 v[2:3], v[59:60], v[2:3]
	v_add_f64 v[2:3], v[2:3], v[4:5]
	s_waitcnt lgkmcnt(0)
	v_add_f64 v[2:3], v[2:3], v[6:7]
	v_add_f64 v[10:11], v[2:3], v[8:9]
	ds_read2_b64 v[2:5], v25 offset0:4 offset1:5
	ds_read2_b64 v[6:9], v25 offset0:6 offset1:7
	s_waitcnt lgkmcnt(1)
	v_add_f64 v[2:3], v[10:11], v[2:3]
	v_add_f64 v[2:3], v[2:3], v[4:5]
	s_waitcnt lgkmcnt(0)
	v_add_f64 v[2:3], v[2:3], v[6:7]
	v_add_f64 v[59:60], v[2:3], v[8:9]
.LBB162_72:
	s_or_b64 exec, exec, s[4:5]
	s_mul_hi_u32 s2, s23, s22
	s_mul_i32 s41, s41, s22
	s_add_i32 s2, s2, s41
	s_mul_i32 s4, s23, s22
	s_mul_i32 s2, s2, s7
	s_mul_hi_u32 s3, s4, s7
	s_add_i32 s3, s3, s2
	s_mul_i32 s2, s4, s7
	s_lshl_b64 s[2:3], s[2:3], 3
	s_add_u32 s4, s26, s2
	s_addc_u32 s5, s27, s3
	s_mul_hi_i32 s3, s23, s6
	s_mul_i32 s2, s23, s6
	s_lshl_b64 s[2:3], s[2:3], 3
	s_add_u32 s17, s4, s2
	s_addc_u32 s25, s5, s3
	s_add_i32 s8, s6, 1
	s_cmp_ge_u32 s8, s7
	v_lshlrev_b32_e32 v95, 3, v0
	s_barrier
	s_cbranch_scc1 .LBB162_129
; %bb.73:
	s_mul_i32 s2, s40, s24
	s_ashr_i32 s3, s2, 31
	v_lshlrev_b32_e32 v96, 2, v1
	s_lshl_b64 s[2:3], s[2:3], 3
	v_mad_u64_u32 v[2:3], s[4:5], s20, v96, v[0:1]
	v_subrev_co_u32_e32 v97, vcc, s2, v16
	s_lshl_b32 s26, s40, 6
	s_lshl_b32 s2, s20, 4
	s_ashr_i32 s21, s20, 31
	s_lshl_b32 s12, s20, 1
	s_mul_i32 s14, s20, 3
	s_mul_i32 s40, s40, s8
	v_mov_b32_e32 v4, s3
	s_add_i32 s24, s7, -2
	s_ashr_i32 s3, s2, 31
	s_ashr_i32 s13, s12, 31
	;; [unrolled: 1-line block ×3, first 2 shown]
	s_lshl_b64 s[4:5], s[20:21], 3
	s_lshl_b32 s8, s40, 6
	s_lshl_b64 s[22:23], s[20:21], 4
	s_add_u32 s9, s22, s28
	s_addc_u32 s27, s23, s29
	s_lshl_b64 s[10:11], s[2:3], 5
	s_add_u32 s38, s4, s28
	s_addc_u32 s39, s5, s29
	;; [unrolled: 3-line block ×4, first 2 shown]
	s_lshl_b64 s[34:35], s[2:3], 3
	s_add_u32 s44, s9, s34
	v_subb_co_u32_e32 v98, vcc, v17, v4, vcc
	s_addc_u32 s45, s27, s35
	v_add_co_u32_e32 v4, vcc, s30, v2
	s_add_u32 s30, s30, s2
	v_mov_b32_e32 v5, s31
	s_addc_u32 s31, s31, s3
	v_ashrrev_i32_e32 v3, 31, v2
	s_add_u32 s46, s38, s34
	v_addc_co_u32_e32 v5, vcc, v5, v3, vcc
	s_addc_u32 s47, s39, s35
	v_lshlrev_b64 v[4:5], 3, v[4:5]
	s_add_u32 s34, s28, s34
	s_mul_hi_i32 s36, s20, 24
	s_mul_i32 s37, s20, 24
	s_addc_u32 s35, s29, s35
	v_mov_b32_e32 v6, s36
	v_add_co_u32_e32 v10, vcc, s37, v4
	s_add_u32 s48, s34, s12
	v_addc_co_u32_e32 v11, vcc, v6, v5, vcc
	s_addc_u32 s49, s35, s13
	v_mov_b32_e32 v7, s31
	v_add_co_u32_e32 v6, vcc, s30, v2
	s_add_u32 s50, s34, s14
	v_addc_co_u32_e32 v7, vcc, v7, v3, vcc
	s_addc_u32 s51, s35, s15
	s_lshl_b64 s[30:31], s[2:3], 4
	v_lshlrev_b64 v[6:7], 3, v[6:7]
	s_add_u32 s52, s9, s30
	s_addc_u32 s53, s27, s31
	v_add_co_u32_e32 v12, vcc, s37, v6
	s_add_u32 s37, s37, s30
	v_mov_b32_e32 v8, s36
	s_addc_u32 s36, s36, s31
	s_add_u32 s30, s30, s28
	v_mov_b32_e32 v9, s29
	s_addc_u32 s29, s31, s29
	s_add_u32 s31, s30, s4
	v_addc_co_u32_e32 v13, vcc, v8, v7, vcc
	v_mov_b32_e32 v6, s36
	s_addc_u32 s36, s29, s5
	v_add_co_u32_e32 v16, vcc, s37, v4
	s_add_u32 s37, s30, s12
	s_addc_u32 s54, s29, s13
	s_add_u32 s55, s30, s14
	s_addc_u32 s56, s29, s15
	s_mul_i32 s57, s20, 0x180
	s_mul_hi_i32 s58, s2, 24
	s_add_u32 s57, s57, s22
	s_addc_u32 s22, s58, s23
	s_add_u32 s20, s20, s2
	v_addc_co_u32_e32 v17, vcc, v6, v5, vcc
	v_mov_b32_e32 v8, s22
	v_mad_u64_u32 v[6:7], s[22:23], s20, 24, v[4:5]
	v_add_co_u32_e32 v20, vcc, s57, v4
	s_addc_u32 s3, s21, s3
	v_addc_co_u32_e32 v21, vcc, v8, v5, vcc
	v_mad_u64_u32 v[7:8], s[20:21], s3, 24, v[7:8]
	v_mad_i64_i32 v[4:5], s[2:3], s2, 24, v[4:5]
	v_add_co_u32_e32 v99, vcc, v18, v6
	v_addc_co_u32_e32 v100, vcc, v19, v7, vcc
	v_mov_b32_e32 v6, s5
	v_add_co_u32_e32 v7, vcc, s4, v4
	v_addc_co_u32_e32 v6, vcc, v5, v6, vcc
	v_mov_b32_e32 v8, s13
	;; [unrolled: 3-line block ×3, first 2 shown]
	v_add_co_u32_e32 v25, vcc, s14, v4
	v_addc_co_u32_e32 v23, vcc, v5, v23, vcc
	v_add_co_u32_e32 v101, vcc, v18, v4
	v_addc_co_u32_e32 v102, vcc, v19, v5, vcc
	;; [unrolled: 2-line block ×3, first 2 shown]
	v_mov_b32_e32 v4, s27
	v_add_co_u32_e32 v105, vcc, s9, v18
	v_addc_co_u32_e32 v106, vcc, v19, v4, vcc
	v_add_co_u32_e32 v107, vcc, v18, v10
	v_addc_co_u32_e32 v108, vcc, v19, v11, vcc
	v_mov_b32_e32 v4, s39
	v_add_co_u32_e32 v109, vcc, s38, v18
	v_addc_co_u32_e32 v110, vcc, v19, v4, vcc
	v_mov_b32_e32 v4, s41
	;; [unrolled: 3-line block ×4, first 2 shown]
	v_add_co_u32_e32 v115, vcc, s44, v18
	v_addc_co_u32_e32 v116, vcc, v19, v4, vcc
	v_add_co_u32_e32 v117, vcc, v18, v12
	v_addc_co_u32_e32 v118, vcc, v19, v13, vcc
	v_mov_b32_e32 v4, s47
	v_add_co_u32_e32 v119, vcc, s46, v18
	v_addc_co_u32_e32 v120, vcc, v19, v4, vcc
	v_mov_b32_e32 v4, s35
	v_add_co_u32_e32 v121, vcc, s34, v18
	v_addc_co_u32_e32 v122, vcc, v19, v4, vcc
	v_mov_b32_e32 v4, s49
	v_add_co_u32_e32 v123, vcc, s48, v18
	v_addc_co_u32_e32 v124, vcc, v19, v4, vcc
	v_mov_b32_e32 v4, s51
	v_add_co_u32_e32 v125, vcc, s50, v18
	v_addc_co_u32_e32 v126, vcc, v19, v4, vcc
	v_mov_b32_e32 v4, s53
	v_add_co_u32_e32 v127, vcc, s52, v18
	v_addc_co_u32_e32 v128, vcc, v19, v4, vcc
	v_add_co_u32_e32 v129, vcc, v18, v16
	v_addc_co_u32_e32 v130, vcc, v19, v17, vcc
	v_mov_b32_e32 v4, s36
	v_add_co_u32_e32 v131, vcc, s31, v18
	v_addc_co_u32_e32 v132, vcc, v19, v4, vcc
	v_mov_b32_e32 v4, s29
	;; [unrolled: 3-line block ×4, first 2 shown]
	v_add_co_u32_e32 v137, vcc, s55, v18
	v_addc_co_u32_e32 v138, vcc, v19, v4, vcc
	v_add_co_u32_e32 v139, vcc, v18, v20
	v_addc_co_u32_e32 v140, vcc, v19, v21, vcc
	;; [unrolled: 2-line block ×4, first 2 shown]
	v_lshrrev_b32_e32 v4, 4, v24
	v_add_co_u32_e32 v145, vcc, v18, v25
	s_movk_i32 s4, 0x218
	v_and_b32_e32 v5, 15, v0
	v_lshlrev_b32_e32 v6, 5, v4
	v_lshlrev_b64 v[2:3], 3, v[2:3]
	v_addc_co_u32_e32 v146, vcc, v19, v23, vcc
	v_mad_u32_u24 v147, v5, s4, v6
	v_and_b32_e32 v6, 48, v0
	v_lshlrev_b32_e32 v6, 3, v6
	v_sub_co_u32_e32 v150, vcc, v2, v14
	v_mad_u32_u24 v148, v5, s4, v6
	v_or_b32_e32 v6, 0x78, v95
	v_subb_co_u32_e32 v151, vcc, v3, v15, vcc
	v_mov_b32_e32 v2, 0x2180
	v_mad_u32_u24 v149, v5, s4, v6
	v_sub_co_u32_e32 v152, vcc, 0, v14
	v_lshl_add_u32 v154, v1, 5, v2
	s_movk_i32 s4, 0x860
	v_mul_i32_i24_e32 v2, 0xffffffe8, v4
	v_cmp_gt_u32_e64 s[2:3], 64, v24
	v_subb_co_u32_e32 v153, vcc, 0, v15, vcc
	v_add_u32_e32 v155, v147, v2
	v_add_u32_e32 v156, 0x2180, v95
	;; [unrolled: 1-line block ×3, first 2 shown]
	v_mad_u32_u24 v158, v1, s4, v95
	v_or_b32_e32 v159, 1, v96
	v_or_b32_e32 v160, 2, v96
	;; [unrolled: 1-line block ×3, first 2 shown]
	v_add_u32_e32 v162, 16, v96
	v_add_u32_e32 v163, 17, v96
	;; [unrolled: 1-line block ×13, first 2 shown]
	s_cmp_eq_u32 s24, s6
	s_cselect_b32 s20, s33, 0
	s_and_saveexec_b64 s[4:5], s[0:1]
	s_cbranch_execz .LBB162_78
	s_branch .LBB162_75
.LBB162_74:                             ;   in Loop: Header=BB162_78 Depth=1
	s_mov_b32 s6, s4
	s_cmp_eq_u32 s24, s6
	s_cselect_b32 s20, s33, 0
	s_and_saveexec_b64 s[4:5], s[0:1]
	s_cbranch_execz .LBB162_78
.LBB162_75:
	s_cmp_eq_u32 s20, 0
	s_cselect_b64 s[12:13], -1, 0
	v_cmp_gt_i32_e32 vcc, s20, v0
	v_mov_b32_e32 v2, 0
	v_mov_b32_e32 v3, 0
	s_or_b64 s[14:15], s[12:13], vcc
	s_and_saveexec_b64 s[12:13], s[14:15]
	s_cbranch_execz .LBB162_77
; %bb.76:
	s_ashr_i32 s9, s8, 31
	s_lshl_b64 s[14:15], s[8:9], 3
	v_mov_b32_e32 v3, s15
	v_add_co_u32_e32 v2, vcc, s14, v97
	v_addc_co_u32_e32 v3, vcc, v98, v3, vcc
	flat_load_dwordx2 v[2:3], v[2:3]
.LBB162_77:
	s_or_b64 exec, exec, s[12:13]
	s_waitcnt vmcnt(0) lgkmcnt(0)
	ds_write_b64 v156, v[2:3]
.LBB162_78:                             ; =>This Inner Loop Header: Depth=1
	s_or_b64 exec, exec, s[4:5]
	s_cmp_eq_u32 s20, 0
	v_add_co_u32_e32 v2, vcc, v103, v150
	s_cselect_b64 s[12:13], -1, 0
	s_cmp_lg_u32 s20, 0
	v_addc_co_u32_e32 v3, vcc, v104, v151, vcc
	s_cselect_b64 s[14:15], -1, 0
	s_mov_b64 s[4:5], -1
	s_and_b64 vcc, exec, s[14:15]
	s_waitcnt lgkmcnt(0)
	s_barrier
                                        ; implicit-def: $vgpr67_vgpr68
                                        ; implicit-def: $vgpr69_vgpr70
                                        ; implicit-def: $vgpr65_vgpr66
                                        ; implicit-def: $vgpr63_vgpr64
	s_cbranch_vccz .LBB162_88
; %bb.79:                               ;   in Loop: Header=BB162_78 Depth=1
	v_mov_b32_e32 v65, 0
	v_mov_b32_e32 v63, 0
	;; [unrolled: 1-line block ×4, first 2 shown]
	v_cmp_gt_i32_e32 vcc, s20, v96
	s_and_saveexec_b64 s[4:5], vcc
	s_cbranch_execz .LBB162_81
; %bb.80:                               ;   in Loop: Header=BB162_78 Depth=1
	flat_load_dwordx2 v[63:64], v[2:3]
.LBB162_81:                             ;   in Loop: Header=BB162_78 Depth=1
	s_or_b64 exec, exec, s[4:5]
	v_cmp_gt_i32_e32 vcc, s20, v159
	s_and_saveexec_b64 s[4:5], vcc
	s_cbranch_execz .LBB162_83
; %bb.82:                               ;   in Loop: Header=BB162_78 Depth=1
	v_add_co_u32_e32 v4, vcc, v109, v150
	v_addc_co_u32_e32 v5, vcc, v110, v151, vcc
	flat_load_dwordx2 v[65:66], v[4:5]
.LBB162_83:                             ;   in Loop: Header=BB162_78 Depth=1
	s_or_b64 exec, exec, s[4:5]
	v_mov_b32_e32 v67, 0
	v_mov_b32_e32 v69, 0
	;; [unrolled: 1-line block ×4, first 2 shown]
	v_cmp_gt_i32_e32 vcc, s20, v160
	s_and_saveexec_b64 s[4:5], vcc
	s_cbranch_execz .LBB162_85
; %bb.84:                               ;   in Loop: Header=BB162_78 Depth=1
	v_add_co_u32_e32 v4, vcc, v111, v150
	v_addc_co_u32_e32 v5, vcc, v112, v151, vcc
	flat_load_dwordx2 v[69:70], v[4:5]
.LBB162_85:                             ;   in Loop: Header=BB162_78 Depth=1
	s_or_b64 exec, exec, s[4:5]
	v_cmp_gt_i32_e32 vcc, s20, v161
	s_and_saveexec_b64 s[4:5], vcc
	s_cbranch_execz .LBB162_87
; %bb.86:                               ;   in Loop: Header=BB162_78 Depth=1
	v_add_co_u32_e32 v4, vcc, v113, v150
	v_addc_co_u32_e32 v5, vcc, v114, v151, vcc
	flat_load_dwordx2 v[67:68], v[4:5]
.LBB162_87:                             ;   in Loop: Header=BB162_78 Depth=1
	s_or_b64 exec, exec, s[4:5]
	s_mov_b64 s[4:5], 0
.LBB162_88:                             ;   in Loop: Header=BB162_78 Depth=1
	s_and_b64 vcc, exec, s[4:5]
	s_cbranch_vccz .LBB162_90
; %bb.89:                               ;   in Loop: Header=BB162_78 Depth=1
	s_waitcnt vmcnt(0) lgkmcnt(0)
	flat_load_dwordx2 v[63:64], v[2:3]
	v_add_co_u32_e32 v2, vcc, v109, v150
	v_addc_co_u32_e32 v3, vcc, v110, v151, vcc
	flat_load_dwordx2 v[65:66], v[2:3]
	v_add_co_u32_e32 v2, vcc, v105, v150
	v_addc_co_u32_e32 v3, vcc, v106, v151, vcc
	;; [unrolled: 3-line block ×3, first 2 shown]
	flat_load_dwordx2 v[67:68], v[2:3]
.LBB162_90:                             ;   in Loop: Header=BB162_78 Depth=1
	ds_read_b64 v[2:3], v157
                                        ; implicit-def: $vgpr75_vgpr76
                                        ; implicit-def: $vgpr77_vgpr78
                                        ; implicit-def: $vgpr73_vgpr74
                                        ; implicit-def: $vgpr71_vgpr72
	s_waitcnt vmcnt(0) lgkmcnt(0)
	v_mul_f64 v[10:11], v[63:64], v[2:3]
	v_mul_f64 v[12:13], v[65:66], v[2:3]
	;; [unrolled: 1-line block ×4, first 2 shown]
	ds_read_b128 v[6:9], v154
	ds_read_b128 v[2:5], v154 offset:16
	ds_write2_b64 v158, v[10:11], v[12:13] offset1:67
	ds_write2_b64 v158, v[14:15], v[16:17] offset0:134 offset1:201
	s_waitcnt lgkmcnt(0)
	s_barrier
	ds_read2_b64 v[22:25], v147 offset1:1
	ds_read2_b64 v[18:21], v147 offset0:2 offset1:3
	v_add_co_u32_e32 v10, vcc, v121, v150
	v_addc_co_u32_e32 v11, vcc, v122, v151, vcc
	v_cndmask_b32_e64 v12, 0, 1, s[14:15]
	v_cmp_ne_u32_e64 s[4:5], 1, v12
	s_andn2_b64 vcc, exec, s[14:15]
	s_mov_b64 s[14:15], -1
	s_waitcnt lgkmcnt(0)
	s_barrier
	s_cbranch_vccnz .LBB162_100
; %bb.91:                               ;   in Loop: Header=BB162_78 Depth=1
	v_mov_b32_e32 v73, 0
	v_mov_b32_e32 v71, 0
	;; [unrolled: 1-line block ×4, first 2 shown]
	v_cmp_gt_i32_e32 vcc, s20, v162
	s_and_saveexec_b64 s[14:15], vcc
	s_cbranch_execz .LBB162_93
; %bb.92:                               ;   in Loop: Header=BB162_78 Depth=1
	flat_load_dwordx2 v[71:72], v[10:11]
.LBB162_93:                             ;   in Loop: Header=BB162_78 Depth=1
	s_or_b64 exec, exec, s[14:15]
	v_cmp_gt_i32_e32 vcc, s20, v163
	s_and_saveexec_b64 s[14:15], vcc
	s_cbranch_execz .LBB162_95
; %bb.94:                               ;   in Loop: Header=BB162_78 Depth=1
	v_add_co_u32_e32 v12, vcc, v119, v150
	v_addc_co_u32_e32 v13, vcc, v120, v151, vcc
	flat_load_dwordx2 v[73:74], v[12:13]
.LBB162_95:                             ;   in Loop: Header=BB162_78 Depth=1
	s_or_b64 exec, exec, s[14:15]
	v_mov_b32_e32 v75, 0
	v_mov_b32_e32 v77, 0
	;; [unrolled: 1-line block ×4, first 2 shown]
	v_cmp_gt_i32_e32 vcc, s20, v164
	s_and_saveexec_b64 s[14:15], vcc
	s_cbranch_execz .LBB162_97
; %bb.96:                               ;   in Loop: Header=BB162_78 Depth=1
	v_add_co_u32_e32 v12, vcc, v123, v150
	v_addc_co_u32_e32 v13, vcc, v124, v151, vcc
	flat_load_dwordx2 v[77:78], v[12:13]
.LBB162_97:                             ;   in Loop: Header=BB162_78 Depth=1
	s_or_b64 exec, exec, s[14:15]
	v_cmp_gt_i32_e32 vcc, s20, v165
	s_and_saveexec_b64 s[14:15], vcc
	s_cbranch_execz .LBB162_99
; %bb.98:                               ;   in Loop: Header=BB162_78 Depth=1
	v_add_co_u32_e32 v12, vcc, v125, v150
	v_addc_co_u32_e32 v13, vcc, v126, v151, vcc
	flat_load_dwordx2 v[75:76], v[12:13]
.LBB162_99:                             ;   in Loop: Header=BB162_78 Depth=1
	s_or_b64 exec, exec, s[14:15]
	s_mov_b64 s[14:15], 0
.LBB162_100:                            ;   in Loop: Header=BB162_78 Depth=1
	s_and_b64 vcc, exec, s[14:15]
	s_cbranch_vccz .LBB162_102
; %bb.101:                              ;   in Loop: Header=BB162_78 Depth=1
	s_waitcnt vmcnt(0) lgkmcnt(0)
	flat_load_dwordx2 v[71:72], v[10:11]
	v_add_co_u32_e32 v10, vcc, v119, v150
	v_addc_co_u32_e32 v11, vcc, v120, v151, vcc
	flat_load_dwordx2 v[73:74], v[10:11]
	v_add_co_u32_e32 v10, vcc, v115, v150
	v_addc_co_u32_e32 v11, vcc, v116, v151, vcc
	;; [unrolled: 3-line block ×3, first 2 shown]
	flat_load_dwordx2 v[75:76], v[10:11]
.LBB162_102:                            ;   in Loop: Header=BB162_78 Depth=1
	ds_read_b64 v[10:11], v157
	s_mov_b64 s[14:15], -1
                                        ; implicit-def: $vgpr83_vgpr84
                                        ; implicit-def: $vgpr85_vgpr86
                                        ; implicit-def: $vgpr79_vgpr80
                                        ; implicit-def: $vgpr81_vgpr82
	s_waitcnt vmcnt(0) lgkmcnt(0)
	v_mul_f64 v[26:27], v[71:72], v[10:11]
	v_mul_f64 v[28:29], v[73:74], v[10:11]
	;; [unrolled: 1-line block ×4, first 2 shown]
	ds_read_b128 v[14:17], v154 offset:128
	ds_read_b128 v[10:13], v154 offset:144
	ds_write2_b64 v158, v[26:27], v[28:29] offset1:67
	ds_write2_b64 v158, v[30:31], v[32:33] offset0:134 offset1:201
	s_waitcnt lgkmcnt(0)
	s_barrier
	ds_read2_b64 v[38:41], v147 offset1:1
	ds_read2_b64 v[34:37], v147 offset0:2 offset1:3
	v_add_co_u32_e32 v26, vcc, v133, v150
	v_addc_co_u32_e32 v27, vcc, v134, v151, vcc
	s_and_b64 vcc, exec, s[4:5]
	s_waitcnt lgkmcnt(0)
	s_barrier
	s_cbranch_vccnz .LBB162_112
; %bb.103:                              ;   in Loop: Header=BB162_78 Depth=1
	v_mov_b32_e32 v79, 0
	v_mov_b32_e32 v81, 0
	v_mov_b32_e32 v80, 0
	v_mov_b32_e32 v82, 0
	v_cmp_gt_i32_e32 vcc, s20, v166
	s_and_saveexec_b64 s[14:15], vcc
	s_cbranch_execz .LBB162_105
; %bb.104:                              ;   in Loop: Header=BB162_78 Depth=1
	flat_load_dwordx2 v[81:82], v[26:27]
.LBB162_105:                            ;   in Loop: Header=BB162_78 Depth=1
	s_or_b64 exec, exec, s[14:15]
	v_cmp_gt_i32_e32 vcc, s20, v167
	s_and_saveexec_b64 s[14:15], vcc
	s_cbranch_execz .LBB162_107
; %bb.106:                              ;   in Loop: Header=BB162_78 Depth=1
	v_add_co_u32_e32 v28, vcc, v131, v150
	v_addc_co_u32_e32 v29, vcc, v132, v151, vcc
	flat_load_dwordx2 v[79:80], v[28:29]
.LBB162_107:                            ;   in Loop: Header=BB162_78 Depth=1
	s_or_b64 exec, exec, s[14:15]
	v_mov_b32_e32 v83, 0
	v_mov_b32_e32 v85, 0
	;; [unrolled: 1-line block ×4, first 2 shown]
	v_cmp_gt_i32_e32 vcc, s20, v168
	s_and_saveexec_b64 s[14:15], vcc
	s_cbranch_execz .LBB162_109
; %bb.108:                              ;   in Loop: Header=BB162_78 Depth=1
	v_add_co_u32_e32 v28, vcc, v135, v150
	v_addc_co_u32_e32 v29, vcc, v136, v151, vcc
	flat_load_dwordx2 v[85:86], v[28:29]
.LBB162_109:                            ;   in Loop: Header=BB162_78 Depth=1
	s_or_b64 exec, exec, s[14:15]
	v_cmp_gt_i32_e32 vcc, s20, v169
	s_and_saveexec_b64 s[14:15], vcc
	s_cbranch_execz .LBB162_111
; %bb.110:                              ;   in Loop: Header=BB162_78 Depth=1
	v_add_co_u32_e32 v28, vcc, v137, v150
	v_addc_co_u32_e32 v29, vcc, v138, v151, vcc
	flat_load_dwordx2 v[83:84], v[28:29]
.LBB162_111:                            ;   in Loop: Header=BB162_78 Depth=1
	s_or_b64 exec, exec, s[14:15]
	s_mov_b64 s[14:15], 0
.LBB162_112:                            ;   in Loop: Header=BB162_78 Depth=1
	s_and_b64 vcc, exec, s[14:15]
	s_cbranch_vccz .LBB162_114
; %bb.113:                              ;   in Loop: Header=BB162_78 Depth=1
	s_waitcnt vmcnt(0) lgkmcnt(0)
	flat_load_dwordx2 v[81:82], v[26:27]
	v_add_co_u32_e32 v26, vcc, v131, v150
	v_addc_co_u32_e32 v27, vcc, v132, v151, vcc
	flat_load_dwordx2 v[79:80], v[26:27]
	v_add_co_u32_e32 v26, vcc, v127, v150
	v_addc_co_u32_e32 v27, vcc, v128, v151, vcc
	flat_load_dwordx2 v[85:86], v[26:27]
	v_add_co_u32_e32 v26, vcc, v129, v152
	v_addc_co_u32_e32 v27, vcc, v130, v153, vcc
	flat_load_dwordx2 v[83:84], v[26:27]
.LBB162_114:                            ;   in Loop: Header=BB162_78 Depth=1
	ds_read_b64 v[26:27], v157
                                        ; implicit-def: $vgpr91_vgpr92
                                        ; implicit-def: $vgpr93_vgpr94
                                        ; implicit-def: $vgpr87_vgpr88
                                        ; implicit-def: $vgpr89_vgpr90
	s_waitcnt vmcnt(0) lgkmcnt(0)
	v_mul_f64 v[42:43], v[81:82], v[26:27]
	v_mul_f64 v[44:45], v[79:80], v[26:27]
	;; [unrolled: 1-line block ×4, first 2 shown]
	ds_read_b128 v[30:33], v154 offset:256
	ds_read_b128 v[26:29], v154 offset:272
	ds_write2_b64 v158, v[42:43], v[44:45] offset1:67
	ds_write2_b64 v158, v[46:47], v[48:49] offset0:134 offset1:201
	s_waitcnt lgkmcnt(0)
	s_barrier
	ds_read2_b64 v[54:57], v147 offset1:1
	ds_read2_b64 v[50:53], v147 offset0:2 offset1:3
	v_add_co_u32_e32 v42, vcc, v101, v152
	v_addc_co_u32_e32 v43, vcc, v102, v153, vcc
	s_and_b64 vcc, exec, s[4:5]
	s_mov_b64 s[4:5], -1
	s_waitcnt lgkmcnt(0)
	s_barrier
	s_cbranch_vccnz .LBB162_124
; %bb.115:                              ;   in Loop: Header=BB162_78 Depth=1
	v_mov_b32_e32 v87, 0
	v_mov_b32_e32 v89, 0
	;; [unrolled: 1-line block ×4, first 2 shown]
	v_cmp_gt_i32_e32 vcc, s20, v170
	s_and_saveexec_b64 s[4:5], vcc
	s_cbranch_execz .LBB162_117
; %bb.116:                              ;   in Loop: Header=BB162_78 Depth=1
	flat_load_dwordx2 v[89:90], v[42:43]
.LBB162_117:                            ;   in Loop: Header=BB162_78 Depth=1
	s_or_b64 exec, exec, s[4:5]
	v_cmp_gt_i32_e32 vcc, s20, v171
	s_and_saveexec_b64 s[4:5], vcc
	s_cbranch_execz .LBB162_119
; %bb.118:                              ;   in Loop: Header=BB162_78 Depth=1
	v_add_co_u32_e32 v44, vcc, v141, v152
	v_addc_co_u32_e32 v45, vcc, v142, v153, vcc
	flat_load_dwordx2 v[87:88], v[44:45]
.LBB162_119:                            ;   in Loop: Header=BB162_78 Depth=1
	s_or_b64 exec, exec, s[4:5]
	v_mov_b32_e32 v91, 0
	v_mov_b32_e32 v93, 0
	v_mov_b32_e32 v92, 0
	v_mov_b32_e32 v94, 0
	v_cmp_gt_i32_e32 vcc, s20, v172
	s_and_saveexec_b64 s[4:5], vcc
	s_cbranch_execz .LBB162_121
; %bb.120:                              ;   in Loop: Header=BB162_78 Depth=1
	v_add_co_u32_e32 v44, vcc, v143, v152
	v_addc_co_u32_e32 v45, vcc, v144, v153, vcc
	flat_load_dwordx2 v[93:94], v[44:45]
.LBB162_121:                            ;   in Loop: Header=BB162_78 Depth=1
	s_or_b64 exec, exec, s[4:5]
	v_cmp_gt_i32_e32 vcc, s20, v173
	s_and_saveexec_b64 s[4:5], vcc
	s_cbranch_execz .LBB162_123
; %bb.122:                              ;   in Loop: Header=BB162_78 Depth=1
	v_add_co_u32_e32 v44, vcc, v145, v152
	v_addc_co_u32_e32 v45, vcc, v146, v153, vcc
	flat_load_dwordx2 v[91:92], v[44:45]
.LBB162_123:                            ;   in Loop: Header=BB162_78 Depth=1
	s_or_b64 exec, exec, s[4:5]
	s_mov_b64 s[4:5], 0
.LBB162_124:                            ;   in Loop: Header=BB162_78 Depth=1
	s_and_b64 vcc, exec, s[4:5]
	s_cbranch_vccz .LBB162_126
; %bb.125:                              ;   in Loop: Header=BB162_78 Depth=1
	s_waitcnt vmcnt(0) lgkmcnt(0)
	flat_load_dwordx2 v[89:90], v[42:43]
	v_add_co_u32_e32 v42, vcc, v141, v152
	v_addc_co_u32_e32 v43, vcc, v142, v153, vcc
	flat_load_dwordx2 v[87:88], v[42:43]
	v_add_co_u32_e32 v42, vcc, v139, v152
	v_addc_co_u32_e32 v43, vcc, v140, v153, vcc
	;; [unrolled: 3-line block ×3, first 2 shown]
	flat_load_dwordx2 v[91:92], v[42:43]
.LBB162_126:                            ;   in Loop: Header=BB162_78 Depth=1
	ds_read_b64 v[42:43], v157
	v_add_f64 v[38:39], v[38:39], 0
	v_add_f64 v[22:23], v[22:23], 0
	;; [unrolled: 1-line block ×3, first 2 shown]
	v_cmp_gt_i32_e32 vcc, s20, v0
	s_waitcnt vmcnt(0) lgkmcnt(0)
	v_mul_f64 v[174:175], v[89:90], v[42:43]
	v_mul_f64 v[176:177], v[87:88], v[42:43]
	;; [unrolled: 1-line block ×4, first 2 shown]
	ds_read_b128 v[46:49], v154 offset:384
	ds_read_b128 v[42:45], v154 offset:400
	v_add_f64 v[38:39], v[38:39], v[40:41]
	v_add_f64 v[22:23], v[22:23], v[24:25]
	;; [unrolled: 1-line block ×3, first 2 shown]
	ds_write2_b64 v158, v[174:175], v[176:177] offset1:67
	ds_write2_b64 v158, v[178:179], v[180:181] offset0:134 offset1:201
	s_waitcnt lgkmcnt(0)
	s_barrier
	ds_read2_b64 v[174:177], v147 offset1:1
	ds_read2_b64 v[178:181], v147 offset0:2 offset1:3
	v_add_f64 v[34:35], v[38:39], v[34:35]
	v_add_f64 v[18:19], v[22:23], v[18:19]
	v_add_f64 v[40:41], v[54:55], v[50:51]
	s_waitcnt lgkmcnt(1)
	v_add_f64 v[174:175], v[174:175], 0
	s_or_b64 s[4:5], s[12:13], vcc
	s_and_b64 s[12:13], s[2:3], s[4:5]
	s_waitcnt lgkmcnt(0)
	s_barrier
	v_add_f64 v[34:35], v[34:35], v[36:37]
	v_add_f64 v[18:19], v[18:19], v[20:21]
	v_add_f64 v[24:25], v[174:175], v[176:177]
	v_add_f64 v[22:23], v[24:25], v[178:179]
	v_add_f64 v[24:25], v[40:41], v[52:53]
	v_add_f64 v[20:21], v[22:23], v[180:181]
	ds_write2_b64 v155, v[18:19], v[34:35] offset1:16
	ds_write2_b64 v155, v[24:25], v[20:21] offset0:32 offset1:48
	s_waitcnt lgkmcnt(0)
	s_barrier
	s_and_saveexec_b64 s[4:5], s[12:13]
	s_cbranch_execz .LBB162_128
; %bb.127:                              ;   in Loop: Header=BB162_78 Depth=1
	ds_read2_b64 v[18:21], v148 offset1:1
	ds_read2_b64 v[22:25], v148 offset0:2 offset1:3
	v_ashrrev_i32_e32 v62, 31, v61
	s_waitcnt lgkmcnt(1)
	v_add_f64 v[18:19], v[18:19], v[20:21]
	s_waitcnt lgkmcnt(0)
	v_add_f64 v[18:19], v[18:19], v[22:23]
	v_add_f64 v[34:35], v[18:19], v[24:25]
	ds_read2_b64 v[18:21], v148 offset0:4 offset1:5
	ds_read2_b64 v[22:25], v148 offset0:6 offset1:7
	s_waitcnt lgkmcnt(1)
	v_add_f64 v[18:19], v[34:35], v[18:19]
	v_add_f64 v[18:19], v[18:19], v[20:21]
	s_waitcnt lgkmcnt(0)
	v_add_f64 v[18:19], v[18:19], v[22:23]
	v_add_f64 v[34:35], v[18:19], v[24:25]
	ds_read2_b64 v[18:21], v148 offset0:8 offset1:9
	ds_read2_b64 v[22:25], v148 offset0:10 offset1:11
	s_waitcnt lgkmcnt(1)
	v_add_f64 v[18:19], v[34:35], v[18:19]
	v_add_f64 v[18:19], v[18:19], v[20:21]
	s_waitcnt lgkmcnt(0)
	v_add_f64 v[18:19], v[18:19], v[22:23]
	v_add_f64 v[22:23], v[18:19], v[24:25]
	ds_read2_b64 v[18:21], v148 offset0:12 offset1:13
	ds_read_b64 v[24:25], v148 offset:112
	s_waitcnt lgkmcnt(1)
	v_add_f64 v[18:19], v[22:23], v[18:19]
	v_mov_b32_e32 v22, s25
	v_add_f64 v[18:19], v[18:19], v[20:21]
	ds_read_b64 v[20:21], v149
	s_waitcnt lgkmcnt(1)
	v_add_f64 v[18:19], v[18:19], v[24:25]
	s_waitcnt lgkmcnt(0)
	v_add_f64 v[18:19], v[18:19], v[20:21]
	v_lshlrev_b64 v[20:21], 3, v[61:62]
	v_add_co_u32_e32 v20, vcc, s17, v20
	v_addc_co_u32_e32 v21, vcc, v22, v21, vcc
	global_store_dwordx2 v[20:21], v[18:19], off
.LBB162_128:                            ;   in Loop: Header=BB162_78 Depth=1
	s_or_b64 exec, exec, s[4:5]
	v_fma_f64 v[6:7], v[63:64], v[6:7], v[59:60]
	v_add_co_u32_e32 v105, vcc, s10, v105
	s_add_i32 s4, s6, 1
	s_add_i32 s8, s8, s26
	;; [unrolled: 1-line block ×3, first 2 shown]
	v_add_u32_e32 v61, 64, v61
	s_cmp_ge_u32 s5, s7
	v_fma_f64 v[6:7], v[65:66], v[8:9], v[6:7]
	s_waitcnt vmcnt(0)
	s_barrier
	v_fma_f64 v[2:3], v[69:70], v[2:3], v[6:7]
	v_fma_f64 v[2:3], v[67:68], v[4:5], v[2:3]
	v_mov_b32_e32 v4, s11
	v_addc_co_u32_e32 v106, vcc, v106, v4, vcc
	v_add_co_u32_e32 v107, vcc, s10, v107
	v_addc_co_u32_e32 v108, vcc, v108, v4, vcc
	v_fma_f64 v[2:3], v[71:72], v[14:15], v[2:3]
	v_add_co_u32_e32 v109, vcc, s10, v109
	v_addc_co_u32_e32 v110, vcc, v110, v4, vcc
	v_add_co_u32_e32 v103, vcc, s10, v103
	v_addc_co_u32_e32 v104, vcc, v104, v4, vcc
	v_fma_f64 v[2:3], v[73:74], v[16:17], v[2:3]
	v_add_co_u32_e32 v111, vcc, s10, v111
	;; [unrolled: 5-line block ×11, first 2 shown]
	v_addc_co_u32_e32 v144, vcc, v144, v4, vcc
	v_add_co_u32_e32 v145, vcc, s10, v145
	v_addc_co_u32_e32 v146, vcc, v146, v4, vcc
	v_fma_f64 v[59:60], v[91:92], v[44:45], v[2:3]
	s_cbranch_scc0 .LBB162_74
.LBB162_129:
	s_movk_i32 s2, 0x218
	v_cmp_gt_i32_e32 vcc, s16, v0
	v_mad_u32_u24 v1, v1, s2, v95
	s_or_b64 s[2:3], s[18:19], vcc
	s_and_b64 s[0:1], s[0:1], s[2:3]
	ds_write_b64 v1, v[59:60]
	s_waitcnt lgkmcnt(0)
	s_barrier
	s_and_saveexec_b64 s[2:3], s[0:1]
	s_cbranch_execz .LBB162_4
; %bb.130:
	ds_read2_b64 v[0:3], v95 offset1:67
	v_ashrrev_i32_e32 v59, 31, v58
	s_waitcnt lgkmcnt(0)
	v_add_f64 v[4:5], v[0:1], v[2:3]
	ds_read2_b64 v[0:3], v95 offset0:134 offset1:201
	s_waitcnt lgkmcnt(0)
	v_add_f64 v[0:1], v[4:5], v[0:1]
	v_mov_b32_e32 v4, s25
	v_add_f64 v[0:1], v[0:1], v[2:3]
	v_lshlrev_b64 v[2:3], 3, v[58:59]
	v_add_co_u32_e32 v2, vcc, s17, v2
	v_addc_co_u32_e32 v3, vcc, v4, v3, vcc
	global_store_dwordx2 v[2:3], v[0:1], off
	s_endpgm
	.section	.rodata,"a",@progbits
	.p2align	6, 0x0
	.amdhsa_kernel _ZL26rocblas_hemvn_kernel_upperILb0ELi64ELi4ELi33ELi32ELi16EiPKdPKS1_PdEviT6_lT7_lT5_lS6_lS7_lS5_lT8_i
		.amdhsa_group_segment_fixed_size 9600
		.amdhsa_private_segment_fixed_size 0
		.amdhsa_kernarg_size 376
		.amdhsa_user_sgpr_count 6
		.amdhsa_user_sgpr_private_segment_buffer 1
		.amdhsa_user_sgpr_dispatch_ptr 0
		.amdhsa_user_sgpr_queue_ptr 0
		.amdhsa_user_sgpr_kernarg_segment_ptr 1
		.amdhsa_user_sgpr_dispatch_id 0
		.amdhsa_user_sgpr_flat_scratch_init 0
		.amdhsa_user_sgpr_private_segment_size 0
		.amdhsa_uses_dynamic_stack 0
		.amdhsa_system_sgpr_private_segment_wavefront_offset 0
		.amdhsa_system_sgpr_workgroup_id_x 1
		.amdhsa_system_sgpr_workgroup_id_y 0
		.amdhsa_system_sgpr_workgroup_id_z 1
		.amdhsa_system_sgpr_workgroup_info 0
		.amdhsa_system_vgpr_workitem_id 1
		.amdhsa_next_free_vgpr 182
		.amdhsa_next_free_sgpr 93
		.amdhsa_reserve_vcc 1
		.amdhsa_reserve_flat_scratch 0
		.amdhsa_float_round_mode_32 0
		.amdhsa_float_round_mode_16_64 0
		.amdhsa_float_denorm_mode_32 3
		.amdhsa_float_denorm_mode_16_64 3
		.amdhsa_dx10_clamp 1
		.amdhsa_ieee_mode 1
		.amdhsa_fp16_overflow 0
		.amdhsa_exception_fp_ieee_invalid_op 0
		.amdhsa_exception_fp_denorm_src 0
		.amdhsa_exception_fp_ieee_div_zero 0
		.amdhsa_exception_fp_ieee_overflow 0
		.amdhsa_exception_fp_ieee_underflow 0
		.amdhsa_exception_fp_ieee_inexact 0
		.amdhsa_exception_int_div_zero 0
	.end_amdhsa_kernel
	.section	.text._ZL26rocblas_hemvn_kernel_upperILb0ELi64ELi4ELi33ELi32ELi16EiPKdPKS1_PdEviT6_lT7_lT5_lS6_lS7_lS5_lT8_i,"axG",@progbits,_ZL26rocblas_hemvn_kernel_upperILb0ELi64ELi4ELi33ELi32ELi16EiPKdPKS1_PdEviT6_lT7_lT5_lS6_lS7_lS5_lT8_i,comdat
.Lfunc_end162:
	.size	_ZL26rocblas_hemvn_kernel_upperILb0ELi64ELi4ELi33ELi32ELi16EiPKdPKS1_PdEviT6_lT7_lT5_lS6_lS7_lS5_lT8_i, .Lfunc_end162-_ZL26rocblas_hemvn_kernel_upperILb0ELi64ELi4ELi33ELi32ELi16EiPKdPKS1_PdEviT6_lT7_lT5_lS6_lS7_lS5_lT8_i
                                        ; -- End function
	.set _ZL26rocblas_hemvn_kernel_upperILb0ELi64ELi4ELi33ELi32ELi16EiPKdPKS1_PdEviT6_lT7_lT5_lS6_lS7_lS5_lT8_i.num_vgpr, 182
	.set _ZL26rocblas_hemvn_kernel_upperILb0ELi64ELi4ELi33ELi32ELi16EiPKdPKS1_PdEviT6_lT7_lT5_lS6_lS7_lS5_lT8_i.num_agpr, 0
	.set _ZL26rocblas_hemvn_kernel_upperILb0ELi64ELi4ELi33ELi32ELi16EiPKdPKS1_PdEviT6_lT7_lT5_lS6_lS7_lS5_lT8_i.numbered_sgpr, 59
	.set _ZL26rocblas_hemvn_kernel_upperILb0ELi64ELi4ELi33ELi32ELi16EiPKdPKS1_PdEviT6_lT7_lT5_lS6_lS7_lS5_lT8_i.num_named_barrier, 0
	.set _ZL26rocblas_hemvn_kernel_upperILb0ELi64ELi4ELi33ELi32ELi16EiPKdPKS1_PdEviT6_lT7_lT5_lS6_lS7_lS5_lT8_i.private_seg_size, 0
	.set _ZL26rocblas_hemvn_kernel_upperILb0ELi64ELi4ELi33ELi32ELi16EiPKdPKS1_PdEviT6_lT7_lT5_lS6_lS7_lS5_lT8_i.uses_vcc, 1
	.set _ZL26rocblas_hemvn_kernel_upperILb0ELi64ELi4ELi33ELi32ELi16EiPKdPKS1_PdEviT6_lT7_lT5_lS6_lS7_lS5_lT8_i.uses_flat_scratch, 0
	.set _ZL26rocblas_hemvn_kernel_upperILb0ELi64ELi4ELi33ELi32ELi16EiPKdPKS1_PdEviT6_lT7_lT5_lS6_lS7_lS5_lT8_i.has_dyn_sized_stack, 0
	.set _ZL26rocblas_hemvn_kernel_upperILb0ELi64ELi4ELi33ELi32ELi16EiPKdPKS1_PdEviT6_lT7_lT5_lS6_lS7_lS5_lT8_i.has_recursion, 0
	.set _ZL26rocblas_hemvn_kernel_upperILb0ELi64ELi4ELi33ELi32ELi16EiPKdPKS1_PdEviT6_lT7_lT5_lS6_lS7_lS5_lT8_i.has_indirect_call, 0
	.section	.AMDGPU.csdata,"",@progbits
; Kernel info:
; codeLenInByte = 7380
; TotalNumSgprs: 63
; NumVgprs: 182
; ScratchSize: 0
; MemoryBound: 0
; FloatMode: 240
; IeeeMode: 1
; LDSByteSize: 9600 bytes/workgroup (compile time only)
; SGPRBlocks: 12
; VGPRBlocks: 45
; NumSGPRsForWavesPerEU: 97
; NumVGPRsForWavesPerEU: 182
; Occupancy: 1
; WaveLimiterHint : 1
; COMPUTE_PGM_RSRC2:SCRATCH_EN: 0
; COMPUTE_PGM_RSRC2:USER_SGPR: 6
; COMPUTE_PGM_RSRC2:TRAP_HANDLER: 0
; COMPUTE_PGM_RSRC2:TGID_X_EN: 1
; COMPUTE_PGM_RSRC2:TGID_Y_EN: 0
; COMPUTE_PGM_RSRC2:TGID_Z_EN: 1
; COMPUTE_PGM_RSRC2:TIDIG_COMP_CNT: 1
	.section	.text._ZL36rocblas_hemvn_kernel_upper_block_sumILi64EiPKdPKPddEviT1_lS5_lT2_lT0_lPT3_i,"axG",@progbits,_ZL36rocblas_hemvn_kernel_upper_block_sumILi64EiPKdPKPddEviT1_lS5_lT2_lT0_lPT3_i,comdat
	.globl	_ZL36rocblas_hemvn_kernel_upper_block_sumILi64EiPKdPKPddEviT1_lS5_lT2_lT0_lPT3_i ; -- Begin function _ZL36rocblas_hemvn_kernel_upper_block_sumILi64EiPKdPKPddEviT1_lS5_lT2_lT0_lPT3_i
	.p2align	8
	.type	_ZL36rocblas_hemvn_kernel_upper_block_sumILi64EiPKdPKPddEviT1_lS5_lT2_lT0_lPT3_i,@function
_ZL36rocblas_hemvn_kernel_upper_block_sumILi64EiPKdPKPddEviT1_lS5_lT2_lT0_lPT3_i: ; @_ZL36rocblas_hemvn_kernel_upper_block_sumILi64EiPKdPKPddEviT1_lS5_lT2_lT0_lPT3_i
; %bb.0:
	s_load_dwordx8 s[16:23], s[4:5], 0x8
	s_waitcnt lgkmcnt(0)
	s_mul_i32 s0, s19, s7
	s_mul_hi_u32 s1, s18, s7
	s_add_i32 s1, s1, s0
	s_mul_i32 s0, s18, s7
	s_lshl_b64 s[0:1], s[0:1], 3
	s_add_u32 s0, s16, s0
	s_addc_u32 s1, s17, s1
	s_load_dwordx2 s[2:3], s[0:1], 0x0
	s_mul_i32 s0, s23, s7
	s_mul_hi_u32 s1, s22, s7
	s_add_i32 s1, s1, s0
	s_mul_i32 s0, s22, s7
	s_lshl_b64 s[0:1], s[0:1], 3
	s_add_u32 s0, s20, s0
	s_addc_u32 s1, s21, s1
	s_load_dwordx2 s[8:9], s[0:1], 0x0
	s_waitcnt lgkmcnt(0)
	v_cmp_eq_f64_e64 s[0:1], s[2:3], 0
	v_cmp_eq_f64_e64 s[10:11], s[8:9], 1.0
	s_and_b64 s[0:1], s[0:1], s[10:11]
	s_and_b64 vcc, exec, s[0:1]
	s_cbranch_vccnz .LBB163_19
; %bb.1:
	s_load_dwordx4 s[16:19], s[4:5], 0x28
	s_mov_b32 s12, s7
	s_mov_b32 s13, 0
	s_lshl_b64 s[0:1], s[12:13], 3
	s_load_dword s20, s[4:5], 0x38
	s_load_dword s14, s[4:5], 0x0
	s_waitcnt lgkmcnt(0)
	s_add_u32 s0, s16, s0
	s_addc_u32 s1, s17, s1
	v_cmp_neq_f64_e64 s[16:17], s[2:3], 0
	s_load_dwordx2 s[0:1], s[0:1], 0x0
	s_lshl_b64 s[18:19], s[18:19], 3
	v_lshl_or_b32 v0, s6, 6, v0
	s_mov_b64 s[10:11], 0
	s_waitcnt lgkmcnt(0)
	s_add_u32 s7, s0, s18
	s_addc_u32 s13, s1, s19
	s_and_b64 vcc, exec, s[16:17]
	v_cmp_gt_i32_e64 s[0:1], s14, v0
	s_cbranch_vccnz .LBB163_6
; %bb.2:
	s_mov_b64 s[16:17], 0
                                        ; implicit-def: $vgpr3_vgpr4
                                        ; implicit-def: $vgpr1_vgpr2
	s_and_saveexec_b64 s[18:19], s[0:1]
	s_cbranch_execz .LBB163_7
; %bb.3:
	v_cmp_eq_f64_e64 s[0:1], s[8:9], 0
	v_mul_lo_u32 v1, s20, v0
	v_mov_b32_e32 v3, 0
	v_mov_b32_e32 v4, 0
	v_ashrrev_i32_e32 v2, 31, v1
	s_and_b64 vcc, exec, s[0:1]
	s_cbranch_vccnz .LBB163_5
; %bb.4:
	v_lshlrev_b64 v[3:4], 3, v[1:2]
	v_mov_b32_e32 v5, s13
	v_add_co_u32_e32 v3, vcc, s7, v3
	v_addc_co_u32_e32 v4, vcc, v5, v4, vcc
	flat_load_dwordx2 v[3:4], v[3:4]
	s_waitcnt vmcnt(0) lgkmcnt(0)
	v_mul_f64 v[3:4], s[8:9], v[3:4]
.LBB163_5:
	s_mov_b64 s[10:11], exec
	s_or_b64 exec, exec, s[18:19]
	s_and_b64 vcc, exec, s[16:17]
	s_cbranch_vccnz .LBB163_8
	s_branch .LBB163_17
.LBB163_6:
                                        ; implicit-def: $vgpr3_vgpr4
                                        ; implicit-def: $vgpr1_vgpr2
	s_cbranch_execnz .LBB163_8
	s_branch .LBB163_17
.LBB163_7:
	s_or_b64 exec, exec, s[18:19]
	s_and_b64 vcc, exec, s[16:17]
	s_cbranch_vccz .LBB163_17
.LBB163_8:
	v_cmp_gt_i32_e32 vcc, s14, v0
                                        ; implicit-def: $vgpr3_vgpr4
                                        ; implicit-def: $vgpr1_vgpr2
	s_and_saveexec_b64 s[0:1], vcc
	s_cbranch_execz .LBB163_16
; %bb.9:
	v_mov_b32_e32 v5, 0
	v_mov_b32_e32 v6, 0
	s_cmp_lt_i32 s6, 0
	s_cbranch_scc1 .LBB163_12
; %bb.10:
	s_load_dwordx2 s[16:17], s[4:5], 0x48
	s_load_dword s18, s[4:5], 0x58
	s_ashr_i32 s15, s14, 31
	s_mul_hi_u32 s4, s14, s12
	s_mul_i32 s5, s15, s12
	s_add_i32 s4, s4, s5
	s_mul_i32 s12, s14, s12
	s_waitcnt lgkmcnt(0)
	s_mul_i32 s4, s4, s18
	s_mul_hi_u32 s5, s12, s18
	s_add_i32 s5, s5, s4
	s_mul_i32 s4, s12, s18
	s_lshl_b64 s[4:5], s[4:5], 3
	v_mov_b32_e32 v1, 0
	s_add_u32 s4, s16, s4
	v_lshlrev_b64 v[1:2], 3, v[0:1]
	s_addc_u32 s5, s17, s5
	v_mov_b32_e32 v3, s5
	v_add_co_u32_e32 v1, vcc, s4, v1
	s_lshl_b64 s[4:5], s[14:15], 3
	v_mov_b32_e32 v5, 0
	v_addc_co_u32_e32 v2, vcc, v3, v2, vcc
	s_add_i32 s6, s6, 1
	v_mov_b32_e32 v6, 0
	v_mov_b32_e32 v3, s5
.LBB163_11:                             ; =>This Inner Loop Header: Depth=1
	global_load_dwordx2 v[7:8], v[1:2], off
	s_add_i32 s6, s6, -1
	v_add_co_u32_e32 v1, vcc, s4, v1
	s_cmp_eq_u32 s6, 0
	v_addc_co_u32_e32 v2, vcc, v2, v3, vcc
	s_waitcnt vmcnt(0)
	v_add_f64 v[5:6], v[5:6], v[7:8]
	s_cbranch_scc0 .LBB163_11
.LBB163_12:
	v_cmp_eq_f64_e64 s[14:15], s[8:9], 0
	v_mul_lo_u32 v1, s20, v0
	s_mov_b64 s[4:5], 0
	v_ashrrev_i32_e32 v2, 31, v1
	s_and_b64 vcc, exec, s[14:15]
	s_cbranch_vccz .LBB163_20
; %bb.13:
	v_mul_f64 v[3:4], s[2:3], v[5:6]
	s_andn2_b64 vcc, exec, s[4:5]
	s_cbranch_vccnz .LBB163_15
.LBB163_14:
	v_lshlrev_b64 v[3:4], 3, v[1:2]
	v_mov_b32_e32 v0, s13
	v_add_co_u32_e32 v3, vcc, s7, v3
	v_addc_co_u32_e32 v4, vcc, v0, v4, vcc
	flat_load_dwordx2 v[3:4], v[3:4]
	s_waitcnt vmcnt(0) lgkmcnt(0)
	v_mul_f64 v[3:4], s[8:9], v[3:4]
	v_fma_f64 v[3:4], s[2:3], v[5:6], v[3:4]
.LBB163_15:
	s_or_b64 s[10:11], s[10:11], exec
.LBB163_16:
	s_or_b64 exec, exec, s[0:1]
.LBB163_17:
	s_and_saveexec_b64 s[0:1], s[10:11]
	s_cbranch_execz .LBB163_19
; %bb.18:
	v_lshlrev_b64 v[0:1], 3, v[1:2]
	v_mov_b32_e32 v2, s13
	v_add_co_u32_e32 v0, vcc, s7, v0
	v_addc_co_u32_e32 v1, vcc, v2, v1, vcc
	flat_store_dwordx2 v[0:1], v[3:4]
.LBB163_19:
	s_endpgm
.LBB163_20:
                                        ; implicit-def: $vgpr3_vgpr4
	s_branch .LBB163_14
	.section	.rodata,"a",@progbits
	.p2align	6, 0x0
	.amdhsa_kernel _ZL36rocblas_hemvn_kernel_upper_block_sumILi64EiPKdPKPddEviT1_lS5_lT2_lT0_lPT3_i
		.amdhsa_group_segment_fixed_size 0
		.amdhsa_private_segment_fixed_size 0
		.amdhsa_kernarg_size 344
		.amdhsa_user_sgpr_count 6
		.amdhsa_user_sgpr_private_segment_buffer 1
		.amdhsa_user_sgpr_dispatch_ptr 0
		.amdhsa_user_sgpr_queue_ptr 0
		.amdhsa_user_sgpr_kernarg_segment_ptr 1
		.amdhsa_user_sgpr_dispatch_id 0
		.amdhsa_user_sgpr_flat_scratch_init 0
		.amdhsa_user_sgpr_private_segment_size 0
		.amdhsa_uses_dynamic_stack 0
		.amdhsa_system_sgpr_private_segment_wavefront_offset 0
		.amdhsa_system_sgpr_workgroup_id_x 1
		.amdhsa_system_sgpr_workgroup_id_y 0
		.amdhsa_system_sgpr_workgroup_id_z 1
		.amdhsa_system_sgpr_workgroup_info 0
		.amdhsa_system_vgpr_workitem_id 0
		.amdhsa_next_free_vgpr 9
		.amdhsa_next_free_sgpr 24
		.amdhsa_reserve_vcc 1
		.amdhsa_reserve_flat_scratch 0
		.amdhsa_float_round_mode_32 0
		.amdhsa_float_round_mode_16_64 0
		.amdhsa_float_denorm_mode_32 3
		.amdhsa_float_denorm_mode_16_64 3
		.amdhsa_dx10_clamp 1
		.amdhsa_ieee_mode 1
		.amdhsa_fp16_overflow 0
		.amdhsa_exception_fp_ieee_invalid_op 0
		.amdhsa_exception_fp_denorm_src 0
		.amdhsa_exception_fp_ieee_div_zero 0
		.amdhsa_exception_fp_ieee_overflow 0
		.amdhsa_exception_fp_ieee_underflow 0
		.amdhsa_exception_fp_ieee_inexact 0
		.amdhsa_exception_int_div_zero 0
	.end_amdhsa_kernel
	.section	.text._ZL36rocblas_hemvn_kernel_upper_block_sumILi64EiPKdPKPddEviT1_lS5_lT2_lT0_lPT3_i,"axG",@progbits,_ZL36rocblas_hemvn_kernel_upper_block_sumILi64EiPKdPKPddEviT1_lS5_lT2_lT0_lPT3_i,comdat
.Lfunc_end163:
	.size	_ZL36rocblas_hemvn_kernel_upper_block_sumILi64EiPKdPKPddEviT1_lS5_lT2_lT0_lPT3_i, .Lfunc_end163-_ZL36rocblas_hemvn_kernel_upper_block_sumILi64EiPKdPKPddEviT1_lS5_lT2_lT0_lPT3_i
                                        ; -- End function
	.set _ZL36rocblas_hemvn_kernel_upper_block_sumILi64EiPKdPKPddEviT1_lS5_lT2_lT0_lPT3_i.num_vgpr, 9
	.set _ZL36rocblas_hemvn_kernel_upper_block_sumILi64EiPKdPKPddEviT1_lS5_lT2_lT0_lPT3_i.num_agpr, 0
	.set _ZL36rocblas_hemvn_kernel_upper_block_sumILi64EiPKdPKPddEviT1_lS5_lT2_lT0_lPT3_i.numbered_sgpr, 24
	.set _ZL36rocblas_hemvn_kernel_upper_block_sumILi64EiPKdPKPddEviT1_lS5_lT2_lT0_lPT3_i.num_named_barrier, 0
	.set _ZL36rocblas_hemvn_kernel_upper_block_sumILi64EiPKdPKPddEviT1_lS5_lT2_lT0_lPT3_i.private_seg_size, 0
	.set _ZL36rocblas_hemvn_kernel_upper_block_sumILi64EiPKdPKPddEviT1_lS5_lT2_lT0_lPT3_i.uses_vcc, 1
	.set _ZL36rocblas_hemvn_kernel_upper_block_sumILi64EiPKdPKPddEviT1_lS5_lT2_lT0_lPT3_i.uses_flat_scratch, 0
	.set _ZL36rocblas_hemvn_kernel_upper_block_sumILi64EiPKdPKPddEviT1_lS5_lT2_lT0_lPT3_i.has_dyn_sized_stack, 0
	.set _ZL36rocblas_hemvn_kernel_upper_block_sumILi64EiPKdPKPddEviT1_lS5_lT2_lT0_lPT3_i.has_recursion, 0
	.set _ZL36rocblas_hemvn_kernel_upper_block_sumILi64EiPKdPKPddEviT1_lS5_lT2_lT0_lPT3_i.has_indirect_call, 0
	.section	.AMDGPU.csdata,"",@progbits
; Kernel info:
; codeLenInByte = 680
; TotalNumSgprs: 28
; NumVgprs: 9
; ScratchSize: 0
; MemoryBound: 0
; FloatMode: 240
; IeeeMode: 1
; LDSByteSize: 0 bytes/workgroup (compile time only)
; SGPRBlocks: 3
; VGPRBlocks: 2
; NumSGPRsForWavesPerEU: 28
; NumVGPRsForWavesPerEU: 9
; Occupancy: 10
; WaveLimiterHint : 1
; COMPUTE_PGM_RSRC2:SCRATCH_EN: 0
; COMPUTE_PGM_RSRC2:USER_SGPR: 6
; COMPUTE_PGM_RSRC2:TRAP_HANDLER: 0
; COMPUTE_PGM_RSRC2:TGID_X_EN: 1
; COMPUTE_PGM_RSRC2:TGID_Y_EN: 0
; COMPUTE_PGM_RSRC2:TGID_Z_EN: 1
; COMPUTE_PGM_RSRC2:TIDIG_COMP_CNT: 0
	.section	.text._ZL26rocblas_hemvn_kernel_upperILb0ELi64ELi4ELi33ELi32ELi16EldPKPKdPdEviT6_lT7_lT5_lS6_lS7_lS5_lT8_i,"axG",@progbits,_ZL26rocblas_hemvn_kernel_upperILb0ELi64ELi4ELi33ELi32ELi16EldPKPKdPdEviT6_lT7_lT5_lS6_lS7_lS5_lT8_i,comdat
	.globl	_ZL26rocblas_hemvn_kernel_upperILb0ELi64ELi4ELi33ELi32ELi16EldPKPKdPdEviT6_lT7_lT5_lS6_lS7_lS5_lT8_i ; -- Begin function _ZL26rocblas_hemvn_kernel_upperILb0ELi64ELi4ELi33ELi32ELi16EldPKPKdPdEviT6_lT7_lT5_lS6_lS7_lS5_lT8_i
	.p2align	8
	.type	_ZL26rocblas_hemvn_kernel_upperILb0ELi64ELi4ELi33ELi32ELi16EldPKPKdPdEviT6_lT7_lT5_lS6_lS7_lS5_lT8_i,@function
_ZL26rocblas_hemvn_kernel_upperILb0ELi64ELi4ELi33ELi32ELi16EldPKPKdPdEviT6_lT7_lT5_lS6_lS7_lS5_lT8_i: ; @_ZL26rocblas_hemvn_kernel_upperILb0ELi64ELi4ELi33ELi32ELi16EldPKPKdPdEviT6_lT7_lT5_lS6_lS7_lS5_lT8_i
; %bb.0:
	s_load_dwordx2 s[0:1], s[4:5], 0x84
	s_add_u32 s10, s4, 0x78
	s_addc_u32 s11, s5, 0
	s_waitcnt lgkmcnt(0)
	s_lshr_b32 s2, s0, 16
	s_and_b32 s0, s0, 0xffff
	s_and_b32 s1, s1, 0xffff
	s_mul_i32 s0, s2, s0
	s_mul_i32 s0, s0, s1
	s_cmpk_lg_i32 s0, 0x100
	s_cbranch_scc1 .LBB164_4
; %bb.1:
	s_load_dwordx2 s[0:1], s[4:5], 0x8
	s_load_dwordx2 s[8:9], s[4:5], 0x58
	s_waitcnt lgkmcnt(0)
	v_cmp_eq_f64_e64 s[2:3], s[0:1], 0
	v_cmp_eq_f64_e64 s[0:1], s[8:9], 1.0
	s_and_b64 s[0:1], s[2:3], s[0:1]
	s_and_b64 vcc, exec, s[0:1]
	s_cbranch_vccnz .LBB164_4
; %bb.2:
	s_mov_b32 s28, s7
	s_mov_b64 s[0:1], 0
	s_and_b64 vcc, exec, s[2:3]
	s_cbranch_vccz .LBB164_5
; %bb.3:
	s_andn2_b64 vcc, exec, s[0:1]
	s_cbranch_vccz .LBB164_6
.LBB164_4:
	s_endpgm
.LBB164_5:
.LBB164_6:
	s_load_dword s33, s[4:5], 0x0
	s_load_dwordx4 s[0:3], s[4:5], 0x18
	s_load_dwordx2 s[24:25], s[4:5], 0x28
	s_load_dwordx4 s[12:15], s[4:5], 0x38
	s_mov_b32 s29, 0
	s_lshl_b64 s[8:9], s[28:29], 3
	s_waitcnt lgkmcnt(0)
	s_add_u32 s0, s0, s8
	s_addc_u32 s1, s1, s9
	s_add_u32 s12, s12, s8
	s_addc_u32 s13, s13, s9
	s_load_dwordx2 s[16:17], s[12:13], 0x0
	s_load_dword s7, s[10:11], 0x0
	s_load_dwordx2 s[18:19], s[4:5], 0x48
	s_load_dwordx2 s[8:9], s[0:1], 0x0
	s_lshl_b64 s[0:1], s[14:15], 3
	s_waitcnt lgkmcnt(0)
	s_add_u32 s10, s16, s0
	s_addc_u32 s11, s17, s1
	s_lshl_b32 s26, s6, 6
	s_ashr_i32 s38, s33, 31
	s_lshr_b32 s0, s38, 26
	v_add_u32_e32 v58, s26, v0
	s_add_i32 s0, s33, s0
	v_ashrrev_i32_e32 v59, 31, v58
	s_and_b32 s13, s0, 0xffffffc0
	v_mul_lo_u32 v4, s18, v59
	v_mul_lo_u32 v5, s19, v58
	v_mad_u64_u32 v[2:3], s[0:1], s18, v58, 0
	s_add_i32 s12, s7, -1
	s_sub_i32 s29, s33, s13
	v_add3_u32 v3, v3, v4, v5
	v_lshlrev_b64 v[2:3], 3, v[2:3]
	s_cmp_eq_u32 s6, s12
	v_mov_b32_e32 v4, s11
	v_add_co_u32_e32 v14, vcc, s10, v2
	s_cselect_b32 s20, s29, 0
	v_addc_co_u32_e32 v15, vcc, v4, v3, vcc
	v_cmp_eq_u32_e64 s[0:1], 0, v1
	s_and_saveexec_b64 s[10:11], s[0:1]
	s_cbranch_execz .LBB164_10
; %bb.7:
	s_cmp_eq_u32 s20, 0
	s_cselect_b64 s[12:13], -1, 0
	v_cmp_gt_i32_e32 vcc, s20, v0
	v_mov_b32_e32 v2, 0
	v_mov_b32_e32 v3, 0
	s_or_b64 s[14:15], s[12:13], vcc
	s_and_saveexec_b64 s[12:13], s[14:15]
	s_cbranch_execz .LBB164_9
; %bb.8:
	flat_load_dwordx2 v[2:3], v[14:15]
.LBB164_9:
	s_or_b64 exec, exec, s[12:13]
	v_lshlrev_b32_e32 v4, 3, v0
	s_waitcnt vmcnt(0) lgkmcnt(0)
	ds_write_b64 v4, v[2:3] offset:9088
.LBB164_10:
	s_or_b64 exec, exec, s[10:11]
	v_lshl_add_u32 v24, v1, 6, v0
	v_and_b32_e32 v2, 31, v0
	v_lshrrev_b32_e32 v13, 5, v24
	v_mov_b32_e32 v3, 0
	v_mad_u64_u32 v[3:4], s[10:11], s24, v13, v[2:3]
	s_lshl_b64 s[2:3], s[2:3], 3
	s_add_u32 s8, s8, s2
	s_addc_u32 s9, s9, s3
	v_mad_u64_u32 v[4:5], s[2:3], s25, v13, v[4:5]
	s_ashr_i32 s27, s26, 31
	s_lshl_b64 s[2:3], s[26:27], 3
	s_add_u32 s2, s8, s2
	v_lshlrev_b64 v[16:17], 3, v[3:4]
	s_addc_u32 s3, s9, s3
	v_mov_b32_e32 v3, s3
	v_add_co_u32_e32 v4, vcc, s2, v16
	s_mul_hi_u32 s2, s24, s26
	s_mul_i32 s3, s24, s27
	s_add_i32 s2, s2, s3
	s_mul_i32 s3, s25, s26
	s_add_i32 s3, s2, s3
	s_mul_i32 s2, s24, s26
	s_lshl_b64 s[2:3], s[2:3], 3
	v_addc_co_u32_e32 v3, vcc, v3, v17, vcc
	s_cmp_eq_u32 s20, 0
	v_mov_b32_e32 v6, s3
	v_add_co_u32_e32 v5, vcc, s2, v4
	s_cselect_b64 s[22:23], -1, 0
	s_cmp_lg_u32 s20, 0
	v_addc_co_u32_e32 v6, vcc, v3, v6, vcc
	s_cselect_b64 s[30:31], -1, 0
	s_and_b64 vcc, exec, s[30:31]
	v_cmp_gt_i32_e64 s[2:3], s20, v2
	v_lshlrev_b32_e32 v18, 3, v2
	s_cbranch_vccz .LBB164_20
; %bb.11:
	v_sub_co_u32_e32 v3, vcc, v5, v18
	s_ashr_i32 s21, s20, 31
	v_subbrev_co_u32_e32 v4, vcc, 0, v6, vcc
	s_lshl_b64 s[8:9], s[20:21], 3
	v_mov_b32_e32 v7, s9
	v_add_co_u32_e32 v3, vcc, s8, v3
	v_addc_co_u32_e32 v4, vcc, v4, v7, vcc
	v_add_co_u32_e32 v3, vcc, -8, v3
	v_addc_co_u32_e32 v4, vcc, -1, v4, vcc
	v_mov_b32_e32 v7, 0
	v_mov_b32_e32 v9, 0
	v_cndmask_b32_e64 v4, v4, v6, s[2:3]
	v_cndmask_b32_e64 v3, v3, v5, s[2:3]
	v_mov_b32_e32 v8, 0
	v_mov_b32_e32 v10, 0
	v_cmp_gt_i32_e32 vcc, s20, v13
	s_and_saveexec_b64 s[10:11], vcc
	s_cbranch_execz .LBB164_13
; %bb.12:
	flat_load_dwordx2 v[9:10], v[3:4]
.LBB164_13:
	s_or_b64 exec, exec, s[10:11]
	v_lshlrev_b32_e32 v11, 3, v2
	s_movk_i32 s10, 0x108
	v_mad_u32_u24 v19, v13, s10, v11
	s_waitcnt vmcnt(0) lgkmcnt(0)
	ds_write_b64 v19, v[9:10]
	v_add_u32_e32 v9, 8, v13
	v_mul_u32_u24_e32 v12, 0x108, v13
	v_cmp_gt_i32_e32 vcc, s20, v9
	s_and_saveexec_b64 s[10:11], vcc
	s_cbranch_execz .LBB164_15
; %bb.14:
	s_lshl_b64 s[12:13], s[24:25], 6
	v_mov_b32_e32 v8, s13
	v_add_co_u32_e32 v7, vcc, s12, v3
	v_addc_co_u32_e32 v8, vcc, v4, v8, vcc
	flat_load_dwordx2 v[7:8], v[7:8]
.LBB164_15:
	s_or_b64 exec, exec, s[10:11]
	v_add_u32_e32 v11, v12, v11
	s_waitcnt vmcnt(0) lgkmcnt(0)
	ds_write_b64 v11, v[7:8] offset:2112
	v_add_u32_e32 v12, 16, v13
	v_mov_b32_e32 v7, 0
	v_mov_b32_e32 v9, 0
	;; [unrolled: 1-line block ×4, first 2 shown]
	v_cmp_gt_i32_e32 vcc, s20, v12
	s_and_saveexec_b64 s[10:11], vcc
	s_cbranch_execz .LBB164_17
; %bb.16:
	s_lshl_b64 s[12:13], s[24:25], 7
	v_mov_b32_e32 v10, s13
	v_add_co_u32_e32 v9, vcc, s12, v3
	v_addc_co_u32_e32 v10, vcc, v4, v10, vcc
	flat_load_dwordx2 v[9:10], v[9:10]
.LBB164_17:
	s_or_b64 exec, exec, s[10:11]
	s_waitcnt vmcnt(0) lgkmcnt(0)
	ds_write_b64 v11, v[9:10] offset:4224
	v_add_u32_e32 v9, 24, v13
	v_cmp_gt_i32_e32 vcc, s20, v9
	s_and_saveexec_b64 s[10:11], vcc
	s_cbranch_execz .LBB164_19
; %bb.18:
	v_mov_b32_e32 v7, 0xc0
	v_mad_u64_u32 v[7:8], s[12:13], s24, v7, v[3:4]
	s_mul_i32 s12, s25, 0xc0
	v_add_u32_e32 v8, s12, v8
	flat_load_dwordx2 v[7:8], v[7:8]
.LBB164_19:
	s_or_b64 exec, exec, s[10:11]
	v_add_co_u32_e32 v3, vcc, v3, v18
	v_addc_co_u32_e32 v4, vcc, 0, v4, vcc
	s_waitcnt vmcnt(0) lgkmcnt(0)
	ds_write_b64 v11, v[7:8] offset:6336
	v_mov_b32_e32 v7, s9
	v_subrev_co_u32_e32 v3, vcc, s8, v3
	v_subb_co_u32_e32 v4, vcc, v4, v7, vcc
	v_add_co_u32_e32 v3, vcc, 8, v3
	v_addc_co_u32_e32 v4, vcc, 0, v4, vcc
	v_cndmask_b32_e64 v4, v4, v6, s[2:3]
	v_cndmask_b32_e64 v3, v3, v5, s[2:3]
	s_branch .LBB164_22
.LBB164_20:
                                        ; implicit-def: $vgpr3_vgpr4
	s_cbranch_execz .LBB164_22
; %bb.21:
	s_lshl_b64 s[2:3], s[24:25], 6
	v_mov_b32_e32 v10, s3
	v_add_co_u32_e32 v3, vcc, s2, v5
	v_addc_co_u32_e32 v4, vcc, v6, v10, vcc
	v_add_co_u32_e32 v7, vcc, s2, v3
	v_addc_co_u32_e32 v8, vcc, v4, v10, vcc
	;; [unrolled: 2-line block ×3, first 2 shown]
	flat_load_dwordx2 v[11:12], v[5:6]
	flat_load_dwordx2 v[19:20], v[3:4]
	;; [unrolled: 1-line block ×4, first 2 shown]
	v_mul_u32_u24_e32 v3, 0x108, v13
	v_lshl_add_u32 v3, v2, 3, v3
	s_waitcnt vmcnt(0) lgkmcnt(0)
	ds_write_b64 v3, v[11:12]
	ds_write_b64 v3, v[19:20] offset:2112
	ds_write_b64 v3, v[21:22] offset:4224
	;; [unrolled: 1-line block ×3, first 2 shown]
	v_mov_b32_e32 v3, v5
	v_mov_b32_e32 v4, v6
.LBB164_22:
	v_lshlrev_b32_e32 v20, 3, v2
	v_lshlrev_b32_e32 v19, 2, v13
	v_lshl_or_b32 v5, v2, 8, v20
	v_cmp_gt_u32_e64 s[16:17], v19, v2
	v_lshl_add_u32 v5, v19, 3, v5
	s_waitcnt lgkmcnt(0)
	s_barrier
	s_and_saveexec_b64 s[2:3], s[16:17]
	s_cbranch_execz .LBB164_24
; %bb.23:
	s_movk_i32 s8, 0x420
	v_mad_u32_u24 v6, v13, s8, v20
	ds_read_b64 v[6:7], v6
	s_waitcnt lgkmcnt(0)
	ds_write_b64 v5, v[6:7]
.LBB164_24:
	s_or_b64 exec, exec, s[2:3]
	v_or_b32_e32 v22, 1, v19
	v_cmp_ge_u32_e64 s[8:9], v19, v2
	s_and_saveexec_b64 s[2:3], s[8:9]
	s_cbranch_execz .LBB164_26
; %bb.25:
	s_movk_i32 s10, 0x108
	v_mad_u32_u24 v6, v22, s10, v20
	ds_read_b64 v[6:7], v6
	s_waitcnt lgkmcnt(0)
	ds_write_b64 v5, v[6:7] offset:8
.LBB164_26:
	s_or_b64 exec, exec, s[2:3]
	v_or_b32_e32 v6, 2, v19
	v_cmp_gt_u32_e64 s[10:11], v6, v2
	s_and_saveexec_b64 s[2:3], s[10:11]
	s_cbranch_execz .LBB164_28
; %bb.27:
	s_movk_i32 s12, 0x108
	v_mad_u32_u24 v6, v6, s12, v20
	ds_read_b64 v[6:7], v6
	s_waitcnt lgkmcnt(0)
	ds_write_b64 v5, v[6:7] offset:16
.LBB164_28:
	s_or_b64 exec, exec, s[2:3]
	v_or_b32_e32 v7, 3, v19
	v_cmp_gt_u32_e64 s[12:13], v7, v2
	v_cmp_le_u32_e32 vcc, v7, v2
                                        ; implicit-def: $vgpr6
	s_and_saveexec_b64 s[2:3], vcc
	s_xor_b64 s[2:3], exec, s[2:3]
; %bb.29:
	v_mul_u32_u24_e32 v6, 0x108, v7
                                        ; implicit-def: $vgpr7
                                        ; implicit-def: $vgpr5
; %bb.30:
	s_andn2_saveexec_b64 s[2:3], s[2:3]
	s_cbranch_execz .LBB164_32
; %bb.31:
	s_movk_i32 s14, 0x108
	v_mad_u32_u24 v6, v7, s14, v20
	ds_read_b64 v[8:9], v6
	v_mul_u32_u24_e32 v6, 0x108, v7
	s_waitcnt lgkmcnt(0)
	ds_write_b64 v5, v[8:9] offset:24
.LBB164_32:
	s_or_b64 exec, exec, s[2:3]
	s_movk_i32 s2, 0x420
	v_mad_u32_u24 v5, v13, s2, v20
	s_waitcnt lgkmcnt(0)
	s_barrier
	v_lshlrev_b32_e32 v23, 3, v19
	ds_read_b64 v[11:12], v5
	ds_read_b128 v[7:10], v23 offset:9088
	s_movk_i32 s2, 0x108
	v_mad_u32_u24 v5, v22, s2, v20
	ds_read2_b64 v[25:28], v5 offset1:33
	v_add_u32_e32 v21, v20, v6
	s_waitcnt lgkmcnt(1)
	v_fma_f64 v[7:8], v[11:12], v[7:8], 0
	v_mov_b32_e32 v60, 0
	v_mov_b32_e32 v61, 0
	v_cmp_gt_u32_e64 s[2:3], 32, v24
	ds_read_b64 v[5:6], v21
	s_waitcnt lgkmcnt(1)
	v_fma_f64 v[11:12], v[25:26], v[9:10], v[7:8]
	ds_read_b128 v[7:10], v23 offset:9104
	s_waitcnt lgkmcnt(0)
	s_barrier
	v_fma_f64 v[7:8], v[27:28], v[7:8], v[11:12]
	v_fma_f64 v[5:6], v[5:6], v[9:10], v[7:8]
	v_mul_u32_u24_e32 v7, 33, v2
	v_lshlrev_b32_e32 v25, 3, v7
	v_lshl_add_u32 v26, v13, 3, v25
	ds_write_b64 v26, v[5:6]
	s_waitcnt lgkmcnt(0)
	s_barrier
	s_and_saveexec_b64 s[14:15], s[2:3]
	s_cbranch_execz .LBB164_34
; %bb.33:
	ds_read2_b64 v[5:8], v25 offset1:1
	ds_read2_b64 v[9:12], v25 offset0:2 offset1:3
	s_waitcnt lgkmcnt(1)
	v_add_f64 v[5:6], v[5:6], v[7:8]
	s_waitcnt lgkmcnt(0)
	v_add_f64 v[5:6], v[5:6], v[9:10]
	v_add_f64 v[27:28], v[5:6], v[11:12]
	ds_read2_b64 v[5:8], v25 offset0:4 offset1:5
	ds_read2_b64 v[9:12], v25 offset0:6 offset1:7
	s_waitcnt lgkmcnt(1)
	v_add_f64 v[5:6], v[27:28], v[5:6]
	v_add_f64 v[5:6], v[5:6], v[7:8]
	s_waitcnt lgkmcnt(0)
	v_add_f64 v[5:6], v[5:6], v[9:10]
	v_add_f64 v[60:61], v[5:6], v[11:12]
.LBB164_34:
	s_or_b64 exec, exec, s[14:15]
	s_lshl_b64 s[14:15], s[24:25], 8
	v_mov_b32_e32 v6, s15
	v_add_co_u32_e32 v5, vcc, s14, v3
	v_addc_co_u32_e32 v6, vcc, v4, v6, vcc
	v_add_co_u32_e32 v3, vcc, 0x100, v5
	v_addc_co_u32_e32 v4, vcc, 0, v6, vcc
	s_and_b64 vcc, exec, s[30:31]
	s_barrier
	s_cbranch_vccz .LBB164_44
; %bb.35:
	v_sub_co_u32_e32 v8, vcc, v5, v18
	s_ashr_i32 s21, s20, 31
	v_subbrev_co_u32_e32 v9, vcc, 0, v6, vcc
	s_lshl_b64 s[34:35], s[20:21], 3
	v_mov_b32_e32 v10, s35
	v_add_co_u32_e32 v8, vcc, s34, v8
	v_or_b32_e32 v7, 32, v2
	v_addc_co_u32_e32 v9, vcc, v9, v10, vcc
	v_add_co_u32_e32 v10, vcc, -8, v8
	v_cmp_gt_i32_e64 s[14:15], s20, v7
	v_addc_co_u32_e32 v8, vcc, -1, v9, vcc
	v_cndmask_b32_e64 v7, v10, v3, s[14:15]
	s_sub_i32 s21, s20, 32
	v_mov_b32_e32 v9, 0
	v_mov_b32_e32 v11, 0
	v_cndmask_b32_e64 v8, v8, v4, s[14:15]
	v_mov_b32_e32 v10, 0
	v_mov_b32_e32 v12, 0
	v_cmp_gt_i32_e32 vcc, s21, v13
	s_and_saveexec_b64 s[36:37], vcc
	s_cbranch_execz .LBB164_37
; %bb.36:
	flat_load_dwordx2 v[11:12], v[7:8]
.LBB164_37:
	s_or_b64 exec, exec, s[36:37]
	s_movk_i32 s36, 0x108
	v_mad_u32_u24 v28, v13, s36, v20
	s_waitcnt vmcnt(0) lgkmcnt(0)
	ds_write_b64 v28, v[11:12]
	v_add_u32_e32 v11, 8, v13
	v_mul_u32_u24_e32 v27, 0x108, v13
	v_cmp_gt_i32_e32 vcc, s21, v11
	s_and_saveexec_b64 s[36:37], vcc
	s_cbranch_execz .LBB164_39
; %bb.38:
	s_lshl_b64 s[40:41], s[24:25], 6
	v_mov_b32_e32 v10, s41
	v_add_co_u32_e32 v9, vcc, s40, v7
	v_addc_co_u32_e32 v10, vcc, v8, v10, vcc
	flat_load_dwordx2 v[9:10], v[9:10]
.LBB164_39:
	s_or_b64 exec, exec, s[36:37]
	v_add_u32_e32 v27, v27, v20
	s_waitcnt vmcnt(0) lgkmcnt(0)
	ds_write_b64 v27, v[9:10] offset:2112
	v_add_u32_e32 v28, 16, v13
	v_mov_b32_e32 v9, 0
	v_mov_b32_e32 v11, 0
	;; [unrolled: 1-line block ×4, first 2 shown]
	v_cmp_gt_i32_e32 vcc, s21, v28
	s_and_saveexec_b64 s[36:37], vcc
	s_cbranch_execz .LBB164_41
; %bb.40:
	s_lshl_b64 s[40:41], s[24:25], 7
	v_mov_b32_e32 v12, s41
	v_add_co_u32_e32 v11, vcc, s40, v7
	v_addc_co_u32_e32 v12, vcc, v8, v12, vcc
	flat_load_dwordx2 v[11:12], v[11:12]
.LBB164_41:
	s_or_b64 exec, exec, s[36:37]
	s_waitcnt vmcnt(0) lgkmcnt(0)
	ds_write_b64 v27, v[11:12] offset:4224
	v_add_u32_e32 v11, 24, v13
	v_cmp_gt_i32_e32 vcc, s21, v11
	s_and_saveexec_b64 s[36:37], vcc
	s_cbranch_execz .LBB164_43
; %bb.42:
	v_mov_b32_e32 v9, 0xc0
	v_mad_u64_u32 v[9:10], s[40:41], s24, v9, v[7:8]
	s_mul_i32 s21, s25, 0xc0
	v_add_u32_e32 v10, s21, v10
	flat_load_dwordx2 v[9:10], v[9:10]
.LBB164_43:
	s_or_b64 exec, exec, s[36:37]
	v_add_co_u32_e32 v7, vcc, v7, v18
	v_addc_co_u32_e32 v8, vcc, 0, v8, vcc
	s_waitcnt vmcnt(0) lgkmcnt(0)
	ds_write_b64 v27, v[9:10] offset:6336
	v_mov_b32_e32 v9, s35
	v_subrev_co_u32_e32 v7, vcc, s34, v7
	v_subb_co_u32_e32 v8, vcc, v8, v9, vcc
	v_add_co_u32_e32 v7, vcc, 0x108, v7
	v_addc_co_u32_e32 v8, vcc, 0, v8, vcc
	v_cndmask_b32_e64 v8, v8, v4, s[14:15]
	v_cndmask_b32_e64 v7, v7, v3, s[14:15]
	v_mul_u32_u24_e32 v9, 0x420, v13
	s_branch .LBB164_46
.LBB164_44:
                                        ; implicit-def: $vgpr7_vgpr8
	v_mul_u32_u24_e32 v9, 0x420, v13
	s_cbranch_execz .LBB164_46
; %bb.45:
	s_lshl_b64 s[14:15], s[24:25], 6
	v_mov_b32_e32 v12, s15
	v_add_co_u32_e32 v7, vcc, s14, v5
	v_addc_co_u32_e32 v8, vcc, v6, v12, vcc
	v_add_co_u32_e32 v10, vcc, s14, v7
	v_addc_co_u32_e32 v11, vcc, v8, v12, vcc
	;; [unrolled: 2-line block ×3, first 2 shown]
	flat_load_dwordx2 v[29:30], v[5:6] offset:256
	flat_load_dwordx2 v[31:32], v[7:8] offset:256
	;; [unrolled: 1-line block ×4, first 2 shown]
	s_movk_i32 s14, 0x108
	v_mov_b32_e32 v8, v4
	v_mad_u32_u24 v5, v13, s14, v20
	v_mov_b32_e32 v7, v3
	s_waitcnt vmcnt(0) lgkmcnt(0)
	ds_write_b64 v5, v[29:30]
	ds_write_b64 v5, v[31:32] offset:2112
	ds_write_b64 v5, v[33:34] offset:4224
	;; [unrolled: 1-line block ×3, first 2 shown]
.LBB164_46:
	v_mul_u32_u24_e32 v4, 0x108, v22
	v_add_u32_e32 v11, v20, v9
	v_lshl_add_u32 v3, v19, 3, v25
	s_waitcnt lgkmcnt(0)
	s_barrier
	s_and_saveexec_b64 s[14:15], s[16:17]
	s_cbranch_execz .LBB164_50
; %bb.47:
	ds_read_b64 v[5:6], v11
	s_waitcnt lgkmcnt(0)
	ds_write_b64 v3, v[5:6]
	s_or_b64 exec, exec, s[14:15]
	v_add_u32_e32 v27, v20, v4
	s_and_saveexec_b64 s[14:15], s[8:9]
	s_cbranch_execnz .LBB164_51
.LBB164_48:
	s_or_b64 exec, exec, s[14:15]
	s_and_saveexec_b64 s[8:9], s[10:11]
	s_cbranch_execz .LBB164_52
.LBB164_49:
	ds_read_b64 v[4:5], v27 offset:264
	s_waitcnt lgkmcnt(0)
	ds_write_b64 v3, v[4:5] offset:16
	s_or_b64 exec, exec, s[8:9]
	v_add_u32_e32 v28, 0x2380, v23
	s_and_saveexec_b64 s[8:9], s[12:13]
	s_cbranch_execnz .LBB164_53
	s_branch .LBB164_54
.LBB164_50:
	s_or_b64 exec, exec, s[14:15]
	v_add_u32_e32 v27, v20, v4
	s_and_saveexec_b64 s[14:15], s[8:9]
	s_cbranch_execz .LBB164_48
.LBB164_51:
	ds_read_b64 v[4:5], v27
	s_waitcnt lgkmcnt(0)
	ds_write_b64 v3, v[4:5] offset:8
	s_or_b64 exec, exec, s[14:15]
	s_and_saveexec_b64 s[8:9], s[10:11]
	s_cbranch_execnz .LBB164_49
.LBB164_52:
	s_or_b64 exec, exec, s[8:9]
	v_add_u32_e32 v28, 0x2380, v23
	s_and_saveexec_b64 s[8:9], s[12:13]
	s_cbranch_execz .LBB164_54
.LBB164_53:
	ds_read_b64 v[4:5], v21
	s_waitcnt lgkmcnt(0)
	ds_write_b64 v3, v[4:5] offset:24
.LBB164_54:
	s_or_b64 exec, exec, s[8:9]
	s_waitcnt lgkmcnt(0)
	s_barrier
	ds_read_b64 v[9:10], v11
	ds_read_b128 v[3:6], v28 offset:256
	ds_read_b128 v[29:32], v28 offset:272
	ds_read_b64 v[22:23], v21
	ds_read2_b64 v[33:36], v27 offset1:33
	v_cmp_eq_u32_e64 s[8:9], 1, v13
	s_waitcnt lgkmcnt(3)
	v_fma_f64 v[3:4], v[9:10], v[3:4], 0
	s_waitcnt lgkmcnt(0)
	s_barrier
	v_fma_f64 v[3:4], v[33:34], v[5:6], v[3:4]
	v_fma_f64 v[3:4], v[35:36], v[29:30], v[3:4]
	;; [unrolled: 1-line block ×3, first 2 shown]
	ds_write_b64 v26, v[3:4]
	s_waitcnt lgkmcnt(0)
	s_barrier
	s_and_saveexec_b64 s[10:11], s[8:9]
	s_cbranch_execz .LBB164_56
; %bb.55:
	ds_read2_b64 v[3:6], v25 offset1:1
	ds_read2_b64 v[29:32], v25 offset0:2 offset1:3
	s_waitcnt lgkmcnt(1)
	v_add_f64 v[3:4], v[3:4], v[5:6]
	s_waitcnt lgkmcnt(0)
	v_add_f64 v[3:4], v[3:4], v[29:30]
	v_add_f64 v[9:10], v[3:4], v[31:32]
	ds_read2_b64 v[3:6], v25 offset0:4 offset1:5
	ds_read2_b64 v[29:32], v25 offset0:6 offset1:7
	s_waitcnt lgkmcnt(1)
	v_add_f64 v[3:4], v[9:10], v[3:4]
	v_add_f64 v[3:4], v[3:4], v[5:6]
	s_waitcnt lgkmcnt(0)
	v_add_f64 v[3:4], v[3:4], v[29:30]
	v_add_f64 v[60:61], v[3:4], v[31:32]
.LBB164_56:
	s_or_b64 exec, exec, s[10:11]
	v_add_co_u32_e32 v3, vcc, 0xffffff00, v7
	v_addc_co_u32_e32 v4, vcc, -1, v8, vcc
	s_and_b64 vcc, exec, s[30:31]
	s_barrier
	s_cbranch_vccz .LBB164_66
; %bb.57:
	v_sub_co_u32_e32 v5, vcc, v3, v18
	s_ashr_i32 s21, s20, 31
	v_subbrev_co_u32_e32 v6, vcc, 0, v4, vcc
	s_lshl_b64 s[12:13], s[20:21], 3
	v_mov_b32_e32 v7, s13
	v_add_co_u32_e32 v5, vcc, s12, v5
	v_addc_co_u32_e32 v6, vcc, v6, v7, vcc
	v_add_co_u32_e32 v5, vcc, -8, v5
	v_addc_co_u32_e32 v6, vcc, -1, v6, vcc
	v_cmp_gt_i32_e32 vcc, s20, v2
	s_sub_i32 s16, s20, 32
	v_mov_b32_e32 v7, 0
	v_mov_b32_e32 v9, 0
	v_cndmask_b32_e32 v6, v6, v4, vcc
	v_cndmask_b32_e32 v5, v5, v3, vcc
	v_mov_b32_e32 v8, 0
	v_mov_b32_e32 v10, 0
	v_cmp_gt_i32_e64 s[10:11], s16, v13
	s_and_saveexec_b64 s[14:15], s[10:11]
	s_cbranch_execz .LBB164_59
; %bb.58:
	flat_load_dwordx2 v[9:10], v[5:6]
.LBB164_59:
	s_or_b64 exec, exec, s[14:15]
	s_movk_i32 s10, 0x108
	v_mad_u32_u24 v2, v13, s10, v20
	s_waitcnt vmcnt(0) lgkmcnt(0)
	ds_write_b64 v2, v[9:10]
	v_add_u32_e32 v2, 8, v13
	v_mul_u32_u24_e32 v12, 0x108, v13
	v_cmp_gt_i32_e64 s[10:11], s16, v2
	s_and_saveexec_b64 s[14:15], s[10:11]
	s_cbranch_execz .LBB164_61
; %bb.60:
	s_lshl_b64 s[10:11], s[24:25], 6
	v_mov_b32_e32 v8, s11
	v_add_co_u32_e64 v7, s[10:11], s10, v5
	v_addc_co_u32_e64 v8, s[10:11], v6, v8, s[10:11]
	flat_load_dwordx2 v[7:8], v[7:8]
.LBB164_61:
	s_or_b64 exec, exec, s[14:15]
	v_add_u32_e32 v19, v12, v20
	s_waitcnt vmcnt(0) lgkmcnt(0)
	ds_write_b64 v19, v[7:8] offset:2112
	v_add_u32_e32 v12, 16, v13
	v_mov_b32_e32 v7, 0
	v_mov_b32_e32 v9, 0
	;; [unrolled: 1-line block ×4, first 2 shown]
	v_cmp_gt_i32_e64 s[10:11], s16, v12
	s_and_saveexec_b64 s[14:15], s[10:11]
	s_cbranch_execz .LBB164_63
; %bb.62:
	s_lshl_b64 s[10:11], s[24:25], 7
	v_mov_b32_e32 v10, s11
	v_add_co_u32_e64 v9, s[10:11], s10, v5
	v_addc_co_u32_e64 v10, s[10:11], v6, v10, s[10:11]
	flat_load_dwordx2 v[9:10], v[9:10]
.LBB164_63:
	s_or_b64 exec, exec, s[14:15]
	s_waitcnt vmcnt(0) lgkmcnt(0)
	ds_write_b64 v19, v[9:10] offset:4224
	v_add_u32_e32 v9, 24, v13
	v_cmp_gt_i32_e64 s[10:11], s16, v9
	s_and_saveexec_b64 s[14:15], s[10:11]
	s_cbranch_execz .LBB164_65
; %bb.64:
	v_mov_b32_e32 v7, 0xc0
	v_mad_u64_u32 v[7:8], s[10:11], s24, v7, v[5:6]
	s_mul_i32 s10, s25, 0xc0
	v_add_u32_e32 v8, s10, v8
	flat_load_dwordx2 v[7:8], v[7:8]
.LBB164_65:
	s_or_b64 exec, exec, s[14:15]
	v_add_co_u32_e64 v5, s[10:11], v5, v18
	v_addc_co_u32_e64 v6, s[10:11], 0, v6, s[10:11]
	s_waitcnt vmcnt(0) lgkmcnt(0)
	ds_write_b64 v19, v[7:8] offset:6336
	v_mov_b32_e32 v7, s13
	v_subrev_co_u32_e64 v5, s[10:11], s12, v5
	v_subb_co_u32_e64 v6, s[10:11], v6, v7, s[10:11]
	v_add_co_u32_e64 v5, s[10:11], 8, v5
	v_addc_co_u32_e64 v6, s[10:11], 0, v6, s[10:11]
	v_cndmask_b32_e32 v19, v6, v4, vcc
	v_cndmask_b32_e32 v18, v5, v3, vcc
	s_branch .LBB164_68
.LBB164_66:
                                        ; implicit-def: $vgpr18_vgpr19
                                        ; implicit-def: $vgpr2
                                        ; implicit-def: $vgpr12
                                        ; implicit-def: $vgpr9
	s_cbranch_execz .LBB164_68
; %bb.67:
	s_lshl_b64 s[10:11], s[24:25], 6
	v_mov_b32_e32 v2, s11
	v_add_co_u32_e32 v5, vcc, s10, v3
	v_addc_co_u32_e32 v6, vcc, v4, v2, vcc
	v_add_co_u32_e32 v7, vcc, s10, v5
	v_addc_co_u32_e32 v8, vcc, v6, v2, vcc
	;; [unrolled: 2-line block ×3, first 2 shown]
	flat_load_dwordx2 v[18:19], v[3:4]
	flat_load_dwordx2 v[22:23], v[5:6]
	;; [unrolled: 1-line block ×4, first 2 shown]
	s_movk_i32 s10, 0x108
	v_mad_u32_u24 v5, v13, s10, v20
	v_add_u32_e32 v2, 8, v13
	v_add_u32_e32 v12, 16, v13
	;; [unrolled: 1-line block ×3, first 2 shown]
	s_waitcnt vmcnt(0) lgkmcnt(0)
	ds_write_b64 v5, v[18:19]
	ds_write_b64 v5, v[22:23] offset:2112
	ds_write_b64 v5, v[29:30] offset:4224
	ds_write_b64 v5, v[31:32] offset:6336
	v_mov_b32_e32 v19, v4
	v_mov_b32_e32 v18, v3
.LBB164_68:
	v_lshlrev_b32_e32 v6, 3, v13
	v_add_u32_e32 v3, v25, v6
	s_waitcnt lgkmcnt(0)
	s_barrier
	v_lshlrev_b32_e32 v8, 3, v2
	ds_read_b64 v[2:3], v3
	ds_read_b64 v[4:5], v8 offset:9088
	ds_read_b64 v[6:7], v6 offset:9088
	ds_read_b64 v[20:21], v21
	v_lshlrev_b32_e32 v10, 3, v12
	v_lshlrev_b32_e32 v22, 3, v9
	s_waitcnt lgkmcnt(1)
	v_fma_f64 v[2:3], v[2:3], v[6:7], 0
	v_add_u32_e32 v6, v25, v8
	ds_read_b64 v[6:7], v6
	ds_read_b64 v[8:9], v22 offset:9088
	ds_read_b64 v[12:13], v10 offset:9088
	s_waitcnt lgkmcnt(2)
	v_fma_f64 v[2:3], v[6:7], v[4:5], v[2:3]
	v_add_u32_e32 v4, v25, v10
	ds_read_b64 v[4:5], v4
	s_waitcnt lgkmcnt(0)
	v_fma_f64 v[2:3], v[4:5], v[12:13], v[2:3]
	v_add_u32_e32 v4, v25, v22
	ds_read_b64 v[4:5], v4
	ds_read_b64 v[22:23], v11
	s_waitcnt lgkmcnt(1)
	v_fma_f64 v[29:30], v[4:5], v[8:9], v[2:3]
	ds_read_b128 v[10:13], v28 offset:256
	ds_read_b128 v[2:5], v28 offset:272
	ds_read2_b64 v[6:9], v27 offset1:33
	s_waitcnt lgkmcnt(0)
	s_barrier
	ds_write_b64 v26, v[29:30]
	s_waitcnt lgkmcnt(0)
	s_barrier
	s_and_saveexec_b64 s[10:11], s[8:9]
	s_cbranch_execz .LBB164_70
; %bb.69:
	ds_read2_b64 v[27:30], v25 offset1:1
	ds_read2_b64 v[31:34], v25 offset0:2 offset1:3
	s_waitcnt lgkmcnt(1)
	v_add_f64 v[27:28], v[60:61], v[27:28]
	v_add_f64 v[27:28], v[27:28], v[29:30]
	s_waitcnt lgkmcnt(0)
	v_add_f64 v[27:28], v[27:28], v[31:32]
	v_add_f64 v[35:36], v[27:28], v[33:34]
	ds_read2_b64 v[27:30], v25 offset0:4 offset1:5
	ds_read2_b64 v[31:34], v25 offset0:6 offset1:7
	s_waitcnt lgkmcnt(1)
	v_add_f64 v[27:28], v[35:36], v[27:28]
	v_add_f64 v[27:28], v[27:28], v[29:30]
	s_waitcnt lgkmcnt(0)
	v_add_f64 v[27:28], v[27:28], v[31:32]
	v_add_f64 v[60:61], v[27:28], v[33:34]
.LBB164_70:
	s_or_b64 exec, exec, s[10:11]
	v_fma_f64 v[10:11], v[22:23], v[10:11], 0
	s_barrier
	v_fma_f64 v[6:7], v[6:7], v[12:13], v[10:11]
	v_fma_f64 v[2:3], v[8:9], v[2:3], v[6:7]
	v_fma_f64 v[2:3], v[20:21], v[4:5], v[2:3]
	ds_write_b64 v26, v[2:3]
	s_waitcnt lgkmcnt(0)
	s_barrier
	s_and_saveexec_b64 s[8:9], s[2:3]
	s_cbranch_execz .LBB164_72
; %bb.71:
	ds_read2_b64 v[2:5], v25 offset1:1
	ds_read2_b64 v[6:9], v25 offset0:2 offset1:3
	s_waitcnt lgkmcnt(1)
	v_add_f64 v[2:3], v[60:61], v[2:3]
	v_add_f64 v[2:3], v[2:3], v[4:5]
	s_waitcnt lgkmcnt(0)
	v_add_f64 v[2:3], v[2:3], v[6:7]
	v_add_f64 v[10:11], v[2:3], v[8:9]
	ds_read2_b64 v[2:5], v25 offset0:4 offset1:5
	ds_read2_b64 v[6:9], v25 offset0:6 offset1:7
	s_waitcnt lgkmcnt(1)
	v_add_f64 v[2:3], v[10:11], v[2:3]
	v_add_f64 v[2:3], v[2:3], v[4:5]
	s_waitcnt lgkmcnt(0)
	v_add_f64 v[2:3], v[2:3], v[6:7]
	v_add_f64 v[60:61], v[2:3], v[8:9]
.LBB164_72:
	s_or_b64 exec, exec, s[8:9]
	s_load_dwordx2 s[2:3], s[4:5], 0x68
	s_mul_hi_u32 s4, s33, s28
	s_mul_i32 s38, s38, s28
	s_add_i32 s4, s4, s38
	s_mul_i32 s8, s33, s28
	s_mul_i32 s4, s4, s7
	s_mul_hi_u32 s5, s8, s7
	s_add_i32 s5, s5, s4
	s_mul_i32 s4, s8, s7
	s_lshl_b64 s[4:5], s[4:5], 3
	s_waitcnt lgkmcnt(0)
	s_add_u32 s4, s2, s4
	s_addc_u32 s5, s3, s5
	s_mul_hi_i32 s3, s33, s6
	s_mul_i32 s2, s33, s6
	s_lshl_b64 s[2:3], s[2:3], 3
	s_add_u32 s14, s4, s2
	s_addc_u32 s15, s5, s3
	s_add_i32 s2, s6, 1
	s_cmp_ge_u32 s2, s7
	v_lshlrev_b32_e32 v94, 3, v0
	s_barrier
	s_cbranch_scc1 .LBB164_129
; %bb.73:
	v_lshlrev_b32_e32 v7, 5, v1
	v_add_u32_e32 v4, 0x110, v7
	v_mad_u64_u32 v[2:3], s[2:3], s24, v4, 0
	v_add_u32_e32 v6, 0x118, v7
	v_add_u32_e32 v20, 0x190, v7
	v_mad_u64_u32 v[3:4], s[2:3], s25, v4, v[3:4]
	v_mad_u64_u32 v[4:5], s[2:3], s24, v6, 0
	v_sub_co_u32_e32 v8, vcc, v2, v16
	v_mov_b32_e32 v2, v5
	v_subb_co_u32_e32 v9, vcc, v3, v17, vcc
	v_mad_u64_u32 v[2:3], s[2:3], s25, v6, v[2:3]
	v_add_u32_e32 v3, 0x108, v7
	v_mad_u64_u32 v[5:6], s[2:3], s24, v3, 0
	v_sub_co_u32_e32 v10, vcc, v4, v16
	v_subb_co_u32_e32 v11, vcc, v2, v17, vcc
	v_mov_b32_e32 v2, v6
	v_mad_u64_u32 v[2:3], s[2:3], s25, v3, v[2:3]
	v_add_u32_e32 v6, 0x100, v7
	v_mad_u64_u32 v[3:4], s[2:3], s24, v6, 0
	v_sub_co_u32_e32 v12, vcc, v5, v16
	v_subb_co_u32_e32 v13, vcc, v2, v17, vcc
	v_mov_b32_e32 v2, v4
	v_mad_u64_u32 v[4:5], s[2:3], s25, v6, v[2:3]
	v_mad_u64_u32 v[5:6], s[2:3], s24, v20, 0
	v_sub_co_u32_e32 v21, vcc, v3, v16
	v_mov_b32_e32 v2, v6
	v_mad_u64_u32 v[2:3], s[2:3], s25, v20, v[2:3]
	v_add_u32_e32 v6, 0x198, v7
	v_subb_co_u32_e32 v22, vcc, v4, v17, vcc
	v_mad_u64_u32 v[3:4], s[2:3], s24, v6, 0
	v_sub_co_u32_e32 v20, vcc, v5, v16
	v_subb_co_u32_e32 v23, vcc, v2, v17, vcc
	v_mov_b32_e32 v2, v4
	v_mad_u64_u32 v[4:5], s[2:3], s25, v6, v[2:3]
	v_add_u32_e32 v25, 0x188, v7
	v_mad_u64_u32 v[5:6], s[2:3], s24, v25, 0
	v_sub_co_u32_e32 v26, vcc, v3, v16
	v_mov_b32_e32 v2, v6
	v_mad_u64_u32 v[2:3], s[2:3], s25, v25, v[2:3]
	v_add_u32_e32 v6, 0x180, v7
	v_subb_co_u32_e32 v27, vcc, v4, v17, vcc
	v_mad_u64_u32 v[3:4], s[2:3], s24, v6, 0
	v_sub_co_u32_e32 v25, vcc, v5, v16
	v_subb_co_u32_e32 v28, vcc, v2, v17, vcc
	v_mov_b32_e32 v2, v4
	v_mad_u64_u32 v[4:5], s[2:3], s25, v6, v[2:3]
	v_add_u32_e32 v29, 0x210, v7
	;; [unrolled: 12-line block ×5, first 2 shown]
	v_mad_u64_u32 v[5:6], s[2:3], s24, v41, 0
	v_sub_co_u32_e32 v42, vcc, v3, v16
	v_mov_b32_e32 v2, v6
	v_mad_u64_u32 v[2:3], s[2:3], s25, v41, v[2:3]
	v_add_u32_e32 v6, 0x280, v7
	v_subb_co_u32_e32 v43, vcc, v4, v17, vcc
	v_mad_u64_u32 v[3:4], s[2:3], s24, v6, 0
	v_sub_co_u32_e32 v41, vcc, v5, v16
	v_subb_co_u32_e32 v44, vcc, v2, v17, vcc
	v_mov_b32_e32 v2, v4
	v_mad_u64_u32 v[4:5], s[2:3], s25, v6, v[2:3]
	s_mul_i32 s2, s18, s27
	s_mul_hi_u32 s3, s18, s26
	s_add_i32 s2, s3, s2
	s_mul_i32 s3, s19, s26
	v_sub_co_u32_e32 v2, vcc, v3, v16
	s_add_i32 s3, s2, s3
	s_mul_i32 s2, s18, s26
	v_subb_co_u32_e32 v3, vcc, v4, v17, vcc
	s_lshl_b64 s[2:3], s[2:3], 3
	v_mov_b32_e32 v4, s3
	v_subrev_co_u32_e32 v96, vcc, s2, v14
	v_subb_co_u32_e32 v97, vcc, v15, v4, vcc
	v_add_co_u32_e32 v99, vcc, v18, v8
	v_addc_co_u32_e32 v100, vcc, v19, v9, vcc
	v_add_co_u32_e32 v101, vcc, v18, v10
	v_addc_co_u32_e32 v102, vcc, v19, v11, vcc
	;; [unrolled: 2-line block ×15, first 2 shown]
	v_add_co_u32_e32 v129, vcc, v18, v2
	v_and_b32_e32 v2, 48, v0
	v_lshrrev_b32_e32 v4, 4, v24
	v_and_b32_e32 v5, 15, v0
	s_movk_i32 s4, 0x218
	v_lshlrev_b32_e32 v2, 3, v2
	v_lshlrev_b32_e32 v6, 5, v4
	v_mad_u32_u24 v131, v5, s4, v2
	v_or_b32_e32 v2, 0x78, v94
	v_lshlrev_b32_e32 v95, 2, v1
	v_mad_u32_u24 v98, v5, s4, v6
	v_mad_u32_u24 v132, v5, s4, v2
	s_movk_i32 s4, 0x860
	v_mul_i32_i24_e32 v2, 0xffffffe8, v4
	s_add_i32 s16, s7, -2
	v_cmp_gt_u32_e64 s[2:3], 64, v24
	v_addc_co_u32_e32 v130, vcc, v19, v3, vcc
	v_add_u32_e32 v133, 0x2180, v94
	v_add_u32_e32 v134, 0x2180, v7
	s_add_i32 s17, s26, 64
	s_lshl_b64 s[8:9], s[24:25], 9
	v_add_u32_e32 v135, v98, v2
	v_add_u32_e32 v136, 0x2380, v94
	v_mad_u32_u24 v137, v1, s4, v94
	v_or_b32_e32 v138, 1, v95
	v_or_b32_e32 v139, 2, v95
	;; [unrolled: 1-line block ×3, first 2 shown]
	v_add_u32_e32 v141, 16, v95
	v_add_u32_e32 v142, 17, v95
	;; [unrolled: 1-line block ×12, first 2 shown]
	s_cmp_eq_u32 s16, s6
	s_cselect_b32 s21, s29, 0
	s_and_saveexec_b64 s[4:5], s[0:1]
	s_cbranch_execz .LBB164_78
	s_branch .LBB164_75
.LBB164_74:                             ;   in Loop: Header=BB164_78 Depth=1
	s_mov_b32 s6, s4
	s_cmp_eq_u32 s16, s6
	s_cselect_b32 s21, s29, 0
	s_and_saveexec_b64 s[4:5], s[0:1]
	s_cbranch_execz .LBB164_78
.LBB164_75:
	s_cmp_eq_u32 s21, 0
	s_cselect_b64 s[10:11], -1, 0
	v_cmp_gt_i32_e32 vcc, s21, v0
	v_mov_b32_e32 v2, 0
	v_mov_b32_e32 v3, 0
	s_or_b64 s[12:13], s[10:11], vcc
	s_and_saveexec_b64 s[10:11], s[12:13]
	s_cbranch_execz .LBB164_77
; %bb.76:
	s_ashr_i32 s12, s17, 31
	s_mul_hi_u32 s13, s18, s17
	s_mul_i32 s12, s18, s12
	s_add_i32 s12, s13, s12
	s_mul_i32 s13, s19, s17
	s_add_i32 s13, s12, s13
	s_mul_i32 s12, s18, s17
	s_lshl_b64 s[12:13], s[12:13], 3
	v_mov_b32_e32 v3, s13
	v_add_co_u32_e32 v2, vcc, s12, v96
	v_addc_co_u32_e32 v3, vcc, v97, v3, vcc
	flat_load_dwordx2 v[2:3], v[2:3]
.LBB164_77:
	s_or_b64 exec, exec, s[10:11]
	s_waitcnt vmcnt(0) lgkmcnt(0)
	ds_write_b64 v133, v[2:3]
.LBB164_78:                             ; =>This Inner Loop Header: Depth=1
	s_or_b64 exec, exec, s[4:5]
	s_cmp_eq_u32 s21, 0
	v_add_co_u32_e32 v2, vcc, v105, v94
	s_cselect_b64 s[10:11], -1, 0
	s_cmp_lg_u32 s21, 0
	v_addc_co_u32_e32 v3, vcc, 0, v106, vcc
	s_cselect_b64 s[12:13], -1, 0
	s_mov_b64 s[4:5], -1
	s_and_b64 vcc, exec, s[12:13]
	s_waitcnt lgkmcnt(0)
	s_barrier
                                        ; implicit-def: $vgpr68_vgpr69
                                        ; implicit-def: $vgpr66_vgpr67
                                        ; implicit-def: $vgpr64_vgpr65
                                        ; implicit-def: $vgpr62_vgpr63
	s_cbranch_vccz .LBB164_88
; %bb.79:                               ;   in Loop: Header=BB164_78 Depth=1
	v_mov_b32_e32 v64, 0
	v_mov_b32_e32 v62, 0
	;; [unrolled: 1-line block ×4, first 2 shown]
	v_cmp_gt_i32_e32 vcc, s21, v95
	s_and_saveexec_b64 s[4:5], vcc
	s_cbranch_execz .LBB164_81
; %bb.80:                               ;   in Loop: Header=BB164_78 Depth=1
	flat_load_dwordx2 v[62:63], v[2:3]
.LBB164_81:                             ;   in Loop: Header=BB164_78 Depth=1
	s_or_b64 exec, exec, s[4:5]
	v_cmp_gt_i32_e32 vcc, s21, v138
	s_and_saveexec_b64 s[4:5], vcc
	s_cbranch_execz .LBB164_83
; %bb.82:                               ;   in Loop: Header=BB164_78 Depth=1
	v_add_co_u32_e32 v4, vcc, v103, v94
	v_addc_co_u32_e32 v5, vcc, 0, v104, vcc
	flat_load_dwordx2 v[64:65], v[4:5]
.LBB164_83:                             ;   in Loop: Header=BB164_78 Depth=1
	s_or_b64 exec, exec, s[4:5]
	v_mov_b32_e32 v68, 0
	v_mov_b32_e32 v66, 0
	;; [unrolled: 1-line block ×4, first 2 shown]
	v_cmp_gt_i32_e32 vcc, s21, v139
	s_and_saveexec_b64 s[4:5], vcc
	s_cbranch_execz .LBB164_85
; %bb.84:                               ;   in Loop: Header=BB164_78 Depth=1
	v_add_co_u32_e32 v4, vcc, v99, v94
	v_addc_co_u32_e32 v5, vcc, 0, v100, vcc
	flat_load_dwordx2 v[66:67], v[4:5]
.LBB164_85:                             ;   in Loop: Header=BB164_78 Depth=1
	s_or_b64 exec, exec, s[4:5]
	v_cmp_gt_i32_e32 vcc, s21, v140
	s_and_saveexec_b64 s[4:5], vcc
	s_cbranch_execz .LBB164_87
; %bb.86:                               ;   in Loop: Header=BB164_78 Depth=1
	v_add_co_u32_e32 v4, vcc, v101, v94
	v_addc_co_u32_e32 v5, vcc, 0, v102, vcc
	flat_load_dwordx2 v[68:69], v[4:5]
.LBB164_87:                             ;   in Loop: Header=BB164_78 Depth=1
	s_or_b64 exec, exec, s[4:5]
	s_mov_b64 s[4:5], 0
.LBB164_88:                             ;   in Loop: Header=BB164_78 Depth=1
	s_and_b64 vcc, exec, s[4:5]
	s_cbranch_vccz .LBB164_90
; %bb.89:                               ;   in Loop: Header=BB164_78 Depth=1
	s_waitcnt vmcnt(0) lgkmcnt(0)
	flat_load_dwordx2 v[62:63], v[2:3]
	v_add_co_u32_e32 v2, vcc, v103, v94
	v_addc_co_u32_e32 v3, vcc, 0, v104, vcc
	flat_load_dwordx2 v[64:65], v[2:3]
	v_add_co_u32_e32 v2, vcc, v99, v94
	v_addc_co_u32_e32 v3, vcc, 0, v100, vcc
	;; [unrolled: 3-line block ×3, first 2 shown]
	flat_load_dwordx2 v[68:69], v[2:3]
.LBB164_90:                             ;   in Loop: Header=BB164_78 Depth=1
	ds_read_b64 v[2:3], v136
	v_add_co_u32_e32 v18, vcc, v113, v94
	v_addc_co_u32_e32 v19, vcc, 0, v114, vcc
	s_waitcnt vmcnt(0) lgkmcnt(0)
	v_mul_f64 v[10:11], v[62:63], v[2:3]
	v_mul_f64 v[12:13], v[64:65], v[2:3]
	;; [unrolled: 1-line block ×4, first 2 shown]
	ds_read_b128 v[6:9], v134
	ds_read_b128 v[2:5], v134 offset:16
	v_cndmask_b32_e64 v20, 0, 1, s[12:13]
	v_cmp_ne_u32_e64 s[4:5], 1, v20
	s_andn2_b64 vcc, exec, s[12:13]
	ds_write2_b64 v137, v[10:11], v[12:13] offset1:67
	ds_write2_b64 v137, v[14:15], v[16:17] offset0:134 offset1:201
	s_waitcnt lgkmcnt(0)
	s_barrier
	ds_read2_b64 v[14:17], v98 offset1:1
	ds_read2_b64 v[10:13], v98 offset0:2 offset1:3
	s_mov_b64 s[12:13], -1
	s_waitcnt lgkmcnt(0)
	s_barrier
                                        ; implicit-def: $vgpr76_vgpr77
                                        ; implicit-def: $vgpr74_vgpr75
                                        ; implicit-def: $vgpr72_vgpr73
                                        ; implicit-def: $vgpr70_vgpr71
	s_cbranch_vccnz .LBB164_100
; %bb.91:                               ;   in Loop: Header=BB164_78 Depth=1
	v_mov_b32_e32 v72, 0
	v_mov_b32_e32 v70, 0
	;; [unrolled: 1-line block ×4, first 2 shown]
	v_cmp_gt_i32_e32 vcc, s21, v141
	s_and_saveexec_b64 s[12:13], vcc
	s_cbranch_execz .LBB164_93
; %bb.92:                               ;   in Loop: Header=BB164_78 Depth=1
	flat_load_dwordx2 v[70:71], v[18:19]
.LBB164_93:                             ;   in Loop: Header=BB164_78 Depth=1
	s_or_b64 exec, exec, s[12:13]
	v_cmp_gt_i32_e32 vcc, s21, v142
	s_and_saveexec_b64 s[12:13], vcc
	s_cbranch_execz .LBB164_95
; %bb.94:                               ;   in Loop: Header=BB164_78 Depth=1
	v_add_co_u32_e32 v20, vcc, v111, v94
	v_addc_co_u32_e32 v21, vcc, 0, v112, vcc
	flat_load_dwordx2 v[72:73], v[20:21]
.LBB164_95:                             ;   in Loop: Header=BB164_78 Depth=1
	s_or_b64 exec, exec, s[12:13]
	v_mov_b32_e32 v76, 0
	v_mov_b32_e32 v74, 0
	;; [unrolled: 1-line block ×4, first 2 shown]
	v_cmp_gt_i32_e32 vcc, s21, v143
	s_and_saveexec_b64 s[12:13], vcc
	s_cbranch_execz .LBB164_97
; %bb.96:                               ;   in Loop: Header=BB164_78 Depth=1
	v_add_co_u32_e32 v20, vcc, v107, v94
	v_addc_co_u32_e32 v21, vcc, 0, v108, vcc
	flat_load_dwordx2 v[74:75], v[20:21]
.LBB164_97:                             ;   in Loop: Header=BB164_78 Depth=1
	s_or_b64 exec, exec, s[12:13]
	v_cmp_gt_i32_e32 vcc, s21, v144
	s_and_saveexec_b64 s[12:13], vcc
	s_cbranch_execz .LBB164_99
; %bb.98:                               ;   in Loop: Header=BB164_78 Depth=1
	v_add_co_u32_e32 v20, vcc, v109, v94
	v_addc_co_u32_e32 v21, vcc, 0, v110, vcc
	flat_load_dwordx2 v[76:77], v[20:21]
.LBB164_99:                             ;   in Loop: Header=BB164_78 Depth=1
	s_or_b64 exec, exec, s[12:13]
	s_mov_b64 s[12:13], 0
.LBB164_100:                            ;   in Loop: Header=BB164_78 Depth=1
	s_and_b64 vcc, exec, s[12:13]
	s_cbranch_vccz .LBB164_102
; %bb.101:                              ;   in Loop: Header=BB164_78 Depth=1
	s_waitcnt vmcnt(0) lgkmcnt(0)
	flat_load_dwordx2 v[70:71], v[18:19]
	v_add_co_u32_e32 v18, vcc, v111, v94
	v_addc_co_u32_e32 v19, vcc, 0, v112, vcc
	flat_load_dwordx2 v[72:73], v[18:19]
	v_add_co_u32_e32 v18, vcc, v107, v94
	v_addc_co_u32_e32 v19, vcc, 0, v108, vcc
	;; [unrolled: 3-line block ×3, first 2 shown]
	flat_load_dwordx2 v[76:77], v[18:19]
.LBB164_102:                            ;   in Loop: Header=BB164_78 Depth=1
	ds_read_b64 v[18:19], v136
	s_mov_b64 s[12:13], -1
                                        ; implicit-def: $vgpr82_vgpr83
                                        ; implicit-def: $vgpr84_vgpr85
                                        ; implicit-def: $vgpr80_vgpr81
                                        ; implicit-def: $vgpr78_vgpr79
	s_waitcnt vmcnt(0) lgkmcnt(0)
	v_mul_f64 v[26:27], v[70:71], v[18:19]
	v_mul_f64 v[28:29], v[72:73], v[18:19]
	v_mul_f64 v[30:31], v[74:75], v[18:19]
	v_mul_f64 v[32:33], v[76:77], v[18:19]
	ds_read_b128 v[22:25], v134 offset:128
	ds_read_b128 v[18:21], v134 offset:144
	ds_write2_b64 v137, v[26:27], v[28:29] offset1:67
	ds_write2_b64 v137, v[30:31], v[32:33] offset0:134 offset1:201
	s_waitcnt lgkmcnt(0)
	s_barrier
	ds_read2_b64 v[38:41], v98 offset1:1
	ds_read2_b64 v[34:37], v98 offset0:2 offset1:3
	v_add_co_u32_e32 v26, vcc, v121, v94
	v_addc_co_u32_e32 v27, vcc, 0, v122, vcc
	s_and_b64 vcc, exec, s[4:5]
	s_waitcnt lgkmcnt(0)
	s_barrier
	s_cbranch_vccnz .LBB164_112
; %bb.103:                              ;   in Loop: Header=BB164_78 Depth=1
	v_mov_b32_e32 v80, 0
	v_mov_b32_e32 v78, 0
	;; [unrolled: 1-line block ×4, first 2 shown]
	v_cmp_gt_i32_e32 vcc, s21, v145
	s_and_saveexec_b64 s[12:13], vcc
	s_cbranch_execz .LBB164_105
; %bb.104:                              ;   in Loop: Header=BB164_78 Depth=1
	flat_load_dwordx2 v[78:79], v[26:27]
.LBB164_105:                            ;   in Loop: Header=BB164_78 Depth=1
	s_or_b64 exec, exec, s[12:13]
	v_cmp_gt_i32_e32 vcc, s21, v146
	s_and_saveexec_b64 s[12:13], vcc
	s_cbranch_execz .LBB164_107
; %bb.106:                              ;   in Loop: Header=BB164_78 Depth=1
	v_add_co_u32_e32 v28, vcc, v119, v94
	v_addc_co_u32_e32 v29, vcc, 0, v120, vcc
	flat_load_dwordx2 v[80:81], v[28:29]
.LBB164_107:                            ;   in Loop: Header=BB164_78 Depth=1
	s_or_b64 exec, exec, s[12:13]
	v_mov_b32_e32 v82, 0
	v_mov_b32_e32 v84, 0
	;; [unrolled: 1-line block ×4, first 2 shown]
	v_cmp_gt_i32_e32 vcc, s21, v147
	s_and_saveexec_b64 s[12:13], vcc
	s_cbranch_execz .LBB164_109
; %bb.108:                              ;   in Loop: Header=BB164_78 Depth=1
	v_add_co_u32_e32 v28, vcc, v115, v94
	v_addc_co_u32_e32 v29, vcc, 0, v116, vcc
	flat_load_dwordx2 v[84:85], v[28:29]
.LBB164_109:                            ;   in Loop: Header=BB164_78 Depth=1
	s_or_b64 exec, exec, s[12:13]
	v_cmp_gt_i32_e32 vcc, s21, v148
	s_and_saveexec_b64 s[12:13], vcc
	s_cbranch_execz .LBB164_111
; %bb.110:                              ;   in Loop: Header=BB164_78 Depth=1
	v_add_co_u32_e32 v28, vcc, v117, v94
	v_addc_co_u32_e32 v29, vcc, 0, v118, vcc
	flat_load_dwordx2 v[82:83], v[28:29]
.LBB164_111:                            ;   in Loop: Header=BB164_78 Depth=1
	s_or_b64 exec, exec, s[12:13]
	s_mov_b64 s[12:13], 0
.LBB164_112:                            ;   in Loop: Header=BB164_78 Depth=1
	s_and_b64 vcc, exec, s[12:13]
	s_cbranch_vccz .LBB164_114
; %bb.113:                              ;   in Loop: Header=BB164_78 Depth=1
	s_waitcnt vmcnt(0) lgkmcnt(0)
	flat_load_dwordx2 v[78:79], v[26:27]
	v_add_co_u32_e32 v26, vcc, v119, v94
	v_addc_co_u32_e32 v27, vcc, 0, v120, vcc
	flat_load_dwordx2 v[80:81], v[26:27]
	v_add_co_u32_e32 v26, vcc, v115, v94
	v_addc_co_u32_e32 v27, vcc, 0, v116, vcc
	;; [unrolled: 3-line block ×3, first 2 shown]
	flat_load_dwordx2 v[82:83], v[26:27]
.LBB164_114:                            ;   in Loop: Header=BB164_78 Depth=1
	ds_read_b64 v[26:27], v136
                                        ; implicit-def: $vgpr90_vgpr91
                                        ; implicit-def: $vgpr92_vgpr93
                                        ; implicit-def: $vgpr86_vgpr87
                                        ; implicit-def: $vgpr88_vgpr89
	s_waitcnt vmcnt(0) lgkmcnt(0)
	v_mul_f64 v[42:43], v[78:79], v[26:27]
	v_mul_f64 v[44:45], v[80:81], v[26:27]
	;; [unrolled: 1-line block ×4, first 2 shown]
	ds_read_b128 v[30:33], v134 offset:256
	ds_read_b128 v[26:29], v134 offset:272
	ds_write2_b64 v137, v[42:43], v[44:45] offset1:67
	ds_write2_b64 v137, v[46:47], v[48:49] offset0:134 offset1:201
	s_waitcnt lgkmcnt(0)
	s_barrier
	ds_read2_b64 v[54:57], v98 offset1:1
	ds_read2_b64 v[50:53], v98 offset0:2 offset1:3
	v_add_co_u32_e32 v42, vcc, v129, v94
	v_addc_co_u32_e32 v43, vcc, 0, v130, vcc
	s_and_b64 vcc, exec, s[4:5]
	s_mov_b64 s[4:5], -1
	s_waitcnt lgkmcnt(0)
	s_barrier
	s_cbranch_vccnz .LBB164_124
; %bb.115:                              ;   in Loop: Header=BB164_78 Depth=1
	v_mov_b32_e32 v86, 0
	v_mov_b32_e32 v88, 0
	;; [unrolled: 1-line block ×4, first 2 shown]
	v_cmp_gt_i32_e32 vcc, s21, v149
	s_and_saveexec_b64 s[4:5], vcc
	s_cbranch_execz .LBB164_117
; %bb.116:                              ;   in Loop: Header=BB164_78 Depth=1
	flat_load_dwordx2 v[88:89], v[42:43]
.LBB164_117:                            ;   in Loop: Header=BB164_78 Depth=1
	s_or_b64 exec, exec, s[4:5]
	v_cmp_gt_i32_e32 vcc, s21, v150
	s_and_saveexec_b64 s[4:5], vcc
	s_cbranch_execz .LBB164_119
; %bb.118:                              ;   in Loop: Header=BB164_78 Depth=1
	v_add_co_u32_e32 v44, vcc, v127, v94
	v_addc_co_u32_e32 v45, vcc, 0, v128, vcc
	flat_load_dwordx2 v[86:87], v[44:45]
.LBB164_119:                            ;   in Loop: Header=BB164_78 Depth=1
	s_or_b64 exec, exec, s[4:5]
	v_mov_b32_e32 v90, 0
	v_mov_b32_e32 v92, 0
	;; [unrolled: 1-line block ×4, first 2 shown]
	v_cmp_gt_i32_e32 vcc, s21, v151
	s_and_saveexec_b64 s[4:5], vcc
	s_cbranch_execz .LBB164_121
; %bb.120:                              ;   in Loop: Header=BB164_78 Depth=1
	v_add_co_u32_e32 v44, vcc, v123, v94
	v_addc_co_u32_e32 v45, vcc, 0, v124, vcc
	flat_load_dwordx2 v[92:93], v[44:45]
.LBB164_121:                            ;   in Loop: Header=BB164_78 Depth=1
	s_or_b64 exec, exec, s[4:5]
	v_cmp_gt_i32_e32 vcc, s21, v152
	s_and_saveexec_b64 s[4:5], vcc
	s_cbranch_execz .LBB164_123
; %bb.122:                              ;   in Loop: Header=BB164_78 Depth=1
	v_add_co_u32_e32 v44, vcc, v125, v94
	v_addc_co_u32_e32 v45, vcc, 0, v126, vcc
	flat_load_dwordx2 v[90:91], v[44:45]
.LBB164_123:                            ;   in Loop: Header=BB164_78 Depth=1
	s_or_b64 exec, exec, s[4:5]
	s_mov_b64 s[4:5], 0
.LBB164_124:                            ;   in Loop: Header=BB164_78 Depth=1
	s_and_b64 vcc, exec, s[4:5]
	s_cbranch_vccz .LBB164_126
; %bb.125:                              ;   in Loop: Header=BB164_78 Depth=1
	s_waitcnt vmcnt(0) lgkmcnt(0)
	flat_load_dwordx2 v[88:89], v[42:43]
	v_add_co_u32_e32 v42, vcc, v127, v94
	v_addc_co_u32_e32 v43, vcc, 0, v128, vcc
	flat_load_dwordx2 v[86:87], v[42:43]
	v_add_co_u32_e32 v42, vcc, v123, v94
	v_addc_co_u32_e32 v43, vcc, 0, v124, vcc
	;; [unrolled: 3-line block ×3, first 2 shown]
	flat_load_dwordx2 v[90:91], v[42:43]
.LBB164_126:                            ;   in Loop: Header=BB164_78 Depth=1
	ds_read_b64 v[42:43], v136
	v_add_f64 v[38:39], v[38:39], 0
	v_add_f64 v[14:15], v[14:15], 0
	;; [unrolled: 1-line block ×3, first 2 shown]
	v_cmp_gt_i32_e32 vcc, s21, v0
	s_waitcnt vmcnt(0) lgkmcnt(0)
	v_mul_f64 v[153:154], v[88:89], v[42:43]
	v_mul_f64 v[155:156], v[86:87], v[42:43]
	;; [unrolled: 1-line block ×4, first 2 shown]
	ds_read_b128 v[46:49], v134 offset:384
	ds_read_b128 v[42:45], v134 offset:400
	v_add_f64 v[38:39], v[38:39], v[40:41]
	v_add_f64 v[14:15], v[14:15], v[16:17]
	;; [unrolled: 1-line block ×3, first 2 shown]
	ds_write2_b64 v137, v[153:154], v[155:156] offset1:67
	ds_write2_b64 v137, v[157:158], v[159:160] offset0:134 offset1:201
	s_waitcnt lgkmcnt(0)
	s_barrier
	ds_read2_b64 v[153:156], v98 offset1:1
	ds_read2_b64 v[157:160], v98 offset0:2 offset1:3
	v_add_f64 v[34:35], v[38:39], v[34:35]
	v_add_f64 v[10:11], v[14:15], v[10:11]
	;; [unrolled: 1-line block ×3, first 2 shown]
	s_waitcnt lgkmcnt(1)
	v_add_f64 v[153:154], v[153:154], 0
	s_or_b64 s[4:5], s[10:11], vcc
	s_and_b64 s[10:11], s[2:3], s[4:5]
	s_waitcnt lgkmcnt(0)
	s_barrier
	v_add_f64 v[34:35], v[34:35], v[36:37]
	v_add_f64 v[10:11], v[10:11], v[12:13]
	;; [unrolled: 1-line block ×6, first 2 shown]
	ds_write2_b64 v135, v[10:11], v[34:35] offset1:16
	ds_write2_b64 v135, v[16:17], v[12:13] offset0:32 offset1:48
	s_waitcnt lgkmcnt(0)
	s_barrier
	s_and_saveexec_b64 s[4:5], s[10:11]
	s_cbranch_execz .LBB164_128
; %bb.127:                              ;   in Loop: Header=BB164_78 Depth=1
	ds_read2_b64 v[10:13], v131 offset1:1
	ds_read2_b64 v[14:17], v131 offset0:2 offset1:3
	s_waitcnt lgkmcnt(1)
	v_add_f64 v[10:11], v[10:11], v[12:13]
	s_waitcnt lgkmcnt(0)
	v_add_f64 v[10:11], v[10:11], v[14:15]
	v_add_f64 v[34:35], v[10:11], v[16:17]
	ds_read2_b64 v[10:13], v131 offset0:4 offset1:5
	ds_read2_b64 v[14:17], v131 offset0:6 offset1:7
	s_waitcnt lgkmcnt(1)
	v_add_f64 v[10:11], v[34:35], v[10:11]
	v_add_f64 v[10:11], v[10:11], v[12:13]
	s_waitcnt lgkmcnt(0)
	v_add_f64 v[10:11], v[10:11], v[14:15]
	v_add_f64 v[34:35], v[10:11], v[16:17]
	ds_read2_b64 v[10:13], v131 offset0:8 offset1:9
	ds_read2_b64 v[14:17], v131 offset0:10 offset1:11
	s_waitcnt lgkmcnt(1)
	v_add_f64 v[10:11], v[34:35], v[10:11]
	v_add_f64 v[10:11], v[10:11], v[12:13]
	s_waitcnt lgkmcnt(0)
	v_add_f64 v[10:11], v[10:11], v[14:15]
	v_add_f64 v[14:15], v[10:11], v[16:17]
	ds_read2_b64 v[10:13], v131 offset0:12 offset1:13
	ds_read_b64 v[16:17], v131 offset:112
	s_waitcnt lgkmcnt(1)
	v_add_f64 v[10:11], v[14:15], v[10:11]
	v_mov_b32_e32 v14, s15
	v_add_f64 v[10:11], v[10:11], v[12:13]
	ds_read_b64 v[12:13], v132
	s_waitcnt lgkmcnt(1)
	v_add_f64 v[10:11], v[10:11], v[16:17]
	s_waitcnt lgkmcnt(0)
	v_add_f64 v[10:11], v[10:11], v[12:13]
	v_add_u32_e32 v12, s17, v0
	v_ashrrev_i32_e32 v13, 31, v12
	v_lshlrev_b64 v[12:13], 3, v[12:13]
	v_add_co_u32_e32 v12, vcc, s14, v12
	v_addc_co_u32_e32 v13, vcc, v14, v13, vcc
	global_store_dwordx2 v[12:13], v[10:11], off
.LBB164_128:                            ;   in Loop: Header=BB164_78 Depth=1
	s_or_b64 exec, exec, s[4:5]
	v_fma_f64 v[6:7], v[62:63], v[6:7], v[60:61]
	v_add_co_u32_e32 v99, vcc, s8, v99
	s_add_i32 s4, s6, 1
	s_add_i32 s17, s17, 64
	;; [unrolled: 1-line block ×3, first 2 shown]
	s_cmp_ge_u32 s5, s7
	v_fma_f64 v[6:7], v[64:65], v[8:9], v[6:7]
	s_waitcnt vmcnt(0)
	s_barrier
	v_fma_f64 v[2:3], v[66:67], v[2:3], v[6:7]
	v_fma_f64 v[2:3], v[68:69], v[4:5], v[2:3]
	v_mov_b32_e32 v4, s9
	v_addc_co_u32_e32 v100, vcc, v100, v4, vcc
	v_add_co_u32_e32 v101, vcc, s8, v101
	v_addc_co_u32_e32 v102, vcc, v102, v4, vcc
	v_fma_f64 v[2:3], v[70:71], v[22:23], v[2:3]
	v_add_co_u32_e32 v103, vcc, s8, v103
	v_addc_co_u32_e32 v104, vcc, v104, v4, vcc
	v_add_co_u32_e32 v105, vcc, s8, v105
	v_addc_co_u32_e32 v106, vcc, v106, v4, vcc
	v_fma_f64 v[2:3], v[72:73], v[24:25], v[2:3]
	v_add_co_u32_e32 v107, vcc, s8, v107
	;; [unrolled: 5-line block ×7, first 2 shown]
	v_addc_co_u32_e32 v128, vcc, v128, v4, vcc
	v_add_co_u32_e32 v129, vcc, s8, v129
	v_addc_co_u32_e32 v130, vcc, v130, v4, vcc
	v_fma_f64 v[2:3], v[82:83], v[28:29], v[2:3]
	v_fma_f64 v[2:3], v[88:89], v[46:47], v[2:3]
	;; [unrolled: 1-line block ×5, first 2 shown]
	s_cbranch_scc0 .LBB164_74
.LBB164_129:
	s_movk_i32 s2, 0x218
	v_cmp_gt_i32_e32 vcc, s20, v0
	v_mad_u32_u24 v1, v1, s2, v94
	s_or_b64 s[2:3], s[22:23], vcc
	s_and_b64 s[0:1], s[0:1], s[2:3]
	ds_write_b64 v1, v[60:61]
	s_waitcnt lgkmcnt(0)
	s_barrier
	s_and_saveexec_b64 s[2:3], s[0:1]
	s_cbranch_execz .LBB164_4
; %bb.130:
	ds_read2_b64 v[0:3], v94 offset1:67
	s_waitcnt lgkmcnt(0)
	v_add_f64 v[4:5], v[0:1], v[2:3]
	ds_read2_b64 v[0:3], v94 offset0:134 offset1:201
	s_waitcnt lgkmcnt(0)
	v_add_f64 v[0:1], v[4:5], v[0:1]
	v_mov_b32_e32 v4, s15
	v_add_f64 v[0:1], v[0:1], v[2:3]
	v_lshlrev_b64 v[2:3], 3, v[58:59]
	v_add_co_u32_e32 v2, vcc, s14, v2
	v_addc_co_u32_e32 v3, vcc, v4, v3, vcc
	global_store_dwordx2 v[2:3], v[0:1], off
	s_endpgm
	.section	.rodata,"a",@progbits
	.p2align	6, 0x0
	.amdhsa_kernel _ZL26rocblas_hemvn_kernel_upperILb0ELi64ELi4ELi33ELi32ELi16EldPKPKdPdEviT6_lT7_lT5_lS6_lS7_lS5_lT8_i
		.amdhsa_group_segment_fixed_size 9600
		.amdhsa_private_segment_fixed_size 0
		.amdhsa_kernarg_size 376
		.amdhsa_user_sgpr_count 6
		.amdhsa_user_sgpr_private_segment_buffer 1
		.amdhsa_user_sgpr_dispatch_ptr 0
		.amdhsa_user_sgpr_queue_ptr 0
		.amdhsa_user_sgpr_kernarg_segment_ptr 1
		.amdhsa_user_sgpr_dispatch_id 0
		.amdhsa_user_sgpr_flat_scratch_init 0
		.amdhsa_user_sgpr_private_segment_size 0
		.amdhsa_uses_dynamic_stack 0
		.amdhsa_system_sgpr_private_segment_wavefront_offset 0
		.amdhsa_system_sgpr_workgroup_id_x 1
		.amdhsa_system_sgpr_workgroup_id_y 0
		.amdhsa_system_sgpr_workgroup_id_z 1
		.amdhsa_system_sgpr_workgroup_info 0
		.amdhsa_system_vgpr_workitem_id 1
		.amdhsa_next_free_vgpr 161
		.amdhsa_next_free_sgpr 93
		.amdhsa_reserve_vcc 1
		.amdhsa_reserve_flat_scratch 0
		.amdhsa_float_round_mode_32 0
		.amdhsa_float_round_mode_16_64 0
		.amdhsa_float_denorm_mode_32 3
		.amdhsa_float_denorm_mode_16_64 3
		.amdhsa_dx10_clamp 1
		.amdhsa_ieee_mode 1
		.amdhsa_fp16_overflow 0
		.amdhsa_exception_fp_ieee_invalid_op 0
		.amdhsa_exception_fp_denorm_src 0
		.amdhsa_exception_fp_ieee_div_zero 0
		.amdhsa_exception_fp_ieee_overflow 0
		.amdhsa_exception_fp_ieee_underflow 0
		.amdhsa_exception_fp_ieee_inexact 0
		.amdhsa_exception_int_div_zero 0
	.end_amdhsa_kernel
	.section	.text._ZL26rocblas_hemvn_kernel_upperILb0ELi64ELi4ELi33ELi32ELi16EldPKPKdPdEviT6_lT7_lT5_lS6_lS7_lS5_lT8_i,"axG",@progbits,_ZL26rocblas_hemvn_kernel_upperILb0ELi64ELi4ELi33ELi32ELi16EldPKPKdPdEviT6_lT7_lT5_lS6_lS7_lS5_lT8_i,comdat
.Lfunc_end164:
	.size	_ZL26rocblas_hemvn_kernel_upperILb0ELi64ELi4ELi33ELi32ELi16EldPKPKdPdEviT6_lT7_lT5_lS6_lS7_lS5_lT8_i, .Lfunc_end164-_ZL26rocblas_hemvn_kernel_upperILb0ELi64ELi4ELi33ELi32ELi16EldPKPKdPdEviT6_lT7_lT5_lS6_lS7_lS5_lT8_i
                                        ; -- End function
	.set _ZL26rocblas_hemvn_kernel_upperILb0ELi64ELi4ELi33ELi32ELi16EldPKPKdPdEviT6_lT7_lT5_lS6_lS7_lS5_lT8_i.num_vgpr, 161
	.set _ZL26rocblas_hemvn_kernel_upperILb0ELi64ELi4ELi33ELi32ELi16EldPKPKdPdEviT6_lT7_lT5_lS6_lS7_lS5_lT8_i.num_agpr, 0
	.set _ZL26rocblas_hemvn_kernel_upperILb0ELi64ELi4ELi33ELi32ELi16EldPKPKdPdEviT6_lT7_lT5_lS6_lS7_lS5_lT8_i.numbered_sgpr, 42
	.set _ZL26rocblas_hemvn_kernel_upperILb0ELi64ELi4ELi33ELi32ELi16EldPKPKdPdEviT6_lT7_lT5_lS6_lS7_lS5_lT8_i.num_named_barrier, 0
	.set _ZL26rocblas_hemvn_kernel_upperILb0ELi64ELi4ELi33ELi32ELi16EldPKPKdPdEviT6_lT7_lT5_lS6_lS7_lS5_lT8_i.private_seg_size, 0
	.set _ZL26rocblas_hemvn_kernel_upperILb0ELi64ELi4ELi33ELi32ELi16EldPKPKdPdEviT6_lT7_lT5_lS6_lS7_lS5_lT8_i.uses_vcc, 1
	.set _ZL26rocblas_hemvn_kernel_upperILb0ELi64ELi4ELi33ELi32ELi16EldPKPKdPdEviT6_lT7_lT5_lS6_lS7_lS5_lT8_i.uses_flat_scratch, 0
	.set _ZL26rocblas_hemvn_kernel_upperILb0ELi64ELi4ELi33ELi32ELi16EldPKPKdPdEviT6_lT7_lT5_lS6_lS7_lS5_lT8_i.has_dyn_sized_stack, 0
	.set _ZL26rocblas_hemvn_kernel_upperILb0ELi64ELi4ELi33ELi32ELi16EldPKPKdPdEviT6_lT7_lT5_lS6_lS7_lS5_lT8_i.has_recursion, 0
	.set _ZL26rocblas_hemvn_kernel_upperILb0ELi64ELi4ELi33ELi32ELi16EldPKPKdPdEviT6_lT7_lT5_lS6_lS7_lS5_lT8_i.has_indirect_call, 0
	.section	.AMDGPU.csdata,"",@progbits
; Kernel info:
; codeLenInByte = 7260
; TotalNumSgprs: 46
; NumVgprs: 161
; ScratchSize: 0
; MemoryBound: 0
; FloatMode: 240
; IeeeMode: 1
; LDSByteSize: 9600 bytes/workgroup (compile time only)
; SGPRBlocks: 12
; VGPRBlocks: 40
; NumSGPRsForWavesPerEU: 97
; NumVGPRsForWavesPerEU: 161
; Occupancy: 1
; WaveLimiterHint : 1
; COMPUTE_PGM_RSRC2:SCRATCH_EN: 0
; COMPUTE_PGM_RSRC2:USER_SGPR: 6
; COMPUTE_PGM_RSRC2:TRAP_HANDLER: 0
; COMPUTE_PGM_RSRC2:TGID_X_EN: 1
; COMPUTE_PGM_RSRC2:TGID_Y_EN: 0
; COMPUTE_PGM_RSRC2:TGID_Z_EN: 1
; COMPUTE_PGM_RSRC2:TIDIG_COMP_CNT: 1
	.section	.text._ZL36rocblas_hemvn_kernel_upper_block_sumILi64EldPKPddEviT1_lS3_lT2_lT0_lPT3_i,"axG",@progbits,_ZL36rocblas_hemvn_kernel_upper_block_sumILi64EldPKPddEviT1_lS3_lT2_lT0_lPT3_i,comdat
	.globl	_ZL36rocblas_hemvn_kernel_upper_block_sumILi64EldPKPddEviT1_lS3_lT2_lT0_lPT3_i ; -- Begin function _ZL36rocblas_hemvn_kernel_upper_block_sumILi64EldPKPddEviT1_lS3_lT2_lT0_lPT3_i
	.p2align	8
	.type	_ZL36rocblas_hemvn_kernel_upper_block_sumILi64EldPKPddEviT1_lS3_lT2_lT0_lPT3_i,@function
_ZL36rocblas_hemvn_kernel_upper_block_sumILi64EldPKPddEviT1_lS3_lT2_lT0_lPT3_i: ; @_ZL36rocblas_hemvn_kernel_upper_block_sumILi64EldPKPddEviT1_lS3_lT2_lT0_lPT3_i
; %bb.0:
	s_load_dwordx2 s[8:9], s[4:5], 0x8
	s_load_dwordx2 s[10:11], s[4:5], 0x18
	s_waitcnt lgkmcnt(0)
	v_cmp_eq_f64_e64 s[0:1], s[8:9], 0
	v_cmp_eq_f64_e64 s[2:3], s[10:11], 1.0
	s_and_b64 s[0:1], s[0:1], s[2:3]
	s_and_b64 vcc, exec, s[0:1]
	s_cbranch_vccnz .LBB165_19
; %bb.1:
	s_load_dwordx2 s[12:13], s[4:5], 0x28
	s_load_dword s14, s[4:5], 0x0
	s_load_dwordx4 s[0:3], s[4:5], 0x30
	s_mov_b32 s16, s7
	s_mov_b32 s17, 0
	s_lshl_b64 s[18:19], s[16:17], 3
	s_waitcnt lgkmcnt(0)
	s_add_u32 s12, s12, s18
	s_addc_u32 s13, s13, s19
	v_cmp_neq_f64_e64 s[18:19], s[8:9], 0
	s_load_dwordx2 s[20:21], s[12:13], 0x0
	s_lshl_b64 s[0:1], s[0:1], 3
	v_lshl_or_b32 v0, s6, 6, v0
	s_mov_b64 s[12:13], 0
	s_waitcnt lgkmcnt(0)
	s_add_u32 s7, s20, s0
	s_addc_u32 s17, s21, s1
	s_and_b64 vcc, exec, s[18:19]
	v_cmp_gt_i32_e64 s[0:1], s14, v0
	s_cbranch_vccnz .LBB165_6
; %bb.2:
	s_mov_b64 s[18:19], 0
                                        ; implicit-def: $vgpr3_vgpr4
                                        ; implicit-def: $vgpr1_vgpr2
	s_and_saveexec_b64 s[20:21], s[0:1]
	s_cbranch_execz .LBB165_7
; %bb.3:
	v_cmp_eq_f64_e64 s[0:1], s[10:11], 0
	v_ashrrev_i32_e32 v1, 31, v0
	v_mul_lo_u32 v5, s3, v0
	v_mul_lo_u32 v6, s2, v1
	v_mad_u64_u32 v[1:2], s[12:13], s2, v0, 0
	v_mov_b32_e32 v3, 0
	v_mov_b32_e32 v4, 0
	v_add3_u32 v2, v2, v6, v5
	s_and_b64 vcc, exec, s[0:1]
	s_cbranch_vccnz .LBB165_5
; %bb.4:
	v_lshlrev_b64 v[3:4], 3, v[1:2]
	v_mov_b32_e32 v5, s17
	v_add_co_u32_e32 v3, vcc, s7, v3
	v_addc_co_u32_e32 v4, vcc, v5, v4, vcc
	flat_load_dwordx2 v[3:4], v[3:4]
	s_waitcnt vmcnt(0) lgkmcnt(0)
	v_mul_f64 v[3:4], s[10:11], v[3:4]
.LBB165_5:
	s_mov_b64 s[12:13], exec
	s_or_b64 exec, exec, s[20:21]
	s_and_b64 vcc, exec, s[18:19]
	s_cbranch_vccnz .LBB165_8
	s_branch .LBB165_17
.LBB165_6:
                                        ; implicit-def: $vgpr3_vgpr4
                                        ; implicit-def: $vgpr1_vgpr2
	s_cbranch_execnz .LBB165_8
	s_branch .LBB165_17
.LBB165_7:
	s_or_b64 exec, exec, s[20:21]
	s_and_b64 vcc, exec, s[18:19]
	s_cbranch_vccz .LBB165_17
.LBB165_8:
	v_cmp_gt_i32_e32 vcc, s14, v0
                                        ; implicit-def: $vgpr3_vgpr4
                                        ; implicit-def: $vgpr1_vgpr2
	s_and_saveexec_b64 s[0:1], vcc
	s_cbranch_execz .LBB165_16
; %bb.9:
	v_mov_b32_e32 v5, 0
	v_mov_b32_e32 v6, 0
	s_cmp_lt_i32 s6, 0
	v_ashrrev_i32_e32 v1, 31, v0
	s_cbranch_scc1 .LBB165_12
; %bb.10:
	s_load_dwordx2 s[18:19], s[4:5], 0x48
	s_load_dword s20, s[4:5], 0x58
	s_ashr_i32 s15, s14, 31
	s_mul_hi_u32 s4, s14, s16
	s_mul_i32 s5, s15, s16
	s_add_i32 s4, s4, s5
	s_mul_i32 s16, s14, s16
	s_waitcnt lgkmcnt(0)
	s_mul_i32 s4, s4, s20
	s_mul_hi_u32 s5, s16, s20
	s_add_i32 s5, s5, s4
	s_mul_i32 s4, s16, s20
	s_lshl_b64 s[4:5], s[4:5], 3
	s_add_u32 s4, s18, s4
	v_lshlrev_b64 v[2:3], 3, v[0:1]
	s_addc_u32 s5, s19, s5
	v_mov_b32_e32 v4, s5
	v_add_co_u32_e32 v2, vcc, s4, v2
	s_lshl_b64 s[4:5], s[14:15], 3
	v_mov_b32_e32 v5, 0
	v_addc_co_u32_e32 v3, vcc, v4, v3, vcc
	s_add_i32 s6, s6, 1
	v_mov_b32_e32 v6, 0
	v_mov_b32_e32 v4, s5
.LBB165_11:                             ; =>This Inner Loop Header: Depth=1
	global_load_dwordx2 v[7:8], v[2:3], off
	s_add_i32 s6, s6, -1
	v_add_co_u32_e32 v2, vcc, s4, v2
	s_cmp_eq_u32 s6, 0
	v_addc_co_u32_e32 v3, vcc, v3, v4, vcc
	s_waitcnt vmcnt(0)
	v_add_f64 v[5:6], v[5:6], v[7:8]
	s_cbranch_scc0 .LBB165_11
.LBB165_12:
	v_cmp_eq_f64_e64 s[14:15], s[10:11], 0
	v_mul_lo_u32 v7, s3, v0
	v_mul_lo_u32 v8, s2, v1
	s_mov_b64 s[4:5], 0
	s_and_b64 vcc, exec, s[14:15]
	s_cbranch_vccz .LBB165_20
; %bb.13:
	v_mad_u64_u32 v[1:2], s[14:15], s2, v0, 0
	v_mul_f64 v[3:4], s[8:9], v[5:6]
	v_add3_u32 v2, v2, v8, v7
	s_andn2_b64 vcc, exec, s[4:5]
	s_cbranch_vccnz .LBB165_15
.LBB165_14:
	v_mad_u64_u32 v[1:2], s[2:3], s2, v0, 0
	v_mov_b32_e32 v0, s17
	v_add3_u32 v2, v2, v8, v7
	v_lshlrev_b64 v[3:4], 3, v[1:2]
	v_add_co_u32_e32 v3, vcc, s7, v3
	v_addc_co_u32_e32 v4, vcc, v0, v4, vcc
	flat_load_dwordx2 v[3:4], v[3:4]
	s_waitcnt vmcnt(0) lgkmcnt(0)
	v_mul_f64 v[3:4], s[10:11], v[3:4]
	v_fma_f64 v[3:4], s[8:9], v[5:6], v[3:4]
.LBB165_15:
	s_or_b64 s[12:13], s[12:13], exec
.LBB165_16:
	s_or_b64 exec, exec, s[0:1]
.LBB165_17:
	s_and_saveexec_b64 s[0:1], s[12:13]
	s_cbranch_execz .LBB165_19
; %bb.18:
	v_lshlrev_b64 v[0:1], 3, v[1:2]
	v_mov_b32_e32 v2, s17
	v_add_co_u32_e32 v0, vcc, s7, v0
	v_addc_co_u32_e32 v1, vcc, v2, v1, vcc
	flat_store_dwordx2 v[0:1], v[3:4]
.LBB165_19:
	s_endpgm
.LBB165_20:
                                        ; implicit-def: $vgpr3_vgpr4
                                        ; implicit-def: $vgpr1_vgpr2
	s_branch .LBB165_14
	.section	.rodata,"a",@progbits
	.p2align	6, 0x0
	.amdhsa_kernel _ZL36rocblas_hemvn_kernel_upper_block_sumILi64EldPKPddEviT1_lS3_lT2_lT0_lPT3_i
		.amdhsa_group_segment_fixed_size 0
		.amdhsa_private_segment_fixed_size 0
		.amdhsa_kernarg_size 344
		.amdhsa_user_sgpr_count 6
		.amdhsa_user_sgpr_private_segment_buffer 1
		.amdhsa_user_sgpr_dispatch_ptr 0
		.amdhsa_user_sgpr_queue_ptr 0
		.amdhsa_user_sgpr_kernarg_segment_ptr 1
		.amdhsa_user_sgpr_dispatch_id 0
		.amdhsa_user_sgpr_flat_scratch_init 0
		.amdhsa_user_sgpr_private_segment_size 0
		.amdhsa_uses_dynamic_stack 0
		.amdhsa_system_sgpr_private_segment_wavefront_offset 0
		.amdhsa_system_sgpr_workgroup_id_x 1
		.amdhsa_system_sgpr_workgroup_id_y 0
		.amdhsa_system_sgpr_workgroup_id_z 1
		.amdhsa_system_sgpr_workgroup_info 0
		.amdhsa_system_vgpr_workitem_id 0
		.amdhsa_next_free_vgpr 9
		.amdhsa_next_free_sgpr 22
		.amdhsa_reserve_vcc 1
		.amdhsa_reserve_flat_scratch 0
		.amdhsa_float_round_mode_32 0
		.amdhsa_float_round_mode_16_64 0
		.amdhsa_float_denorm_mode_32 3
		.amdhsa_float_denorm_mode_16_64 3
		.amdhsa_dx10_clamp 1
		.amdhsa_ieee_mode 1
		.amdhsa_fp16_overflow 0
		.amdhsa_exception_fp_ieee_invalid_op 0
		.amdhsa_exception_fp_denorm_src 0
		.amdhsa_exception_fp_ieee_div_zero 0
		.amdhsa_exception_fp_ieee_overflow 0
		.amdhsa_exception_fp_ieee_underflow 0
		.amdhsa_exception_fp_ieee_inexact 0
		.amdhsa_exception_int_div_zero 0
	.end_amdhsa_kernel
	.section	.text._ZL36rocblas_hemvn_kernel_upper_block_sumILi64EldPKPddEviT1_lS3_lT2_lT0_lPT3_i,"axG",@progbits,_ZL36rocblas_hemvn_kernel_upper_block_sumILi64EldPKPddEviT1_lS3_lT2_lT0_lPT3_i,comdat
.Lfunc_end165:
	.size	_ZL36rocblas_hemvn_kernel_upper_block_sumILi64EldPKPddEviT1_lS3_lT2_lT0_lPT3_i, .Lfunc_end165-_ZL36rocblas_hemvn_kernel_upper_block_sumILi64EldPKPddEviT1_lS3_lT2_lT0_lPT3_i
                                        ; -- End function
	.set _ZL36rocblas_hemvn_kernel_upper_block_sumILi64EldPKPddEviT1_lS3_lT2_lT0_lPT3_i.num_vgpr, 9
	.set _ZL36rocblas_hemvn_kernel_upper_block_sumILi64EldPKPddEviT1_lS3_lT2_lT0_lPT3_i.num_agpr, 0
	.set _ZL36rocblas_hemvn_kernel_upper_block_sumILi64EldPKPddEviT1_lS3_lT2_lT0_lPT3_i.numbered_sgpr, 22
	.set _ZL36rocblas_hemvn_kernel_upper_block_sumILi64EldPKPddEviT1_lS3_lT2_lT0_lPT3_i.num_named_barrier, 0
	.set _ZL36rocblas_hemvn_kernel_upper_block_sumILi64EldPKPddEviT1_lS3_lT2_lT0_lPT3_i.private_seg_size, 0
	.set _ZL36rocblas_hemvn_kernel_upper_block_sumILi64EldPKPddEviT1_lS3_lT2_lT0_lPT3_i.uses_vcc, 1
	.set _ZL36rocblas_hemvn_kernel_upper_block_sumILi64EldPKPddEviT1_lS3_lT2_lT0_lPT3_i.uses_flat_scratch, 0
	.set _ZL36rocblas_hemvn_kernel_upper_block_sumILi64EldPKPddEviT1_lS3_lT2_lT0_lPT3_i.has_dyn_sized_stack, 0
	.set _ZL36rocblas_hemvn_kernel_upper_block_sumILi64EldPKPddEviT1_lS3_lT2_lT0_lPT3_i.has_recursion, 0
	.set _ZL36rocblas_hemvn_kernel_upper_block_sumILi64EldPKPddEviT1_lS3_lT2_lT0_lPT3_i.has_indirect_call, 0
	.section	.AMDGPU.csdata,"",@progbits
; Kernel info:
; codeLenInByte = 672
; TotalNumSgprs: 26
; NumVgprs: 9
; ScratchSize: 0
; MemoryBound: 0
; FloatMode: 240
; IeeeMode: 1
; LDSByteSize: 0 bytes/workgroup (compile time only)
; SGPRBlocks: 3
; VGPRBlocks: 2
; NumSGPRsForWavesPerEU: 26
; NumVGPRsForWavesPerEU: 9
; Occupancy: 10
; WaveLimiterHint : 1
; COMPUTE_PGM_RSRC2:SCRATCH_EN: 0
; COMPUTE_PGM_RSRC2:USER_SGPR: 6
; COMPUTE_PGM_RSRC2:TRAP_HANDLER: 0
; COMPUTE_PGM_RSRC2:TGID_X_EN: 1
; COMPUTE_PGM_RSRC2:TGID_Y_EN: 0
; COMPUTE_PGM_RSRC2:TGID_Z_EN: 1
; COMPUTE_PGM_RSRC2:TIDIG_COMP_CNT: 0
	.section	.text._ZL26rocblas_hemvn_kernel_upperILb0ELi64ELi4ELi33ELi32ELi16EidPKPKdPdEviT6_lT7_lT5_lS6_lS7_lS5_lT8_i,"axG",@progbits,_ZL26rocblas_hemvn_kernel_upperILb0ELi64ELi4ELi33ELi32ELi16EidPKPKdPdEviT6_lT7_lT5_lS6_lS7_lS5_lT8_i,comdat
	.globl	_ZL26rocblas_hemvn_kernel_upperILb0ELi64ELi4ELi33ELi32ELi16EidPKPKdPdEviT6_lT7_lT5_lS6_lS7_lS5_lT8_i ; -- Begin function _ZL26rocblas_hemvn_kernel_upperILb0ELi64ELi4ELi33ELi32ELi16EidPKPKdPdEviT6_lT7_lT5_lS6_lS7_lS5_lT8_i
	.p2align	8
	.type	_ZL26rocblas_hemvn_kernel_upperILb0ELi64ELi4ELi33ELi32ELi16EidPKPKdPdEviT6_lT7_lT5_lS6_lS7_lS5_lT8_i,@function
_ZL26rocblas_hemvn_kernel_upperILb0ELi64ELi4ELi33ELi32ELi16EidPKPKdPdEviT6_lT7_lT5_lS6_lS7_lS5_lT8_i: ; @_ZL26rocblas_hemvn_kernel_upperILb0ELi64ELi4ELi33ELi32ELi16EidPKPKdPdEviT6_lT7_lT5_lS6_lS7_lS5_lT8_i
; %bb.0:
	s_load_dwordx2 s[0:1], s[4:5], 0x84
	s_add_u32 s10, s4, 0x78
	s_addc_u32 s11, s5, 0
	s_waitcnt lgkmcnt(0)
	s_lshr_b32 s2, s0, 16
	s_and_b32 s0, s0, 0xffff
	s_and_b32 s1, s1, 0xffff
	s_mul_i32 s0, s2, s0
	s_mul_i32 s0, s0, s1
	s_cmpk_lg_i32 s0, 0x100
	s_cbranch_scc1 .LBB166_4
; %bb.1:
	s_load_dwordx2 s[0:1], s[4:5], 0x8
	s_load_dwordx2 s[8:9], s[4:5], 0x58
	s_waitcnt lgkmcnt(0)
	v_cmp_eq_f64_e64 s[2:3], s[0:1], 0
	v_cmp_eq_f64_e64 s[0:1], s[8:9], 1.0
	s_and_b64 s[0:1], s[2:3], s[0:1]
	s_and_b64 vcc, exec, s[0:1]
	s_cbranch_vccnz .LBB166_4
; %bb.2:
	s_mov_b32 s24, s7
	s_mov_b64 s[0:1], 0
	s_and_b64 vcc, exec, s[2:3]
	s_cbranch_vccz .LBB166_5
; %bb.3:
	s_andn2_b64 vcc, exec, s[0:1]
	s_cbranch_vccz .LBB166_6
.LBB166_4:
	s_endpgm
.LBB166_5:
.LBB166_6:
	s_load_dwordx4 s[0:3], s[4:5], 0x18
	s_load_dwordx4 s[12:15], s[4:5], 0x38
	s_load_dword s33, s[4:5], 0x48
	s_mov_b32 s25, 0
	s_lshl_b64 s[8:9], s[24:25], 3
	s_waitcnt lgkmcnt(0)
	s_add_u32 s0, s0, s8
	s_addc_u32 s1, s1, s9
	s_add_u32 s12, s12, s8
	s_addc_u32 s13, s13, s9
	s_load_dwordx2 s[16:17], s[12:13], 0x0
	s_load_dword s40, s[4:5], 0x0
	s_load_dword s7, s[10:11], 0x0
	s_load_dwordx2 s[8:9], s[0:1], 0x0
	s_lshl_b64 s[0:1], s[14:15], 3
	s_waitcnt lgkmcnt(0)
	s_add_u32 s0, s16, s0
	s_addc_u32 s1, s17, s1
	s_lshl_b32 s26, s6, 6
	v_add_u32_e32 v58, s26, v0
	v_mul_lo_u32 v2, s33, v58
	s_ashr_i32 s41, s40, 31
	s_lshr_b32 s11, s41, 26
	s_add_i32 s11, s40, s11
	v_ashrrev_i32_e32 v3, 31, v2
	s_andn2_b32 s11, s11, 63
	v_lshlrev_b64 v[2:3], 3, v[2:3]
	s_add_i32 s10, s7, -1
	s_sub_i32 s25, s40, s11
	s_cmp_eq_u32 s6, s10
	v_mov_b32_e32 v4, s1
	v_add_co_u32_e32 v16, vcc, s0, v2
	s_cselect_b32 s18, s25, 0
	v_addc_co_u32_e32 v17, vcc, v4, v3, vcc
	v_cmp_eq_u32_e64 s[0:1], 0, v1
	s_and_saveexec_b64 s[10:11], s[0:1]
	s_cbranch_execz .LBB166_10
; %bb.7:
	s_cmp_eq_u32 s18, 0
	s_cselect_b64 s[12:13], -1, 0
	v_cmp_gt_i32_e32 vcc, s18, v0
	v_mov_b32_e32 v2, 0
	v_mov_b32_e32 v3, 0
	s_or_b64 s[14:15], s[12:13], vcc
	s_and_saveexec_b64 s[12:13], s[14:15]
	s_cbranch_execz .LBB166_9
; %bb.8:
	flat_load_dwordx2 v[2:3], v[16:17]
.LBB166_9:
	s_or_b64 exec, exec, s[12:13]
	v_lshlrev_b32_e32 v4, 3, v0
	s_waitcnt vmcnt(0) lgkmcnt(0)
	ds_write_b64 v4, v[2:3] offset:9088
.LBB166_10:
	s_or_b64 exec, exec, s[10:11]
	s_load_dword s22, s[4:5], 0x28
	s_lshl_b64 s[2:3], s[2:3], 3
	v_lshl_add_u32 v24, v1, 6, v0
	s_add_u32 s8, s8, s2
	v_and_b32_e32 v2, 31, v0
	v_lshrrev_b32_e32 v13, 5, v24
	s_addc_u32 s9, s9, s3
	s_waitcnt lgkmcnt(0)
	v_mad_u64_u32 v[3:4], s[2:3], s22, v13, v[2:3]
	s_ashr_i32 s27, s26, 31
	s_lshl_b64 s[2:3], s[26:27], 3
	v_ashrrev_i32_e32 v4, 31, v3
	v_lshlrev_b64 v[14:15], 3, v[3:4]
	s_add_u32 s2, s8, s2
	s_addc_u32 s3, s9, s3
	v_add_co_u32_e32 v4, vcc, s2, v14
	s_mul_i32 s2, s22, s26
	v_mov_b32_e32 v3, s3
	s_ashr_i32 s3, s2, 31
	s_lshl_b64 s[2:3], s[2:3], 3
	v_addc_co_u32_e32 v5, vcc, v3, v15, vcc
	s_cmp_eq_u32 s18, 0
	v_mov_b32_e32 v6, s3
	v_add_co_u32_e32 v3, vcc, s2, v4
	s_cselect_b64 s[20:21], -1, 0
	s_cmp_lg_u32 s18, 0
	v_addc_co_u32_e32 v4, vcc, v5, v6, vcc
	s_cselect_b64 s[34:35], -1, 0
	s_and_b64 vcc, exec, s[34:35]
	v_cmp_gt_i32_e64 s[2:3], s18, v2
	v_lshlrev_b32_e32 v20, 3, v2
	s_cbranch_vccz .LBB166_20
; %bb.11:
	v_sub_co_u32_e32 v5, vcc, v3, v20
	s_ashr_i32 s19, s18, 31
	v_subbrev_co_u32_e32 v6, vcc, 0, v4, vcc
	s_lshl_b64 s[8:9], s[18:19], 3
	v_mov_b32_e32 v7, s9
	v_add_co_u32_e32 v5, vcc, s8, v5
	v_addc_co_u32_e32 v6, vcc, v6, v7, vcc
	v_add_co_u32_e32 v5, vcc, -8, v5
	v_addc_co_u32_e32 v6, vcc, -1, v6, vcc
	v_mov_b32_e32 v7, 0
	v_mov_b32_e32 v9, 0
	v_cndmask_b32_e64 v6, v6, v4, s[2:3]
	v_cndmask_b32_e64 v5, v5, v3, s[2:3]
	v_mov_b32_e32 v8, 0
	v_mov_b32_e32 v10, 0
	v_cmp_gt_i32_e32 vcc, s18, v13
	s_and_saveexec_b64 s[10:11], vcc
	s_cbranch_execz .LBB166_13
; %bb.12:
	flat_load_dwordx2 v[9:10], v[5:6]
.LBB166_13:
	s_or_b64 exec, exec, s[10:11]
	s_movk_i32 s10, 0x108
	v_mad_u32_u24 v12, v13, s10, v20
	s_waitcnt vmcnt(0) lgkmcnt(0)
	ds_write_b64 v12, v[9:10]
	v_add_u32_e32 v9, 8, v13
	v_mul_u32_u24_e32 v11, 0x108, v13
	v_cmp_gt_i32_e32 vcc, s18, v9
	s_and_saveexec_b64 s[10:11], vcc
	s_cbranch_execz .LBB166_15
; %bb.14:
	s_lshl_b32 s12, s22, 3
	s_ashr_i32 s13, s12, 31
	s_lshl_b64 s[12:13], s[12:13], 3
	v_mov_b32_e32 v8, s13
	v_add_co_u32_e32 v7, vcc, s12, v5
	v_addc_co_u32_e32 v8, vcc, v6, v8, vcc
	flat_load_dwordx2 v[7:8], v[7:8]
.LBB166_15:
	s_or_b64 exec, exec, s[10:11]
	v_add_u32_e32 v11, v11, v20
	s_waitcnt vmcnt(0) lgkmcnt(0)
	ds_write_b64 v11, v[7:8] offset:2112
	v_add_u32_e32 v12, 16, v13
	v_mov_b32_e32 v7, 0
	v_mov_b32_e32 v9, 0
	;; [unrolled: 1-line block ×4, first 2 shown]
	v_cmp_gt_i32_e32 vcc, s18, v12
	s_and_saveexec_b64 s[10:11], vcc
	s_cbranch_execz .LBB166_17
; %bb.16:
	s_lshl_b32 s12, s22, 4
	s_ashr_i32 s13, s12, 31
	s_lshl_b64 s[12:13], s[12:13], 3
	v_mov_b32_e32 v10, s13
	v_add_co_u32_e32 v9, vcc, s12, v5
	v_addc_co_u32_e32 v10, vcc, v6, v10, vcc
	flat_load_dwordx2 v[9:10], v[9:10]
.LBB166_17:
	s_or_b64 exec, exec, s[10:11]
	s_waitcnt vmcnt(0) lgkmcnt(0)
	ds_write_b64 v11, v[9:10] offset:4224
	v_add_u32_e32 v9, 24, v13
	v_cmp_gt_i32_e32 vcc, s18, v9
	s_and_saveexec_b64 s[10:11], vcc
	s_cbranch_execz .LBB166_19
; %bb.18:
	s_mul_i32 s12, s22, 24
	s_ashr_i32 s13, s12, 31
	s_lshl_b64 s[12:13], s[12:13], 3
	v_mov_b32_e32 v8, s13
	v_add_co_u32_e32 v7, vcc, s12, v5
	v_addc_co_u32_e32 v8, vcc, v6, v8, vcc
	flat_load_dwordx2 v[7:8], v[7:8]
.LBB166_19:
	s_or_b64 exec, exec, s[10:11]
	v_add_co_u32_e32 v5, vcc, v5, v20
	v_addc_co_u32_e32 v6, vcc, 0, v6, vcc
	s_waitcnt vmcnt(0) lgkmcnt(0)
	ds_write_b64 v11, v[7:8] offset:6336
	v_mov_b32_e32 v7, s9
	v_subrev_co_u32_e32 v5, vcc, s8, v5
	v_subb_co_u32_e32 v6, vcc, v6, v7, vcc
	v_add_co_u32_e32 v5, vcc, 8, v5
	v_addc_co_u32_e32 v6, vcc, 0, v6, vcc
	v_cndmask_b32_e64 v6, v6, v4, s[2:3]
	v_cndmask_b32_e64 v5, v5, v3, s[2:3]
	s_branch .LBB166_22
.LBB166_20:
                                        ; implicit-def: $vgpr5_vgpr6
	s_cbranch_execz .LBB166_22
; %bb.21:
	s_lshl_b32 s2, s22, 3
	s_ashr_i32 s3, s2, 31
	s_lshl_b64 s[2:3], s[2:3], 3
	v_mov_b32_e32 v6, s3
	v_add_co_u32_e32 v5, vcc, s2, v3
	s_ashr_i32 s23, s22, 31
	v_addc_co_u32_e32 v6, vcc, v4, v6, vcc
	s_lshl_b64 s[2:3], s[22:23], 6
	v_mov_b32_e32 v10, s3
	v_add_co_u32_e32 v7, vcc, s2, v5
	v_addc_co_u32_e32 v8, vcc, v6, v10, vcc
	v_add_co_u32_e32 v9, vcc, s2, v7
	v_addc_co_u32_e32 v10, vcc, v8, v10, vcc
	flat_load_dwordx2 v[11:12], v[3:4]
	flat_load_dwordx2 v[18:19], v[5:6]
	;; [unrolled: 1-line block ×4, first 2 shown]
	v_mul_u32_u24_e32 v5, 0x108, v13
	v_lshl_add_u32 v5, v2, 3, v5
	s_waitcnt vmcnt(0) lgkmcnt(0)
	ds_write_b64 v5, v[11:12]
	ds_write_b64 v5, v[18:19] offset:2112
	ds_write_b64 v5, v[21:22] offset:4224
	;; [unrolled: 1-line block ×3, first 2 shown]
	v_mov_b32_e32 v6, v4
	v_mov_b32_e32 v5, v3
.LBB166_22:
	v_lshlrev_b32_e32 v18, 2, v13
	v_lshl_or_b32 v3, v2, 8, v20
	v_cmp_gt_u32_e64 s[16:17], v18, v2
	v_lshl_add_u32 v3, v18, 3, v3
	s_waitcnt lgkmcnt(0)
	s_barrier
	s_and_saveexec_b64 s[2:3], s[16:17]
	s_cbranch_execz .LBB166_24
; %bb.23:
	s_movk_i32 s8, 0x420
	v_mad_u32_u24 v4, v13, s8, v20
	ds_read_b64 v[7:8], v4
	s_waitcnt lgkmcnt(0)
	ds_write_b64 v3, v[7:8]
.LBB166_24:
	s_or_b64 exec, exec, s[2:3]
	v_or_b32_e32 v19, 1, v18
	v_cmp_ge_u32_e64 s[8:9], v18, v2
	s_and_saveexec_b64 s[2:3], s[8:9]
	s_cbranch_execz .LBB166_26
; %bb.25:
	s_movk_i32 s10, 0x108
	v_mad_u32_u24 v4, v19, s10, v20
	ds_read_b64 v[7:8], v4
	s_waitcnt lgkmcnt(0)
	ds_write_b64 v3, v[7:8] offset:8
.LBB166_26:
	s_or_b64 exec, exec, s[2:3]
	v_or_b32_e32 v4, 2, v18
	v_cmp_gt_u32_e64 s[10:11], v4, v2
	s_and_saveexec_b64 s[2:3], s[10:11]
	s_cbranch_execz .LBB166_28
; %bb.27:
	s_movk_i32 s12, 0x108
	v_mad_u32_u24 v4, v4, s12, v20
	ds_read_b64 v[7:8], v4
	s_waitcnt lgkmcnt(0)
	ds_write_b64 v3, v[7:8] offset:16
.LBB166_28:
	s_or_b64 exec, exec, s[2:3]
	v_or_b32_e32 v7, 3, v18
	v_cmp_gt_u32_e64 s[12:13], v7, v2
	v_cmp_le_u32_e32 vcc, v7, v2
                                        ; implicit-def: $vgpr4
	s_and_saveexec_b64 s[2:3], vcc
	s_xor_b64 s[2:3], exec, s[2:3]
; %bb.29:
	v_mul_u32_u24_e32 v4, 0x108, v7
                                        ; implicit-def: $vgpr7
                                        ; implicit-def: $vgpr3
; %bb.30:
	s_andn2_saveexec_b64 s[2:3], s[2:3]
	s_cbranch_execz .LBB166_32
; %bb.31:
	s_movk_i32 s14, 0x108
	v_mad_u32_u24 v4, v7, s14, v20
	ds_read_b64 v[8:9], v4
	v_mul_u32_u24_e32 v4, 0x108, v7
	s_waitcnt lgkmcnt(0)
	ds_write_b64 v3, v[8:9] offset:24
.LBB166_32:
	s_or_b64 exec, exec, s[2:3]
	s_movk_i32 s2, 0x420
	v_mad_u32_u24 v3, v13, s2, v20
	s_waitcnt lgkmcnt(0)
	s_barrier
	v_lshlrev_b32_e32 v22, 3, v18
	ds_read_b64 v[11:12], v3
	ds_read_b128 v[7:10], v22 offset:9088
	s_movk_i32 s2, 0x108
	v_mad_u32_u24 v3, v19, s2, v20
	ds_read2_b64 v[25:28], v3 offset1:33
	v_add_u32_e32 v21, v20, v4
	s_waitcnt lgkmcnt(1)
	v_fma_f64 v[7:8], v[11:12], v[7:8], 0
	v_mov_b32_e32 v59, 0
	v_mov_b32_e32 v60, 0
	v_cmp_gt_u32_e64 s[2:3], 32, v24
	ds_read_b64 v[3:4], v21
	s_waitcnt lgkmcnt(1)
	v_fma_f64 v[11:12], v[25:26], v[9:10], v[7:8]
	ds_read_b128 v[7:10], v22 offset:9104
	s_waitcnt lgkmcnt(0)
	s_barrier
	v_fma_f64 v[7:8], v[27:28], v[7:8], v[11:12]
	v_fma_f64 v[3:4], v[3:4], v[9:10], v[7:8]
	v_mul_u32_u24_e32 v7, 33, v2
	v_lshlrev_b32_e32 v25, 3, v7
	v_lshl_add_u32 v26, v13, 3, v25
	ds_write_b64 v26, v[3:4]
	s_waitcnt lgkmcnt(0)
	s_barrier
	s_and_saveexec_b64 s[14:15], s[2:3]
	s_cbranch_execz .LBB166_34
; %bb.33:
	ds_read2_b64 v[7:10], v25 offset1:1
	ds_read2_b64 v[27:30], v25 offset0:2 offset1:3
	s_waitcnt lgkmcnt(1)
	v_add_f64 v[3:4], v[7:8], v[9:10]
	s_waitcnt lgkmcnt(0)
	v_add_f64 v[3:4], v[3:4], v[27:28]
	v_add_f64 v[3:4], v[3:4], v[29:30]
	ds_read2_b64 v[7:10], v25 offset0:4 offset1:5
	ds_read2_b64 v[27:30], v25 offset0:6 offset1:7
	s_waitcnt lgkmcnt(1)
	v_add_f64 v[3:4], v[3:4], v[7:8]
	v_add_f64 v[3:4], v[3:4], v[9:10]
	s_waitcnt lgkmcnt(0)
	v_add_f64 v[3:4], v[3:4], v[27:28]
	v_add_f64 v[59:60], v[3:4], v[29:30]
.LBB166_34:
	s_or_b64 exec, exec, s[14:15]
	s_lshl_b32 s30, s22, 5
	s_ashr_i32 s31, s30, 31
	s_lshl_b64 s[28:29], s[30:31], 3
	v_mov_b32_e32 v3, s29
	v_add_co_u32_e32 v5, vcc, s28, v5
	v_addc_co_u32_e32 v6, vcc, v6, v3, vcc
	v_add_co_u32_e32 v3, vcc, 0x100, v5
	v_addc_co_u32_e32 v4, vcc, 0, v6, vcc
	s_and_b64 vcc, exec, s[34:35]
	s_barrier
	s_cbranch_vccz .LBB166_44
; %bb.35:
	v_sub_co_u32_e32 v8, vcc, v5, v20
	s_ashr_i32 s19, s18, 31
	v_subbrev_co_u32_e32 v9, vcc, 0, v6, vcc
	s_lshl_b64 s[36:37], s[18:19], 3
	v_mov_b32_e32 v10, s37
	v_add_co_u32_e32 v8, vcc, s36, v8
	v_or_b32_e32 v7, 32, v2
	v_addc_co_u32_e32 v9, vcc, v9, v10, vcc
	v_add_co_u32_e32 v10, vcc, -8, v8
	v_cmp_gt_i32_e64 s[14:15], s18, v7
	v_addc_co_u32_e32 v8, vcc, -1, v9, vcc
	v_cndmask_b32_e64 v7, v10, v3, s[14:15]
	s_sub_i32 s19, s18, 32
	v_mov_b32_e32 v9, 0
	v_mov_b32_e32 v11, 0
	v_cndmask_b32_e64 v8, v8, v4, s[14:15]
	v_mov_b32_e32 v10, 0
	v_mov_b32_e32 v12, 0
	v_cmp_gt_i32_e32 vcc, s19, v13
	s_and_saveexec_b64 s[38:39], vcc
	s_cbranch_execz .LBB166_37
; %bb.36:
	flat_load_dwordx2 v[11:12], v[7:8]
.LBB166_37:
	s_or_b64 exec, exec, s[38:39]
	s_movk_i32 s23, 0x108
	v_mad_u32_u24 v27, v13, s23, v20
	s_waitcnt vmcnt(0) lgkmcnt(0)
	ds_write_b64 v27, v[11:12]
	v_add_u32_e32 v11, 8, v13
	v_mul_u32_u24_e32 v23, 0x108, v13
	v_cmp_gt_i32_e32 vcc, s19, v11
	s_and_saveexec_b64 s[38:39], vcc
	s_cbranch_execz .LBB166_39
; %bb.38:
	s_lshl_b32 s42, s22, 3
	s_ashr_i32 s43, s42, 31
	s_lshl_b64 s[42:43], s[42:43], 3
	v_mov_b32_e32 v10, s43
	v_add_co_u32_e32 v9, vcc, s42, v7
	v_addc_co_u32_e32 v10, vcc, v8, v10, vcc
	flat_load_dwordx2 v[9:10], v[9:10]
.LBB166_39:
	s_or_b64 exec, exec, s[38:39]
	v_add_u32_e32 v23, v23, v20
	s_waitcnt vmcnt(0) lgkmcnt(0)
	ds_write_b64 v23, v[9:10] offset:2112
	v_add_u32_e32 v27, 16, v13
	v_mov_b32_e32 v9, 0
	v_mov_b32_e32 v11, 0
	;; [unrolled: 1-line block ×4, first 2 shown]
	v_cmp_gt_i32_e32 vcc, s19, v27
	s_and_saveexec_b64 s[38:39], vcc
	s_cbranch_execz .LBB166_41
; %bb.40:
	s_lshl_b32 s42, s22, 4
	s_ashr_i32 s43, s42, 31
	s_lshl_b64 s[42:43], s[42:43], 3
	v_mov_b32_e32 v12, s43
	v_add_co_u32_e32 v11, vcc, s42, v7
	v_addc_co_u32_e32 v12, vcc, v8, v12, vcc
	flat_load_dwordx2 v[11:12], v[11:12]
.LBB166_41:
	s_or_b64 exec, exec, s[38:39]
	s_waitcnt vmcnt(0) lgkmcnt(0)
	ds_write_b64 v23, v[11:12] offset:4224
	v_add_u32_e32 v11, 24, v13
	v_cmp_gt_i32_e32 vcc, s19, v11
	s_and_saveexec_b64 s[38:39], vcc
	s_cbranch_execz .LBB166_43
; %bb.42:
	s_mul_i32 s42, s22, 24
	s_ashr_i32 s43, s42, 31
	s_lshl_b64 s[42:43], s[42:43], 3
	v_mov_b32_e32 v10, s43
	v_add_co_u32_e32 v9, vcc, s42, v7
	v_addc_co_u32_e32 v10, vcc, v8, v10, vcc
	flat_load_dwordx2 v[9:10], v[9:10]
.LBB166_43:
	s_or_b64 exec, exec, s[38:39]
	v_add_co_u32_e32 v7, vcc, v7, v20
	v_addc_co_u32_e32 v8, vcc, 0, v8, vcc
	s_waitcnt vmcnt(0) lgkmcnt(0)
	ds_write_b64 v23, v[9:10] offset:6336
	v_mov_b32_e32 v9, s37
	v_subrev_co_u32_e32 v7, vcc, s36, v7
	v_subb_co_u32_e32 v8, vcc, v8, v9, vcc
	v_add_co_u32_e32 v7, vcc, 0x108, v7
	v_addc_co_u32_e32 v8, vcc, 0, v8, vcc
	v_cndmask_b32_e64 v8, v8, v4, s[14:15]
	v_cndmask_b32_e64 v7, v7, v3, s[14:15]
	v_mul_u32_u24_e32 v9, 0x420, v13
	s_branch .LBB166_46
.LBB166_44:
                                        ; implicit-def: $vgpr7_vgpr8
	v_mul_u32_u24_e32 v9, 0x420, v13
	s_cbranch_execz .LBB166_46
; %bb.45:
	s_lshl_b32 s14, s22, 3
	s_ashr_i32 s15, s14, 31
	s_lshl_b64 s[14:15], s[14:15], 3
	v_mov_b32_e32 v8, s15
	v_add_co_u32_e32 v7, vcc, s14, v5
	s_ashr_i32 s23, s22, 31
	v_addc_co_u32_e32 v8, vcc, v6, v8, vcc
	s_lshl_b64 s[14:15], s[22:23], 6
	v_mov_b32_e32 v12, s15
	v_add_co_u32_e32 v10, vcc, s14, v7
	v_addc_co_u32_e32 v11, vcc, v8, v12, vcc
	v_add_co_u32_e32 v27, vcc, s14, v10
	v_addc_co_u32_e32 v28, vcc, v11, v12, vcc
	flat_load_dwordx2 v[29:30], v[5:6] offset:256
	flat_load_dwordx2 v[31:32], v[7:8] offset:256
	;; [unrolled: 1-line block ×4, first 2 shown]
	s_movk_i32 s14, 0x108
	v_mov_b32_e32 v8, v4
	v_mad_u32_u24 v5, v13, s14, v20
	v_mov_b32_e32 v7, v3
	s_waitcnt vmcnt(0) lgkmcnt(0)
	ds_write_b64 v5, v[29:30]
	ds_write_b64 v5, v[31:32] offset:2112
	ds_write_b64 v5, v[33:34] offset:4224
	;; [unrolled: 1-line block ×3, first 2 shown]
.LBB166_46:
	v_mul_u32_u24_e32 v4, 0x108, v19
	v_add_u32_e32 v11, v20, v9
	v_lshl_add_u32 v3, v18, 3, v25
	s_waitcnt lgkmcnt(0)
	s_barrier
	s_and_saveexec_b64 s[14:15], s[16:17]
	s_cbranch_execz .LBB166_50
; %bb.47:
	ds_read_b64 v[5:6], v11
	s_waitcnt lgkmcnt(0)
	ds_write_b64 v3, v[5:6]
	s_or_b64 exec, exec, s[14:15]
	v_add_u32_e32 v27, v20, v4
	s_and_saveexec_b64 s[14:15], s[8:9]
	s_cbranch_execnz .LBB166_51
.LBB166_48:
	s_or_b64 exec, exec, s[14:15]
	s_and_saveexec_b64 s[8:9], s[10:11]
	s_cbranch_execz .LBB166_52
.LBB166_49:
	ds_read_b64 v[4:5], v27 offset:264
	s_waitcnt lgkmcnt(0)
	ds_write_b64 v3, v[4:5] offset:16
	s_or_b64 exec, exec, s[8:9]
	v_add_u32_e32 v28, 0x2380, v22
	s_and_saveexec_b64 s[8:9], s[12:13]
	s_cbranch_execnz .LBB166_53
	s_branch .LBB166_54
.LBB166_50:
	s_or_b64 exec, exec, s[14:15]
	v_add_u32_e32 v27, v20, v4
	s_and_saveexec_b64 s[14:15], s[8:9]
	s_cbranch_execz .LBB166_48
.LBB166_51:
	ds_read_b64 v[4:5], v27
	s_waitcnt lgkmcnt(0)
	ds_write_b64 v3, v[4:5] offset:8
	s_or_b64 exec, exec, s[14:15]
	s_and_saveexec_b64 s[8:9], s[10:11]
	s_cbranch_execnz .LBB166_49
.LBB166_52:
	s_or_b64 exec, exec, s[8:9]
	v_add_u32_e32 v28, 0x2380, v22
	s_and_saveexec_b64 s[8:9], s[12:13]
	s_cbranch_execz .LBB166_54
.LBB166_53:
	ds_read_b64 v[4:5], v21
	s_waitcnt lgkmcnt(0)
	ds_write_b64 v3, v[4:5] offset:24
.LBB166_54:
	s_or_b64 exec, exec, s[8:9]
	s_waitcnt lgkmcnt(0)
	s_barrier
	ds_read_b64 v[9:10], v11
	ds_read_b128 v[3:6], v28 offset:256
	ds_read_b128 v[29:32], v28 offset:272
	ds_read_b64 v[18:19], v21
	ds_read2_b64 v[33:36], v27 offset1:33
	v_cmp_eq_u32_e64 s[8:9], 1, v13
	s_waitcnt lgkmcnt(3)
	v_fma_f64 v[3:4], v[9:10], v[3:4], 0
	s_waitcnt lgkmcnt(0)
	s_barrier
	v_fma_f64 v[3:4], v[33:34], v[5:6], v[3:4]
	v_fma_f64 v[3:4], v[35:36], v[29:30], v[3:4]
	;; [unrolled: 1-line block ×3, first 2 shown]
	ds_write_b64 v26, v[3:4]
	s_waitcnt lgkmcnt(0)
	s_barrier
	s_and_saveexec_b64 s[10:11], s[8:9]
	s_cbranch_execz .LBB166_56
; %bb.55:
	ds_read2_b64 v[3:6], v25 offset1:1
	ds_read2_b64 v[29:32], v25 offset0:2 offset1:3
	s_waitcnt lgkmcnt(1)
	v_add_f64 v[3:4], v[3:4], v[5:6]
	s_waitcnt lgkmcnt(0)
	v_add_f64 v[3:4], v[3:4], v[29:30]
	v_add_f64 v[9:10], v[3:4], v[31:32]
	ds_read2_b64 v[3:6], v25 offset0:4 offset1:5
	ds_read2_b64 v[29:32], v25 offset0:6 offset1:7
	s_waitcnt lgkmcnt(1)
	v_add_f64 v[3:4], v[9:10], v[3:4]
	v_add_f64 v[3:4], v[3:4], v[5:6]
	s_waitcnt lgkmcnt(0)
	v_add_f64 v[3:4], v[3:4], v[29:30]
	v_add_f64 v[59:60], v[3:4], v[31:32]
.LBB166_56:
	s_or_b64 exec, exec, s[10:11]
	v_add_co_u32_e32 v3, vcc, 0xffffff00, v7
	v_addc_co_u32_e32 v4, vcc, -1, v8, vcc
	s_and_b64 vcc, exec, s[34:35]
	s_barrier
	s_cbranch_vccz .LBB166_66
; %bb.57:
	v_sub_co_u32_e32 v5, vcc, v3, v20
	s_ashr_i32 s19, s18, 31
	v_subbrev_co_u32_e32 v6, vcc, 0, v4, vcc
	s_lshl_b64 s[12:13], s[18:19], 3
	v_mov_b32_e32 v7, s13
	v_add_co_u32_e32 v5, vcc, s12, v5
	v_addc_co_u32_e32 v6, vcc, v6, v7, vcc
	v_add_co_u32_e32 v5, vcc, -8, v5
	v_addc_co_u32_e32 v6, vcc, -1, v6, vcc
	v_cmp_gt_i32_e32 vcc, s18, v2
	s_sub_i32 s16, s18, 32
	v_mov_b32_e32 v7, 0
	v_mov_b32_e32 v9, 0
	v_cndmask_b32_e32 v6, v6, v4, vcc
	v_cndmask_b32_e32 v5, v5, v3, vcc
	v_mov_b32_e32 v8, 0
	v_mov_b32_e32 v10, 0
	v_cmp_gt_i32_e64 s[10:11], s16, v13
	s_and_saveexec_b64 s[14:15], s[10:11]
	s_cbranch_execz .LBB166_59
; %bb.58:
	flat_load_dwordx2 v[9:10], v[5:6]
.LBB166_59:
	s_or_b64 exec, exec, s[14:15]
	s_movk_i32 s10, 0x108
	v_mad_u32_u24 v2, v13, s10, v20
	s_waitcnt vmcnt(0) lgkmcnt(0)
	ds_write_b64 v2, v[9:10]
	v_add_u32_e32 v2, 8, v13
	v_mul_u32_u24_e32 v12, 0x108, v13
	v_cmp_gt_i32_e64 s[10:11], s16, v2
	s_and_saveexec_b64 s[14:15], s[10:11]
	s_cbranch_execz .LBB166_61
; %bb.60:
	s_lshl_b32 s10, s22, 3
	s_ashr_i32 s11, s10, 31
	s_lshl_b64 s[10:11], s[10:11], 3
	v_mov_b32_e32 v8, s11
	v_add_co_u32_e64 v7, s[10:11], s10, v5
	v_addc_co_u32_e64 v8, s[10:11], v6, v8, s[10:11]
	flat_load_dwordx2 v[7:8], v[7:8]
.LBB166_61:
	s_or_b64 exec, exec, s[14:15]
	v_add_u32_e32 v18, v12, v20
	s_waitcnt vmcnt(0) lgkmcnt(0)
	ds_write_b64 v18, v[7:8] offset:2112
	v_add_u32_e32 v12, 16, v13
	v_mov_b32_e32 v7, 0
	v_mov_b32_e32 v9, 0
	;; [unrolled: 1-line block ×4, first 2 shown]
	v_cmp_gt_i32_e64 s[10:11], s16, v12
	s_and_saveexec_b64 s[14:15], s[10:11]
	s_cbranch_execz .LBB166_63
; %bb.62:
	s_lshl_b32 s10, s22, 4
	s_ashr_i32 s11, s10, 31
	s_lshl_b64 s[10:11], s[10:11], 3
	v_mov_b32_e32 v10, s11
	v_add_co_u32_e64 v9, s[10:11], s10, v5
	v_addc_co_u32_e64 v10, s[10:11], v6, v10, s[10:11]
	flat_load_dwordx2 v[9:10], v[9:10]
.LBB166_63:
	s_or_b64 exec, exec, s[14:15]
	s_waitcnt vmcnt(0) lgkmcnt(0)
	ds_write_b64 v18, v[9:10] offset:4224
	v_add_u32_e32 v9, 24, v13
	v_cmp_gt_i32_e64 s[10:11], s16, v9
	s_and_saveexec_b64 s[14:15], s[10:11]
	s_cbranch_execz .LBB166_65
; %bb.64:
	s_mul_i32 s10, s22, 24
	s_ashr_i32 s11, s10, 31
	s_lshl_b64 s[10:11], s[10:11], 3
	v_mov_b32_e32 v8, s11
	v_add_co_u32_e64 v7, s[10:11], s10, v5
	v_addc_co_u32_e64 v8, s[10:11], v6, v8, s[10:11]
	flat_load_dwordx2 v[7:8], v[7:8]
.LBB166_65:
	s_or_b64 exec, exec, s[14:15]
	v_add_co_u32_e64 v5, s[10:11], v5, v20
	v_addc_co_u32_e64 v6, s[10:11], 0, v6, s[10:11]
	s_waitcnt vmcnt(0) lgkmcnt(0)
	ds_write_b64 v18, v[7:8] offset:6336
	v_mov_b32_e32 v7, s13
	v_subrev_co_u32_e64 v5, s[10:11], s12, v5
	v_subb_co_u32_e64 v6, s[10:11], v6, v7, s[10:11]
	v_add_co_u32_e64 v5, s[10:11], 8, v5
	v_addc_co_u32_e64 v6, s[10:11], 0, v6, s[10:11]
	v_cndmask_b32_e32 v19, v6, v4, vcc
	v_cndmask_b32_e32 v18, v5, v3, vcc
	s_branch .LBB166_68
.LBB166_66:
                                        ; implicit-def: $vgpr18_vgpr19
                                        ; implicit-def: $vgpr2
                                        ; implicit-def: $vgpr12
                                        ; implicit-def: $vgpr9
	s_cbranch_execz .LBB166_68
; %bb.67:
	s_lshl_b32 s10, s22, 3
	s_ashr_i32 s11, s10, 31
	s_lshl_b64 s[10:11], s[10:11], 3
	v_mov_b32_e32 v2, s11
	v_add_co_u32_e32 v5, vcc, s10, v3
	s_ashr_i32 s23, s22, 31
	v_addc_co_u32_e32 v6, vcc, v4, v2, vcc
	s_lshl_b64 s[10:11], s[22:23], 6
	v_mov_b32_e32 v2, s11
	v_add_co_u32_e32 v7, vcc, s10, v5
	v_addc_co_u32_e32 v8, vcc, v6, v2, vcc
	v_add_co_u32_e32 v9, vcc, s10, v7
	v_addc_co_u32_e32 v10, vcc, v8, v2, vcc
	flat_load_dwordx2 v[18:19], v[3:4]
	flat_load_dwordx2 v[22:23], v[5:6]
	flat_load_dwordx2 v[29:30], v[7:8]
	flat_load_dwordx2 v[31:32], v[9:10]
	s_movk_i32 s10, 0x108
	v_mad_u32_u24 v5, v13, s10, v20
	v_add_u32_e32 v2, 8, v13
	v_add_u32_e32 v12, 16, v13
	;; [unrolled: 1-line block ×3, first 2 shown]
	s_waitcnt vmcnt(0) lgkmcnt(0)
	ds_write_b64 v5, v[18:19]
	ds_write_b64 v5, v[22:23] offset:2112
	ds_write_b64 v5, v[29:30] offset:4224
	;; [unrolled: 1-line block ×3, first 2 shown]
	v_mov_b32_e32 v19, v4
	v_mov_b32_e32 v18, v3
.LBB166_68:
	v_lshlrev_b32_e32 v6, 3, v13
	v_add_u32_e32 v3, v25, v6
	s_waitcnt lgkmcnt(0)
	s_barrier
	v_lshlrev_b32_e32 v8, 3, v2
	ds_read_b64 v[2:3], v3
	ds_read_b64 v[4:5], v8 offset:9088
	ds_read_b64 v[6:7], v6 offset:9088
	ds_read_b64 v[20:21], v21
	v_lshlrev_b32_e32 v10, 3, v12
	v_lshlrev_b32_e32 v22, 3, v9
	s_waitcnt lgkmcnt(1)
	v_fma_f64 v[2:3], v[2:3], v[6:7], 0
	v_add_u32_e32 v6, v25, v8
	ds_read_b64 v[6:7], v6
	ds_read_b64 v[8:9], v22 offset:9088
	ds_read_b64 v[12:13], v10 offset:9088
	s_waitcnt lgkmcnt(2)
	v_fma_f64 v[2:3], v[6:7], v[4:5], v[2:3]
	v_add_u32_e32 v4, v25, v10
	ds_read_b64 v[4:5], v4
	s_waitcnt lgkmcnt(0)
	v_fma_f64 v[2:3], v[4:5], v[12:13], v[2:3]
	v_add_u32_e32 v4, v25, v22
	ds_read_b64 v[4:5], v4
	ds_read_b64 v[22:23], v11
	s_waitcnt lgkmcnt(1)
	v_fma_f64 v[29:30], v[4:5], v[8:9], v[2:3]
	ds_read_b128 v[10:13], v28 offset:256
	ds_read_b128 v[2:5], v28 offset:272
	ds_read2_b64 v[6:9], v27 offset1:33
	s_waitcnt lgkmcnt(0)
	s_barrier
	ds_write_b64 v26, v[29:30]
	s_waitcnt lgkmcnt(0)
	s_barrier
	s_and_saveexec_b64 s[10:11], s[8:9]
	s_cbranch_execz .LBB166_70
; %bb.69:
	ds_read2_b64 v[27:30], v25 offset1:1
	ds_read2_b64 v[31:34], v25 offset0:2 offset1:3
	s_waitcnt lgkmcnt(1)
	v_add_f64 v[27:28], v[59:60], v[27:28]
	v_add_f64 v[27:28], v[27:28], v[29:30]
	s_waitcnt lgkmcnt(0)
	v_add_f64 v[27:28], v[27:28], v[31:32]
	v_add_f64 v[35:36], v[27:28], v[33:34]
	ds_read2_b64 v[27:30], v25 offset0:4 offset1:5
	ds_read2_b64 v[31:34], v25 offset0:6 offset1:7
	s_waitcnt lgkmcnt(1)
	v_add_f64 v[27:28], v[35:36], v[27:28]
	v_add_f64 v[27:28], v[27:28], v[29:30]
	s_waitcnt lgkmcnt(0)
	v_add_f64 v[27:28], v[27:28], v[31:32]
	v_add_f64 v[59:60], v[27:28], v[33:34]
.LBB166_70:
	s_or_b64 exec, exec, s[10:11]
	v_fma_f64 v[10:11], v[22:23], v[10:11], 0
	s_barrier
	v_fma_f64 v[6:7], v[6:7], v[12:13], v[10:11]
	v_fma_f64 v[2:3], v[8:9], v[2:3], v[6:7]
	;; [unrolled: 1-line block ×3, first 2 shown]
	ds_write_b64 v26, v[2:3]
	s_waitcnt lgkmcnt(0)
	s_barrier
	s_and_saveexec_b64 s[8:9], s[2:3]
	s_cbranch_execz .LBB166_72
; %bb.71:
	ds_read2_b64 v[2:5], v25 offset1:1
	ds_read2_b64 v[6:9], v25 offset0:2 offset1:3
	s_waitcnt lgkmcnt(1)
	v_add_f64 v[2:3], v[59:60], v[2:3]
	v_add_f64 v[2:3], v[2:3], v[4:5]
	s_waitcnt lgkmcnt(0)
	v_add_f64 v[2:3], v[2:3], v[6:7]
	v_add_f64 v[10:11], v[2:3], v[8:9]
	ds_read2_b64 v[2:5], v25 offset0:4 offset1:5
	ds_read2_b64 v[6:9], v25 offset0:6 offset1:7
	s_waitcnt lgkmcnt(1)
	v_add_f64 v[2:3], v[10:11], v[2:3]
	v_add_f64 v[2:3], v[2:3], v[4:5]
	s_waitcnt lgkmcnt(0)
	v_add_f64 v[2:3], v[2:3], v[6:7]
	v_add_f64 v[59:60], v[2:3], v[8:9]
.LBB166_72:
	s_or_b64 exec, exec, s[8:9]
	s_load_dwordx2 s[2:3], s[4:5], 0x68
	s_mul_hi_u32 s4, s40, s24
	s_mul_i32 s41, s41, s24
	s_add_i32 s4, s4, s41
	s_mul_i32 s8, s40, s24
	s_mul_i32 s4, s4, s7
	s_mul_hi_u32 s5, s8, s7
	s_add_i32 s5, s5, s4
	s_mul_i32 s4, s8, s7
	s_lshl_b64 s[4:5], s[4:5], 3
	s_waitcnt lgkmcnt(0)
	s_add_u32 s4, s2, s4
	s_addc_u32 s5, s3, s5
	s_mul_hi_i32 s3, s40, s6
	s_mul_i32 s2, s40, s6
	s_lshl_b64 s[2:3], s[2:3], 3
	s_add_u32 s19, s4, s2
	s_addc_u32 s24, s5, s3
	s_add_i32 s8, s6, 1
	s_cmp_ge_u32 s8, s7
	v_lshlrev_b32_e32 v95, 3, v0
	s_barrier
	s_cbranch_scc1 .LBB166_129
; %bb.73:
	s_mul_i32 s2, s33, s26
	s_ashr_i32 s3, s2, 31
	v_lshlrev_b32_e32 v96, 2, v1
	s_lshl_b64 s[2:3], s[2:3], 3
	v_mad_u64_u32 v[2:3], s[4:5], s22, v96, v[0:1]
	v_subrev_co_u32_e32 v97, vcc, s2, v16
	s_lshl_b32 s27, s33, 6
	s_lshl_b32 s2, s22, 4
	s_ashr_i32 s23, s22, 31
	s_lshl_b32 s12, s22, 1
	s_mul_i32 s14, s22, 3
	s_mul_i32 s33, s33, s8
	v_mov_b32_e32 v4, s3
	s_add_i32 s26, s7, -2
	s_ashr_i32 s3, s2, 31
	s_ashr_i32 s13, s12, 31
	;; [unrolled: 1-line block ×3, first 2 shown]
	s_lshl_b64 s[4:5], s[22:23], 3
	s_lshl_b32 s8, s33, 6
	s_lshl_b64 s[16:17], s[22:23], 4
	s_add_u32 s9, s16, s28
	s_addc_u32 s33, s17, s29
	s_lshl_b64 s[10:11], s[2:3], 5
	s_add_u32 s38, s4, s28
	s_addc_u32 s39, s5, s29
	;; [unrolled: 3-line block ×4, first 2 shown]
	s_lshl_b64 s[34:35], s[2:3], 3
	s_add_u32 s44, s9, s34
	v_subb_co_u32_e32 v98, vcc, v17, v4, vcc
	s_addc_u32 s45, s33, s35
	v_add_co_u32_e32 v4, vcc, s30, v2
	s_add_u32 s30, s30, s2
	v_mov_b32_e32 v5, s31
	s_addc_u32 s31, s31, s3
	v_ashrrev_i32_e32 v3, 31, v2
	s_add_u32 s46, s38, s34
	v_addc_co_u32_e32 v5, vcc, v5, v3, vcc
	s_addc_u32 s47, s39, s35
	v_lshlrev_b64 v[4:5], 3, v[4:5]
	s_add_u32 s34, s28, s34
	s_mul_hi_i32 s36, s22, 24
	s_mul_i32 s37, s22, 24
	s_addc_u32 s35, s29, s35
	v_mov_b32_e32 v6, s36
	v_add_co_u32_e32 v10, vcc, s37, v4
	s_add_u32 s48, s34, s12
	v_addc_co_u32_e32 v11, vcc, v6, v5, vcc
	s_addc_u32 s49, s35, s13
	v_mov_b32_e32 v7, s31
	v_add_co_u32_e32 v6, vcc, s30, v2
	s_add_u32 s50, s34, s14
	v_addc_co_u32_e32 v7, vcc, v7, v3, vcc
	s_addc_u32 s51, s35, s15
	s_lshl_b64 s[30:31], s[2:3], 4
	v_lshlrev_b64 v[6:7], 3, v[6:7]
	s_add_u32 s52, s9, s30
	s_addc_u32 s53, s33, s31
	v_add_co_u32_e32 v12, vcc, s37, v6
	s_add_u32 s37, s37, s30
	v_mov_b32_e32 v8, s36
	s_addc_u32 s36, s36, s31
	s_add_u32 s30, s30, s28
	v_mov_b32_e32 v9, s29
	s_addc_u32 s29, s31, s29
	s_add_u32 s31, s30, s4
	v_addc_co_u32_e32 v13, vcc, v8, v7, vcc
	v_mov_b32_e32 v6, s36
	s_addc_u32 s36, s29, s5
	v_add_co_u32_e32 v16, vcc, s37, v4
	s_add_u32 s37, s30, s12
	s_addc_u32 s54, s29, s13
	s_add_u32 s55, s30, s14
	s_addc_u32 s56, s29, s15
	s_mul_i32 s57, s22, 0x180
	s_mul_hi_i32 s58, s2, 24
	s_add_u32 s57, s57, s16
	s_addc_u32 s16, s58, s17
	v_mov_b32_e32 v8, s16
	s_add_u32 s16, s22, s2
	v_addc_co_u32_e32 v17, vcc, v6, v5, vcc
	v_mad_u64_u32 v[6:7], s[16:17], s16, 24, v[4:5]
	v_add_co_u32_e32 v20, vcc, s57, v4
	s_addc_u32 s3, s23, s3
	v_addc_co_u32_e32 v21, vcc, v8, v5, vcc
	v_mad_u64_u32 v[7:8], s[16:17], s3, 24, v[7:8]
	v_mad_i64_i32 v[4:5], s[2:3], s2, 24, v[4:5]
	v_add_co_u32_e32 v99, vcc, v18, v6
	v_addc_co_u32_e32 v100, vcc, v19, v7, vcc
	v_mov_b32_e32 v6, s5
	v_add_co_u32_e32 v7, vcc, s4, v4
	v_addc_co_u32_e32 v6, vcc, v5, v6, vcc
	v_mov_b32_e32 v8, s13
	;; [unrolled: 3-line block ×3, first 2 shown]
	v_add_co_u32_e32 v25, vcc, s14, v4
	v_addc_co_u32_e32 v23, vcc, v5, v23, vcc
	v_add_co_u32_e32 v101, vcc, v18, v4
	v_addc_co_u32_e32 v102, vcc, v19, v5, vcc
	;; [unrolled: 2-line block ×3, first 2 shown]
	v_mov_b32_e32 v4, s33
	v_add_co_u32_e32 v105, vcc, s9, v18
	v_addc_co_u32_e32 v106, vcc, v19, v4, vcc
	v_add_co_u32_e32 v107, vcc, v18, v10
	v_addc_co_u32_e32 v108, vcc, v19, v11, vcc
	v_mov_b32_e32 v4, s39
	v_add_co_u32_e32 v109, vcc, s38, v18
	v_addc_co_u32_e32 v110, vcc, v19, v4, vcc
	v_mov_b32_e32 v4, s41
	v_add_co_u32_e32 v111, vcc, s40, v18
	v_addc_co_u32_e32 v112, vcc, v19, v4, vcc
	v_mov_b32_e32 v4, s43
	v_add_co_u32_e32 v113, vcc, s42, v18
	v_addc_co_u32_e32 v114, vcc, v19, v4, vcc
	v_mov_b32_e32 v4, s45
	v_add_co_u32_e32 v115, vcc, s44, v18
	v_addc_co_u32_e32 v116, vcc, v19, v4, vcc
	v_add_co_u32_e32 v117, vcc, v18, v12
	v_addc_co_u32_e32 v118, vcc, v19, v13, vcc
	v_mov_b32_e32 v4, s47
	v_add_co_u32_e32 v119, vcc, s46, v18
	v_addc_co_u32_e32 v120, vcc, v19, v4, vcc
	v_mov_b32_e32 v4, s35
	;; [unrolled: 3-line block ×5, first 2 shown]
	v_add_co_u32_e32 v127, vcc, s52, v18
	v_addc_co_u32_e32 v128, vcc, v19, v4, vcc
	v_add_co_u32_e32 v129, vcc, v18, v16
	v_addc_co_u32_e32 v130, vcc, v19, v17, vcc
	v_mov_b32_e32 v4, s36
	v_add_co_u32_e32 v131, vcc, s31, v18
	v_addc_co_u32_e32 v132, vcc, v19, v4, vcc
	v_mov_b32_e32 v4, s29
	;; [unrolled: 3-line block ×4, first 2 shown]
	v_add_co_u32_e32 v137, vcc, s55, v18
	v_addc_co_u32_e32 v138, vcc, v19, v4, vcc
	v_add_co_u32_e32 v139, vcc, v18, v20
	v_addc_co_u32_e32 v140, vcc, v19, v21, vcc
	;; [unrolled: 2-line block ×4, first 2 shown]
	v_lshrrev_b32_e32 v4, 4, v24
	v_add_co_u32_e32 v145, vcc, v18, v25
	s_movk_i32 s4, 0x218
	v_and_b32_e32 v5, 15, v0
	v_lshlrev_b32_e32 v6, 5, v4
	v_lshlrev_b64 v[2:3], 3, v[2:3]
	v_addc_co_u32_e32 v146, vcc, v19, v23, vcc
	v_mad_u32_u24 v147, v5, s4, v6
	v_and_b32_e32 v6, 48, v0
	v_lshlrev_b32_e32 v6, 3, v6
	v_sub_co_u32_e32 v150, vcc, v2, v14
	v_mad_u32_u24 v148, v5, s4, v6
	v_or_b32_e32 v6, 0x78, v95
	v_subb_co_u32_e32 v151, vcc, v3, v15, vcc
	v_mov_b32_e32 v2, 0x2180
	v_mad_u32_u24 v149, v5, s4, v6
	v_sub_co_u32_e32 v152, vcc, 0, v14
	v_lshl_add_u32 v154, v1, 5, v2
	s_movk_i32 s4, 0x860
	v_mul_i32_i24_e32 v2, 0xffffffe8, v4
	v_cmp_gt_u32_e64 s[2:3], 64, v24
	v_subb_co_u32_e32 v153, vcc, 0, v15, vcc
	v_add_u32_e32 v155, v147, v2
	v_add_u32_e32 v156, 0x2180, v95
	;; [unrolled: 1-line block ×3, first 2 shown]
	v_mad_u32_u24 v158, v1, s4, v95
	v_or_b32_e32 v159, 1, v96
	v_or_b32_e32 v160, 2, v96
	;; [unrolled: 1-line block ×3, first 2 shown]
	v_add_u32_e32 v162, 16, v96
	v_add_u32_e32 v163, 17, v96
	v_add_u32_e32 v164, 18, v96
	v_add_u32_e32 v165, 19, v96
	v_add_u32_e32 v166, 32, v96
	v_add_u32_e32 v167, 33, v96
	v_add_u32_e32 v168, 34, v96
	v_add_u32_e32 v169, 35, v96
	v_add_u32_e32 v170, 48, v96
	v_add_u32_e32 v171, 49, v96
	v_add_u32_e32 v172, 50, v96
	v_add_u32_e32 v173, 51, v96
	v_add_u32_e32 v61, 64, v58
	s_cmp_eq_u32 s26, s6
	s_cselect_b32 s16, s25, 0
	s_and_saveexec_b64 s[4:5], s[0:1]
	s_cbranch_execz .LBB166_78
	s_branch .LBB166_75
.LBB166_74:                             ;   in Loop: Header=BB166_78 Depth=1
	s_mov_b32 s6, s4
	s_cmp_eq_u32 s26, s6
	s_cselect_b32 s16, s25, 0
	s_and_saveexec_b64 s[4:5], s[0:1]
	s_cbranch_execz .LBB166_78
.LBB166_75:
	s_cmp_eq_u32 s16, 0
	s_cselect_b64 s[12:13], -1, 0
	v_cmp_gt_i32_e32 vcc, s16, v0
	v_mov_b32_e32 v2, 0
	v_mov_b32_e32 v3, 0
	s_or_b64 s[14:15], s[12:13], vcc
	s_and_saveexec_b64 s[12:13], s[14:15]
	s_cbranch_execz .LBB166_77
; %bb.76:
	s_ashr_i32 s9, s8, 31
	s_lshl_b64 s[14:15], s[8:9], 3
	v_mov_b32_e32 v3, s15
	v_add_co_u32_e32 v2, vcc, s14, v97
	v_addc_co_u32_e32 v3, vcc, v98, v3, vcc
	flat_load_dwordx2 v[2:3], v[2:3]
.LBB166_77:
	s_or_b64 exec, exec, s[12:13]
	s_waitcnt vmcnt(0) lgkmcnt(0)
	ds_write_b64 v156, v[2:3]
.LBB166_78:                             ; =>This Inner Loop Header: Depth=1
	s_or_b64 exec, exec, s[4:5]
	s_cmp_eq_u32 s16, 0
	v_add_co_u32_e32 v2, vcc, v103, v150
	s_cselect_b64 s[12:13], -1, 0
	s_cmp_lg_u32 s16, 0
	v_addc_co_u32_e32 v3, vcc, v104, v151, vcc
	s_cselect_b64 s[14:15], -1, 0
	s_mov_b64 s[4:5], -1
	s_and_b64 vcc, exec, s[14:15]
	s_waitcnt lgkmcnt(0)
	s_barrier
                                        ; implicit-def: $vgpr67_vgpr68
                                        ; implicit-def: $vgpr69_vgpr70
                                        ; implicit-def: $vgpr65_vgpr66
                                        ; implicit-def: $vgpr63_vgpr64
	s_cbranch_vccz .LBB166_88
; %bb.79:                               ;   in Loop: Header=BB166_78 Depth=1
	v_mov_b32_e32 v65, 0
	v_mov_b32_e32 v63, 0
	v_mov_b32_e32 v66, 0
	v_mov_b32_e32 v64, 0
	v_cmp_gt_i32_e32 vcc, s16, v96
	s_and_saveexec_b64 s[4:5], vcc
	s_cbranch_execz .LBB166_81
; %bb.80:                               ;   in Loop: Header=BB166_78 Depth=1
	flat_load_dwordx2 v[63:64], v[2:3]
.LBB166_81:                             ;   in Loop: Header=BB166_78 Depth=1
	s_or_b64 exec, exec, s[4:5]
	v_cmp_gt_i32_e32 vcc, s16, v159
	s_and_saveexec_b64 s[4:5], vcc
	s_cbranch_execz .LBB166_83
; %bb.82:                               ;   in Loop: Header=BB166_78 Depth=1
	v_add_co_u32_e32 v4, vcc, v109, v150
	v_addc_co_u32_e32 v5, vcc, v110, v151, vcc
	flat_load_dwordx2 v[65:66], v[4:5]
.LBB166_83:                             ;   in Loop: Header=BB166_78 Depth=1
	s_or_b64 exec, exec, s[4:5]
	v_mov_b32_e32 v67, 0
	v_mov_b32_e32 v69, 0
	;; [unrolled: 1-line block ×4, first 2 shown]
	v_cmp_gt_i32_e32 vcc, s16, v160
	s_and_saveexec_b64 s[4:5], vcc
	s_cbranch_execz .LBB166_85
; %bb.84:                               ;   in Loop: Header=BB166_78 Depth=1
	v_add_co_u32_e32 v4, vcc, v111, v150
	v_addc_co_u32_e32 v5, vcc, v112, v151, vcc
	flat_load_dwordx2 v[69:70], v[4:5]
.LBB166_85:                             ;   in Loop: Header=BB166_78 Depth=1
	s_or_b64 exec, exec, s[4:5]
	v_cmp_gt_i32_e32 vcc, s16, v161
	s_and_saveexec_b64 s[4:5], vcc
	s_cbranch_execz .LBB166_87
; %bb.86:                               ;   in Loop: Header=BB166_78 Depth=1
	v_add_co_u32_e32 v4, vcc, v113, v150
	v_addc_co_u32_e32 v5, vcc, v114, v151, vcc
	flat_load_dwordx2 v[67:68], v[4:5]
.LBB166_87:                             ;   in Loop: Header=BB166_78 Depth=1
	s_or_b64 exec, exec, s[4:5]
	s_mov_b64 s[4:5], 0
.LBB166_88:                             ;   in Loop: Header=BB166_78 Depth=1
	s_and_b64 vcc, exec, s[4:5]
	s_cbranch_vccz .LBB166_90
; %bb.89:                               ;   in Loop: Header=BB166_78 Depth=1
	s_waitcnt vmcnt(0) lgkmcnt(0)
	flat_load_dwordx2 v[63:64], v[2:3]
	v_add_co_u32_e32 v2, vcc, v109, v150
	v_addc_co_u32_e32 v3, vcc, v110, v151, vcc
	flat_load_dwordx2 v[65:66], v[2:3]
	v_add_co_u32_e32 v2, vcc, v105, v150
	v_addc_co_u32_e32 v3, vcc, v106, v151, vcc
	;; [unrolled: 3-line block ×3, first 2 shown]
	flat_load_dwordx2 v[67:68], v[2:3]
.LBB166_90:                             ;   in Loop: Header=BB166_78 Depth=1
	ds_read_b64 v[2:3], v157
                                        ; implicit-def: $vgpr75_vgpr76
                                        ; implicit-def: $vgpr77_vgpr78
                                        ; implicit-def: $vgpr73_vgpr74
                                        ; implicit-def: $vgpr71_vgpr72
	s_waitcnt vmcnt(0) lgkmcnt(0)
	v_mul_f64 v[10:11], v[63:64], v[2:3]
	v_mul_f64 v[12:13], v[65:66], v[2:3]
	;; [unrolled: 1-line block ×4, first 2 shown]
	ds_read_b128 v[6:9], v154
	ds_read_b128 v[2:5], v154 offset:16
	ds_write2_b64 v158, v[10:11], v[12:13] offset1:67
	ds_write2_b64 v158, v[14:15], v[16:17] offset0:134 offset1:201
	s_waitcnt lgkmcnt(0)
	s_barrier
	ds_read2_b64 v[22:25], v147 offset1:1
	ds_read2_b64 v[18:21], v147 offset0:2 offset1:3
	v_add_co_u32_e32 v10, vcc, v121, v150
	v_addc_co_u32_e32 v11, vcc, v122, v151, vcc
	v_cndmask_b32_e64 v12, 0, 1, s[14:15]
	v_cmp_ne_u32_e64 s[4:5], 1, v12
	s_andn2_b64 vcc, exec, s[14:15]
	s_mov_b64 s[14:15], -1
	s_waitcnt lgkmcnt(0)
	s_barrier
	s_cbranch_vccnz .LBB166_100
; %bb.91:                               ;   in Loop: Header=BB166_78 Depth=1
	v_mov_b32_e32 v73, 0
	v_mov_b32_e32 v71, 0
	;; [unrolled: 1-line block ×4, first 2 shown]
	v_cmp_gt_i32_e32 vcc, s16, v162
	s_and_saveexec_b64 s[14:15], vcc
	s_cbranch_execz .LBB166_93
; %bb.92:                               ;   in Loop: Header=BB166_78 Depth=1
	flat_load_dwordx2 v[71:72], v[10:11]
.LBB166_93:                             ;   in Loop: Header=BB166_78 Depth=1
	s_or_b64 exec, exec, s[14:15]
	v_cmp_gt_i32_e32 vcc, s16, v163
	s_and_saveexec_b64 s[14:15], vcc
	s_cbranch_execz .LBB166_95
; %bb.94:                               ;   in Loop: Header=BB166_78 Depth=1
	v_add_co_u32_e32 v12, vcc, v119, v150
	v_addc_co_u32_e32 v13, vcc, v120, v151, vcc
	flat_load_dwordx2 v[73:74], v[12:13]
.LBB166_95:                             ;   in Loop: Header=BB166_78 Depth=1
	s_or_b64 exec, exec, s[14:15]
	v_mov_b32_e32 v75, 0
	v_mov_b32_e32 v77, 0
	;; [unrolled: 1-line block ×4, first 2 shown]
	v_cmp_gt_i32_e32 vcc, s16, v164
	s_and_saveexec_b64 s[14:15], vcc
	s_cbranch_execz .LBB166_97
; %bb.96:                               ;   in Loop: Header=BB166_78 Depth=1
	v_add_co_u32_e32 v12, vcc, v123, v150
	v_addc_co_u32_e32 v13, vcc, v124, v151, vcc
	flat_load_dwordx2 v[77:78], v[12:13]
.LBB166_97:                             ;   in Loop: Header=BB166_78 Depth=1
	s_or_b64 exec, exec, s[14:15]
	v_cmp_gt_i32_e32 vcc, s16, v165
	s_and_saveexec_b64 s[14:15], vcc
	s_cbranch_execz .LBB166_99
; %bb.98:                               ;   in Loop: Header=BB166_78 Depth=1
	v_add_co_u32_e32 v12, vcc, v125, v150
	v_addc_co_u32_e32 v13, vcc, v126, v151, vcc
	flat_load_dwordx2 v[75:76], v[12:13]
.LBB166_99:                             ;   in Loop: Header=BB166_78 Depth=1
	s_or_b64 exec, exec, s[14:15]
	s_mov_b64 s[14:15], 0
.LBB166_100:                            ;   in Loop: Header=BB166_78 Depth=1
	s_and_b64 vcc, exec, s[14:15]
	s_cbranch_vccz .LBB166_102
; %bb.101:                              ;   in Loop: Header=BB166_78 Depth=1
	s_waitcnt vmcnt(0) lgkmcnt(0)
	flat_load_dwordx2 v[71:72], v[10:11]
	v_add_co_u32_e32 v10, vcc, v119, v150
	v_addc_co_u32_e32 v11, vcc, v120, v151, vcc
	flat_load_dwordx2 v[73:74], v[10:11]
	v_add_co_u32_e32 v10, vcc, v115, v150
	v_addc_co_u32_e32 v11, vcc, v116, v151, vcc
	;; [unrolled: 3-line block ×3, first 2 shown]
	flat_load_dwordx2 v[75:76], v[10:11]
.LBB166_102:                            ;   in Loop: Header=BB166_78 Depth=1
	ds_read_b64 v[10:11], v157
	s_mov_b64 s[14:15], -1
                                        ; implicit-def: $vgpr83_vgpr84
                                        ; implicit-def: $vgpr85_vgpr86
                                        ; implicit-def: $vgpr79_vgpr80
                                        ; implicit-def: $vgpr81_vgpr82
	s_waitcnt vmcnt(0) lgkmcnt(0)
	v_mul_f64 v[26:27], v[71:72], v[10:11]
	v_mul_f64 v[28:29], v[73:74], v[10:11]
	;; [unrolled: 1-line block ×4, first 2 shown]
	ds_read_b128 v[14:17], v154 offset:128
	ds_read_b128 v[10:13], v154 offset:144
	ds_write2_b64 v158, v[26:27], v[28:29] offset1:67
	ds_write2_b64 v158, v[30:31], v[32:33] offset0:134 offset1:201
	s_waitcnt lgkmcnt(0)
	s_barrier
	ds_read2_b64 v[38:41], v147 offset1:1
	ds_read2_b64 v[34:37], v147 offset0:2 offset1:3
	v_add_co_u32_e32 v26, vcc, v133, v150
	v_addc_co_u32_e32 v27, vcc, v134, v151, vcc
	s_and_b64 vcc, exec, s[4:5]
	s_waitcnt lgkmcnt(0)
	s_barrier
	s_cbranch_vccnz .LBB166_112
; %bb.103:                              ;   in Loop: Header=BB166_78 Depth=1
	v_mov_b32_e32 v79, 0
	v_mov_b32_e32 v81, 0
	;; [unrolled: 1-line block ×4, first 2 shown]
	v_cmp_gt_i32_e32 vcc, s16, v166
	s_and_saveexec_b64 s[14:15], vcc
	s_cbranch_execz .LBB166_105
; %bb.104:                              ;   in Loop: Header=BB166_78 Depth=1
	flat_load_dwordx2 v[81:82], v[26:27]
.LBB166_105:                            ;   in Loop: Header=BB166_78 Depth=1
	s_or_b64 exec, exec, s[14:15]
	v_cmp_gt_i32_e32 vcc, s16, v167
	s_and_saveexec_b64 s[14:15], vcc
	s_cbranch_execz .LBB166_107
; %bb.106:                              ;   in Loop: Header=BB166_78 Depth=1
	v_add_co_u32_e32 v28, vcc, v131, v150
	v_addc_co_u32_e32 v29, vcc, v132, v151, vcc
	flat_load_dwordx2 v[79:80], v[28:29]
.LBB166_107:                            ;   in Loop: Header=BB166_78 Depth=1
	s_or_b64 exec, exec, s[14:15]
	v_mov_b32_e32 v83, 0
	v_mov_b32_e32 v85, 0
	;; [unrolled: 1-line block ×4, first 2 shown]
	v_cmp_gt_i32_e32 vcc, s16, v168
	s_and_saveexec_b64 s[14:15], vcc
	s_cbranch_execz .LBB166_109
; %bb.108:                              ;   in Loop: Header=BB166_78 Depth=1
	v_add_co_u32_e32 v28, vcc, v135, v150
	v_addc_co_u32_e32 v29, vcc, v136, v151, vcc
	flat_load_dwordx2 v[85:86], v[28:29]
.LBB166_109:                            ;   in Loop: Header=BB166_78 Depth=1
	s_or_b64 exec, exec, s[14:15]
	v_cmp_gt_i32_e32 vcc, s16, v169
	s_and_saveexec_b64 s[14:15], vcc
	s_cbranch_execz .LBB166_111
; %bb.110:                              ;   in Loop: Header=BB166_78 Depth=1
	v_add_co_u32_e32 v28, vcc, v137, v150
	v_addc_co_u32_e32 v29, vcc, v138, v151, vcc
	flat_load_dwordx2 v[83:84], v[28:29]
.LBB166_111:                            ;   in Loop: Header=BB166_78 Depth=1
	s_or_b64 exec, exec, s[14:15]
	s_mov_b64 s[14:15], 0
.LBB166_112:                            ;   in Loop: Header=BB166_78 Depth=1
	s_and_b64 vcc, exec, s[14:15]
	s_cbranch_vccz .LBB166_114
; %bb.113:                              ;   in Loop: Header=BB166_78 Depth=1
	s_waitcnt vmcnt(0) lgkmcnt(0)
	flat_load_dwordx2 v[81:82], v[26:27]
	v_add_co_u32_e32 v26, vcc, v131, v150
	v_addc_co_u32_e32 v27, vcc, v132, v151, vcc
	flat_load_dwordx2 v[79:80], v[26:27]
	v_add_co_u32_e32 v26, vcc, v127, v150
	v_addc_co_u32_e32 v27, vcc, v128, v151, vcc
	;; [unrolled: 3-line block ×3, first 2 shown]
	flat_load_dwordx2 v[83:84], v[26:27]
.LBB166_114:                            ;   in Loop: Header=BB166_78 Depth=1
	ds_read_b64 v[26:27], v157
                                        ; implicit-def: $vgpr91_vgpr92
                                        ; implicit-def: $vgpr93_vgpr94
                                        ; implicit-def: $vgpr87_vgpr88
                                        ; implicit-def: $vgpr89_vgpr90
	s_waitcnt vmcnt(0) lgkmcnt(0)
	v_mul_f64 v[42:43], v[81:82], v[26:27]
	v_mul_f64 v[44:45], v[79:80], v[26:27]
	;; [unrolled: 1-line block ×4, first 2 shown]
	ds_read_b128 v[30:33], v154 offset:256
	ds_read_b128 v[26:29], v154 offset:272
	ds_write2_b64 v158, v[42:43], v[44:45] offset1:67
	ds_write2_b64 v158, v[46:47], v[48:49] offset0:134 offset1:201
	s_waitcnt lgkmcnt(0)
	s_barrier
	ds_read2_b64 v[54:57], v147 offset1:1
	ds_read2_b64 v[50:53], v147 offset0:2 offset1:3
	v_add_co_u32_e32 v42, vcc, v101, v152
	v_addc_co_u32_e32 v43, vcc, v102, v153, vcc
	s_and_b64 vcc, exec, s[4:5]
	s_mov_b64 s[4:5], -1
	s_waitcnt lgkmcnt(0)
	s_barrier
	s_cbranch_vccnz .LBB166_124
; %bb.115:                              ;   in Loop: Header=BB166_78 Depth=1
	v_mov_b32_e32 v87, 0
	v_mov_b32_e32 v89, 0
	;; [unrolled: 1-line block ×4, first 2 shown]
	v_cmp_gt_i32_e32 vcc, s16, v170
	s_and_saveexec_b64 s[4:5], vcc
	s_cbranch_execz .LBB166_117
; %bb.116:                              ;   in Loop: Header=BB166_78 Depth=1
	flat_load_dwordx2 v[89:90], v[42:43]
.LBB166_117:                            ;   in Loop: Header=BB166_78 Depth=1
	s_or_b64 exec, exec, s[4:5]
	v_cmp_gt_i32_e32 vcc, s16, v171
	s_and_saveexec_b64 s[4:5], vcc
	s_cbranch_execz .LBB166_119
; %bb.118:                              ;   in Loop: Header=BB166_78 Depth=1
	v_add_co_u32_e32 v44, vcc, v141, v152
	v_addc_co_u32_e32 v45, vcc, v142, v153, vcc
	flat_load_dwordx2 v[87:88], v[44:45]
.LBB166_119:                            ;   in Loop: Header=BB166_78 Depth=1
	s_or_b64 exec, exec, s[4:5]
	v_mov_b32_e32 v91, 0
	v_mov_b32_e32 v93, 0
	;; [unrolled: 1-line block ×4, first 2 shown]
	v_cmp_gt_i32_e32 vcc, s16, v172
	s_and_saveexec_b64 s[4:5], vcc
	s_cbranch_execz .LBB166_121
; %bb.120:                              ;   in Loop: Header=BB166_78 Depth=1
	v_add_co_u32_e32 v44, vcc, v143, v152
	v_addc_co_u32_e32 v45, vcc, v144, v153, vcc
	flat_load_dwordx2 v[93:94], v[44:45]
.LBB166_121:                            ;   in Loop: Header=BB166_78 Depth=1
	s_or_b64 exec, exec, s[4:5]
	v_cmp_gt_i32_e32 vcc, s16, v173
	s_and_saveexec_b64 s[4:5], vcc
	s_cbranch_execz .LBB166_123
; %bb.122:                              ;   in Loop: Header=BB166_78 Depth=1
	v_add_co_u32_e32 v44, vcc, v145, v152
	v_addc_co_u32_e32 v45, vcc, v146, v153, vcc
	flat_load_dwordx2 v[91:92], v[44:45]
.LBB166_123:                            ;   in Loop: Header=BB166_78 Depth=1
	s_or_b64 exec, exec, s[4:5]
	s_mov_b64 s[4:5], 0
.LBB166_124:                            ;   in Loop: Header=BB166_78 Depth=1
	s_and_b64 vcc, exec, s[4:5]
	s_cbranch_vccz .LBB166_126
; %bb.125:                              ;   in Loop: Header=BB166_78 Depth=1
	s_waitcnt vmcnt(0) lgkmcnt(0)
	flat_load_dwordx2 v[89:90], v[42:43]
	v_add_co_u32_e32 v42, vcc, v141, v152
	v_addc_co_u32_e32 v43, vcc, v142, v153, vcc
	flat_load_dwordx2 v[87:88], v[42:43]
	v_add_co_u32_e32 v42, vcc, v139, v152
	v_addc_co_u32_e32 v43, vcc, v140, v153, vcc
	;; [unrolled: 3-line block ×3, first 2 shown]
	flat_load_dwordx2 v[91:92], v[42:43]
.LBB166_126:                            ;   in Loop: Header=BB166_78 Depth=1
	ds_read_b64 v[42:43], v157
	v_add_f64 v[38:39], v[38:39], 0
	v_add_f64 v[22:23], v[22:23], 0
	;; [unrolled: 1-line block ×3, first 2 shown]
	v_cmp_gt_i32_e32 vcc, s16, v0
	s_waitcnt vmcnt(0) lgkmcnt(0)
	v_mul_f64 v[174:175], v[89:90], v[42:43]
	v_mul_f64 v[176:177], v[87:88], v[42:43]
	;; [unrolled: 1-line block ×4, first 2 shown]
	ds_read_b128 v[46:49], v154 offset:384
	ds_read_b128 v[42:45], v154 offset:400
	v_add_f64 v[38:39], v[38:39], v[40:41]
	v_add_f64 v[22:23], v[22:23], v[24:25]
	;; [unrolled: 1-line block ×3, first 2 shown]
	ds_write2_b64 v158, v[174:175], v[176:177] offset1:67
	ds_write2_b64 v158, v[178:179], v[180:181] offset0:134 offset1:201
	s_waitcnt lgkmcnt(0)
	s_barrier
	ds_read2_b64 v[174:177], v147 offset1:1
	ds_read2_b64 v[178:181], v147 offset0:2 offset1:3
	v_add_f64 v[34:35], v[38:39], v[34:35]
	v_add_f64 v[18:19], v[22:23], v[18:19]
	v_add_f64 v[40:41], v[54:55], v[50:51]
	s_waitcnt lgkmcnt(1)
	v_add_f64 v[174:175], v[174:175], 0
	s_or_b64 s[4:5], s[12:13], vcc
	s_and_b64 s[12:13], s[2:3], s[4:5]
	s_waitcnt lgkmcnt(0)
	s_barrier
	v_add_f64 v[34:35], v[34:35], v[36:37]
	v_add_f64 v[18:19], v[18:19], v[20:21]
	;; [unrolled: 1-line block ×6, first 2 shown]
	ds_write2_b64 v155, v[18:19], v[34:35] offset1:16
	ds_write2_b64 v155, v[24:25], v[20:21] offset0:32 offset1:48
	s_waitcnt lgkmcnt(0)
	s_barrier
	s_and_saveexec_b64 s[4:5], s[12:13]
	s_cbranch_execz .LBB166_128
; %bb.127:                              ;   in Loop: Header=BB166_78 Depth=1
	ds_read2_b64 v[18:21], v148 offset1:1
	ds_read2_b64 v[22:25], v148 offset0:2 offset1:3
	v_ashrrev_i32_e32 v62, 31, v61
	s_waitcnt lgkmcnt(1)
	v_add_f64 v[18:19], v[18:19], v[20:21]
	s_waitcnt lgkmcnt(0)
	v_add_f64 v[18:19], v[18:19], v[22:23]
	v_add_f64 v[34:35], v[18:19], v[24:25]
	ds_read2_b64 v[18:21], v148 offset0:4 offset1:5
	ds_read2_b64 v[22:25], v148 offset0:6 offset1:7
	s_waitcnt lgkmcnt(1)
	v_add_f64 v[18:19], v[34:35], v[18:19]
	v_add_f64 v[18:19], v[18:19], v[20:21]
	s_waitcnt lgkmcnt(0)
	v_add_f64 v[18:19], v[18:19], v[22:23]
	v_add_f64 v[34:35], v[18:19], v[24:25]
	ds_read2_b64 v[18:21], v148 offset0:8 offset1:9
	ds_read2_b64 v[22:25], v148 offset0:10 offset1:11
	s_waitcnt lgkmcnt(1)
	v_add_f64 v[18:19], v[34:35], v[18:19]
	v_add_f64 v[18:19], v[18:19], v[20:21]
	s_waitcnt lgkmcnt(0)
	v_add_f64 v[18:19], v[18:19], v[22:23]
	v_add_f64 v[22:23], v[18:19], v[24:25]
	ds_read2_b64 v[18:21], v148 offset0:12 offset1:13
	ds_read_b64 v[24:25], v148 offset:112
	s_waitcnt lgkmcnt(1)
	v_add_f64 v[18:19], v[22:23], v[18:19]
	v_mov_b32_e32 v22, s24
	v_add_f64 v[18:19], v[18:19], v[20:21]
	ds_read_b64 v[20:21], v149
	s_waitcnt lgkmcnt(1)
	v_add_f64 v[18:19], v[18:19], v[24:25]
	s_waitcnt lgkmcnt(0)
	v_add_f64 v[18:19], v[18:19], v[20:21]
	v_lshlrev_b64 v[20:21], 3, v[61:62]
	v_add_co_u32_e32 v20, vcc, s19, v20
	v_addc_co_u32_e32 v21, vcc, v22, v21, vcc
	global_store_dwordx2 v[20:21], v[18:19], off
.LBB166_128:                            ;   in Loop: Header=BB166_78 Depth=1
	s_or_b64 exec, exec, s[4:5]
	v_fma_f64 v[6:7], v[63:64], v[6:7], v[59:60]
	v_add_co_u32_e32 v105, vcc, s10, v105
	s_add_i32 s4, s6, 1
	s_add_i32 s8, s8, s27
	;; [unrolled: 1-line block ×3, first 2 shown]
	v_add_u32_e32 v61, 64, v61
	s_cmp_ge_u32 s5, s7
	v_fma_f64 v[6:7], v[65:66], v[8:9], v[6:7]
	s_waitcnt vmcnt(0)
	s_barrier
	v_fma_f64 v[2:3], v[69:70], v[2:3], v[6:7]
	v_fma_f64 v[2:3], v[67:68], v[4:5], v[2:3]
	v_mov_b32_e32 v4, s11
	v_addc_co_u32_e32 v106, vcc, v106, v4, vcc
	v_add_co_u32_e32 v107, vcc, s10, v107
	v_addc_co_u32_e32 v108, vcc, v108, v4, vcc
	v_fma_f64 v[2:3], v[71:72], v[14:15], v[2:3]
	v_add_co_u32_e32 v109, vcc, s10, v109
	v_addc_co_u32_e32 v110, vcc, v110, v4, vcc
	v_add_co_u32_e32 v103, vcc, s10, v103
	v_addc_co_u32_e32 v104, vcc, v104, v4, vcc
	v_fma_f64 v[2:3], v[73:74], v[16:17], v[2:3]
	v_add_co_u32_e32 v111, vcc, s10, v111
	;; [unrolled: 5-line block ×11, first 2 shown]
	v_addc_co_u32_e32 v144, vcc, v144, v4, vcc
	v_add_co_u32_e32 v145, vcc, s10, v145
	v_addc_co_u32_e32 v146, vcc, v146, v4, vcc
	v_fma_f64 v[59:60], v[91:92], v[44:45], v[2:3]
	s_cbranch_scc0 .LBB166_74
.LBB166_129:
	s_movk_i32 s2, 0x218
	v_cmp_gt_i32_e32 vcc, s18, v0
	v_mad_u32_u24 v1, v1, s2, v95
	s_or_b64 s[2:3], s[20:21], vcc
	s_and_b64 s[0:1], s[0:1], s[2:3]
	ds_write_b64 v1, v[59:60]
	s_waitcnt lgkmcnt(0)
	s_barrier
	s_and_saveexec_b64 s[2:3], s[0:1]
	s_cbranch_execz .LBB166_4
; %bb.130:
	ds_read2_b64 v[0:3], v95 offset1:67
	v_ashrrev_i32_e32 v59, 31, v58
	s_waitcnt lgkmcnt(0)
	v_add_f64 v[4:5], v[0:1], v[2:3]
	ds_read2_b64 v[0:3], v95 offset0:134 offset1:201
	s_waitcnt lgkmcnt(0)
	v_add_f64 v[0:1], v[4:5], v[0:1]
	v_mov_b32_e32 v4, s24
	v_add_f64 v[0:1], v[0:1], v[2:3]
	v_lshlrev_b64 v[2:3], 3, v[58:59]
	v_add_co_u32_e32 v2, vcc, s19, v2
	v_addc_co_u32_e32 v3, vcc, v4, v3, vcc
	global_store_dwordx2 v[2:3], v[0:1], off
	s_endpgm
	.section	.rodata,"a",@progbits
	.p2align	6, 0x0
	.amdhsa_kernel _ZL26rocblas_hemvn_kernel_upperILb0ELi64ELi4ELi33ELi32ELi16EidPKPKdPdEviT6_lT7_lT5_lS6_lS7_lS5_lT8_i
		.amdhsa_group_segment_fixed_size 9600
		.amdhsa_private_segment_fixed_size 0
		.amdhsa_kernarg_size 376
		.amdhsa_user_sgpr_count 6
		.amdhsa_user_sgpr_private_segment_buffer 1
		.amdhsa_user_sgpr_dispatch_ptr 0
		.amdhsa_user_sgpr_queue_ptr 0
		.amdhsa_user_sgpr_kernarg_segment_ptr 1
		.amdhsa_user_sgpr_dispatch_id 0
		.amdhsa_user_sgpr_flat_scratch_init 0
		.amdhsa_user_sgpr_private_segment_size 0
		.amdhsa_uses_dynamic_stack 0
		.amdhsa_system_sgpr_private_segment_wavefront_offset 0
		.amdhsa_system_sgpr_workgroup_id_x 1
		.amdhsa_system_sgpr_workgroup_id_y 0
		.amdhsa_system_sgpr_workgroup_id_z 1
		.amdhsa_system_sgpr_workgroup_info 0
		.amdhsa_system_vgpr_workitem_id 1
		.amdhsa_next_free_vgpr 182
		.amdhsa_next_free_sgpr 93
		.amdhsa_reserve_vcc 1
		.amdhsa_reserve_flat_scratch 0
		.amdhsa_float_round_mode_32 0
		.amdhsa_float_round_mode_16_64 0
		.amdhsa_float_denorm_mode_32 3
		.amdhsa_float_denorm_mode_16_64 3
		.amdhsa_dx10_clamp 1
		.amdhsa_ieee_mode 1
		.amdhsa_fp16_overflow 0
		.amdhsa_exception_fp_ieee_invalid_op 0
		.amdhsa_exception_fp_denorm_src 0
		.amdhsa_exception_fp_ieee_div_zero 0
		.amdhsa_exception_fp_ieee_overflow 0
		.amdhsa_exception_fp_ieee_underflow 0
		.amdhsa_exception_fp_ieee_inexact 0
		.amdhsa_exception_int_div_zero 0
	.end_amdhsa_kernel
	.section	.text._ZL26rocblas_hemvn_kernel_upperILb0ELi64ELi4ELi33ELi32ELi16EidPKPKdPdEviT6_lT7_lT5_lS6_lS7_lS5_lT8_i,"axG",@progbits,_ZL26rocblas_hemvn_kernel_upperILb0ELi64ELi4ELi33ELi32ELi16EidPKPKdPdEviT6_lT7_lT5_lS6_lS7_lS5_lT8_i,comdat
.Lfunc_end166:
	.size	_ZL26rocblas_hemvn_kernel_upperILb0ELi64ELi4ELi33ELi32ELi16EidPKPKdPdEviT6_lT7_lT5_lS6_lS7_lS5_lT8_i, .Lfunc_end166-_ZL26rocblas_hemvn_kernel_upperILb0ELi64ELi4ELi33ELi32ELi16EidPKPKdPdEviT6_lT7_lT5_lS6_lS7_lS5_lT8_i
                                        ; -- End function
	.set _ZL26rocblas_hemvn_kernel_upperILb0ELi64ELi4ELi33ELi32ELi16EidPKPKdPdEviT6_lT7_lT5_lS6_lS7_lS5_lT8_i.num_vgpr, 182
	.set _ZL26rocblas_hemvn_kernel_upperILb0ELi64ELi4ELi33ELi32ELi16EidPKPKdPdEviT6_lT7_lT5_lS6_lS7_lS5_lT8_i.num_agpr, 0
	.set _ZL26rocblas_hemvn_kernel_upperILb0ELi64ELi4ELi33ELi32ELi16EidPKPKdPdEviT6_lT7_lT5_lS6_lS7_lS5_lT8_i.numbered_sgpr, 59
	.set _ZL26rocblas_hemvn_kernel_upperILb0ELi64ELi4ELi33ELi32ELi16EidPKPKdPdEviT6_lT7_lT5_lS6_lS7_lS5_lT8_i.num_named_barrier, 0
	.set _ZL26rocblas_hemvn_kernel_upperILb0ELi64ELi4ELi33ELi32ELi16EidPKPKdPdEviT6_lT7_lT5_lS6_lS7_lS5_lT8_i.private_seg_size, 0
	.set _ZL26rocblas_hemvn_kernel_upperILb0ELi64ELi4ELi33ELi32ELi16EidPKPKdPdEviT6_lT7_lT5_lS6_lS7_lS5_lT8_i.uses_vcc, 1
	.set _ZL26rocblas_hemvn_kernel_upperILb0ELi64ELi4ELi33ELi32ELi16EidPKPKdPdEviT6_lT7_lT5_lS6_lS7_lS5_lT8_i.uses_flat_scratch, 0
	.set _ZL26rocblas_hemvn_kernel_upperILb0ELi64ELi4ELi33ELi32ELi16EidPKPKdPdEviT6_lT7_lT5_lS6_lS7_lS5_lT8_i.has_dyn_sized_stack, 0
	.set _ZL26rocblas_hemvn_kernel_upperILb0ELi64ELi4ELi33ELi32ELi16EidPKPKdPdEviT6_lT7_lT5_lS6_lS7_lS5_lT8_i.has_recursion, 0
	.set _ZL26rocblas_hemvn_kernel_upperILb0ELi64ELi4ELi33ELi32ELi16EidPKPKdPdEviT6_lT7_lT5_lS6_lS7_lS5_lT8_i.has_indirect_call, 0
	.section	.AMDGPU.csdata,"",@progbits
; Kernel info:
; codeLenInByte = 7312
; TotalNumSgprs: 63
; NumVgprs: 182
; ScratchSize: 0
; MemoryBound: 0
; FloatMode: 240
; IeeeMode: 1
; LDSByteSize: 9600 bytes/workgroup (compile time only)
; SGPRBlocks: 12
; VGPRBlocks: 45
; NumSGPRsForWavesPerEU: 97
; NumVGPRsForWavesPerEU: 182
; Occupancy: 1
; WaveLimiterHint : 1
; COMPUTE_PGM_RSRC2:SCRATCH_EN: 0
; COMPUTE_PGM_RSRC2:USER_SGPR: 6
; COMPUTE_PGM_RSRC2:TRAP_HANDLER: 0
; COMPUTE_PGM_RSRC2:TGID_X_EN: 1
; COMPUTE_PGM_RSRC2:TGID_Y_EN: 0
; COMPUTE_PGM_RSRC2:TGID_Z_EN: 1
; COMPUTE_PGM_RSRC2:TIDIG_COMP_CNT: 1
	.section	.text._ZL36rocblas_hemvn_kernel_upper_block_sumILi64EidPKPddEviT1_lS3_lT2_lT0_lPT3_i,"axG",@progbits,_ZL36rocblas_hemvn_kernel_upper_block_sumILi64EidPKPddEviT1_lS3_lT2_lT0_lPT3_i,comdat
	.globl	_ZL36rocblas_hemvn_kernel_upper_block_sumILi64EidPKPddEviT1_lS3_lT2_lT0_lPT3_i ; -- Begin function _ZL36rocblas_hemvn_kernel_upper_block_sumILi64EidPKPddEviT1_lS3_lT2_lT0_lPT3_i
	.p2align	8
	.type	_ZL36rocblas_hemvn_kernel_upper_block_sumILi64EidPKPddEviT1_lS3_lT2_lT0_lPT3_i,@function
_ZL36rocblas_hemvn_kernel_upper_block_sumILi64EidPKPddEviT1_lS3_lT2_lT0_lPT3_i: ; @_ZL36rocblas_hemvn_kernel_upper_block_sumILi64EidPKPddEviT1_lS3_lT2_lT0_lPT3_i
; %bb.0:
	s_load_dwordx2 s[2:3], s[4:5], 0x8
	s_load_dwordx2 s[8:9], s[4:5], 0x18
	s_waitcnt lgkmcnt(0)
	v_cmp_eq_f64_e64 s[0:1], s[2:3], 0
	v_cmp_eq_f64_e64 s[10:11], s[8:9], 1.0
	s_and_b64 s[0:1], s[0:1], s[10:11]
	s_and_b64 vcc, exec, s[0:1]
	s_cbranch_vccnz .LBB167_19
; %bb.1:
	s_load_dwordx4 s[16:19], s[4:5], 0x28
	s_load_dword s20, s[4:5], 0x38
	s_load_dword s12, s[4:5], 0x0
	s_mov_b32 s14, s7
	s_mov_b32 s15, 0
	s_lshl_b64 s[0:1], s[14:15], 3
	s_waitcnt lgkmcnt(0)
	s_add_u32 s0, s16, s0
	s_addc_u32 s1, s17, s1
	v_cmp_neq_f64_e64 s[16:17], s[2:3], 0
	s_load_dwordx2 s[0:1], s[0:1], 0x0
	s_lshl_b64 s[18:19], s[18:19], 3
	v_lshl_or_b32 v0, s6, 6, v0
	s_mov_b64 s[10:11], 0
	s_waitcnt lgkmcnt(0)
	s_add_u32 s7, s0, s18
	s_addc_u32 s15, s1, s19
	s_and_b64 vcc, exec, s[16:17]
	v_cmp_gt_i32_e64 s[0:1], s12, v0
	s_cbranch_vccnz .LBB167_6
; %bb.2:
	s_mov_b64 s[16:17], 0
                                        ; implicit-def: $vgpr3_vgpr4
                                        ; implicit-def: $vgpr1_vgpr2
	s_and_saveexec_b64 s[18:19], s[0:1]
	s_cbranch_execz .LBB167_7
; %bb.3:
	v_cmp_eq_f64_e64 s[0:1], s[8:9], 0
	v_mul_lo_u32 v1, s20, v0
	v_mov_b32_e32 v3, 0
	v_mov_b32_e32 v4, 0
	v_ashrrev_i32_e32 v2, 31, v1
	s_and_b64 vcc, exec, s[0:1]
	s_cbranch_vccnz .LBB167_5
; %bb.4:
	v_lshlrev_b64 v[3:4], 3, v[1:2]
	v_mov_b32_e32 v5, s15
	v_add_co_u32_e32 v3, vcc, s7, v3
	v_addc_co_u32_e32 v4, vcc, v5, v4, vcc
	flat_load_dwordx2 v[3:4], v[3:4]
	s_waitcnt vmcnt(0) lgkmcnt(0)
	v_mul_f64 v[3:4], s[8:9], v[3:4]
.LBB167_5:
	s_mov_b64 s[10:11], exec
	s_or_b64 exec, exec, s[18:19]
	s_and_b64 vcc, exec, s[16:17]
	s_cbranch_vccnz .LBB167_8
	s_branch .LBB167_17
.LBB167_6:
                                        ; implicit-def: $vgpr3_vgpr4
                                        ; implicit-def: $vgpr1_vgpr2
	s_cbranch_execnz .LBB167_8
	s_branch .LBB167_17
.LBB167_7:
	s_or_b64 exec, exec, s[18:19]
	s_and_b64 vcc, exec, s[16:17]
	s_cbranch_vccz .LBB167_17
.LBB167_8:
	v_cmp_gt_i32_e32 vcc, s12, v0
                                        ; implicit-def: $vgpr3_vgpr4
                                        ; implicit-def: $vgpr1_vgpr2
	s_and_saveexec_b64 s[0:1], vcc
	s_cbranch_execz .LBB167_16
; %bb.9:
	v_mov_b32_e32 v5, 0
	v_mov_b32_e32 v6, 0
	s_cmp_lt_i32 s6, 0
	s_cbranch_scc1 .LBB167_12
; %bb.10:
	s_load_dwordx2 s[16:17], s[4:5], 0x48
	s_load_dword s18, s[4:5], 0x58
	s_ashr_i32 s13, s12, 31
	s_mul_hi_u32 s4, s12, s14
	s_mul_i32 s5, s13, s14
	s_add_i32 s4, s4, s5
	s_mul_i32 s14, s12, s14
	s_waitcnt lgkmcnt(0)
	s_mul_i32 s4, s4, s18
	s_mul_hi_u32 s5, s14, s18
	s_add_i32 s5, s5, s4
	s_mul_i32 s4, s14, s18
	s_lshl_b64 s[4:5], s[4:5], 3
	v_mov_b32_e32 v1, 0
	s_add_u32 s4, s16, s4
	v_lshlrev_b64 v[1:2], 3, v[0:1]
	s_addc_u32 s5, s17, s5
	v_mov_b32_e32 v3, s5
	v_add_co_u32_e32 v1, vcc, s4, v1
	s_lshl_b64 s[4:5], s[12:13], 3
	v_mov_b32_e32 v5, 0
	v_addc_co_u32_e32 v2, vcc, v3, v2, vcc
	s_add_i32 s6, s6, 1
	v_mov_b32_e32 v6, 0
	v_mov_b32_e32 v3, s5
.LBB167_11:                             ; =>This Inner Loop Header: Depth=1
	global_load_dwordx2 v[7:8], v[1:2], off
	s_add_i32 s6, s6, -1
	v_add_co_u32_e32 v1, vcc, s4, v1
	s_cmp_eq_u32 s6, 0
	v_addc_co_u32_e32 v2, vcc, v2, v3, vcc
	s_waitcnt vmcnt(0)
	v_add_f64 v[5:6], v[5:6], v[7:8]
	s_cbranch_scc0 .LBB167_11
.LBB167_12:
	v_cmp_eq_f64_e64 s[12:13], s[8:9], 0
	v_mul_lo_u32 v1, s20, v0
	s_mov_b64 s[4:5], 0
	v_ashrrev_i32_e32 v2, 31, v1
	s_and_b64 vcc, exec, s[12:13]
	s_cbranch_vccz .LBB167_20
; %bb.13:
	v_mul_f64 v[3:4], s[2:3], v[5:6]
	s_andn2_b64 vcc, exec, s[4:5]
	s_cbranch_vccnz .LBB167_15
.LBB167_14:
	v_lshlrev_b64 v[3:4], 3, v[1:2]
	v_mov_b32_e32 v0, s15
	v_add_co_u32_e32 v3, vcc, s7, v3
	v_addc_co_u32_e32 v4, vcc, v0, v4, vcc
	flat_load_dwordx2 v[3:4], v[3:4]
	s_waitcnt vmcnt(0) lgkmcnt(0)
	v_mul_f64 v[3:4], s[8:9], v[3:4]
	v_fma_f64 v[3:4], s[2:3], v[5:6], v[3:4]
.LBB167_15:
	s_or_b64 s[10:11], s[10:11], exec
.LBB167_16:
	s_or_b64 exec, exec, s[0:1]
.LBB167_17:
	s_and_saveexec_b64 s[0:1], s[10:11]
	s_cbranch_execz .LBB167_19
; %bb.18:
	v_lshlrev_b64 v[0:1], 3, v[1:2]
	v_mov_b32_e32 v2, s15
	v_add_co_u32_e32 v0, vcc, s7, v0
	v_addc_co_u32_e32 v1, vcc, v2, v1, vcc
	flat_store_dwordx2 v[0:1], v[3:4]
.LBB167_19:
	s_endpgm
.LBB167_20:
                                        ; implicit-def: $vgpr3_vgpr4
	s_branch .LBB167_14
	.section	.rodata,"a",@progbits
	.p2align	6, 0x0
	.amdhsa_kernel _ZL36rocblas_hemvn_kernel_upper_block_sumILi64EidPKPddEviT1_lS3_lT2_lT0_lPT3_i
		.amdhsa_group_segment_fixed_size 0
		.amdhsa_private_segment_fixed_size 0
		.amdhsa_kernarg_size 344
		.amdhsa_user_sgpr_count 6
		.amdhsa_user_sgpr_private_segment_buffer 1
		.amdhsa_user_sgpr_dispatch_ptr 0
		.amdhsa_user_sgpr_queue_ptr 0
		.amdhsa_user_sgpr_kernarg_segment_ptr 1
		.amdhsa_user_sgpr_dispatch_id 0
		.amdhsa_user_sgpr_flat_scratch_init 0
		.amdhsa_user_sgpr_private_segment_size 0
		.amdhsa_uses_dynamic_stack 0
		.amdhsa_system_sgpr_private_segment_wavefront_offset 0
		.amdhsa_system_sgpr_workgroup_id_x 1
		.amdhsa_system_sgpr_workgroup_id_y 0
		.amdhsa_system_sgpr_workgroup_id_z 1
		.amdhsa_system_sgpr_workgroup_info 0
		.amdhsa_system_vgpr_workitem_id 0
		.amdhsa_next_free_vgpr 9
		.amdhsa_next_free_sgpr 21
		.amdhsa_reserve_vcc 1
		.amdhsa_reserve_flat_scratch 0
		.amdhsa_float_round_mode_32 0
		.amdhsa_float_round_mode_16_64 0
		.amdhsa_float_denorm_mode_32 3
		.amdhsa_float_denorm_mode_16_64 3
		.amdhsa_dx10_clamp 1
		.amdhsa_ieee_mode 1
		.amdhsa_fp16_overflow 0
		.amdhsa_exception_fp_ieee_invalid_op 0
		.amdhsa_exception_fp_denorm_src 0
		.amdhsa_exception_fp_ieee_div_zero 0
		.amdhsa_exception_fp_ieee_overflow 0
		.amdhsa_exception_fp_ieee_underflow 0
		.amdhsa_exception_fp_ieee_inexact 0
		.amdhsa_exception_int_div_zero 0
	.end_amdhsa_kernel
	.section	.text._ZL36rocblas_hemvn_kernel_upper_block_sumILi64EidPKPddEviT1_lS3_lT2_lT0_lPT3_i,"axG",@progbits,_ZL36rocblas_hemvn_kernel_upper_block_sumILi64EidPKPddEviT1_lS3_lT2_lT0_lPT3_i,comdat
.Lfunc_end167:
	.size	_ZL36rocblas_hemvn_kernel_upper_block_sumILi64EidPKPddEviT1_lS3_lT2_lT0_lPT3_i, .Lfunc_end167-_ZL36rocblas_hemvn_kernel_upper_block_sumILi64EidPKPddEviT1_lS3_lT2_lT0_lPT3_i
                                        ; -- End function
	.set _ZL36rocblas_hemvn_kernel_upper_block_sumILi64EidPKPddEviT1_lS3_lT2_lT0_lPT3_i.num_vgpr, 9
	.set _ZL36rocblas_hemvn_kernel_upper_block_sumILi64EidPKPddEviT1_lS3_lT2_lT0_lPT3_i.num_agpr, 0
	.set _ZL36rocblas_hemvn_kernel_upper_block_sumILi64EidPKPddEviT1_lS3_lT2_lT0_lPT3_i.numbered_sgpr, 21
	.set _ZL36rocblas_hemvn_kernel_upper_block_sumILi64EidPKPddEviT1_lS3_lT2_lT0_lPT3_i.num_named_barrier, 0
	.set _ZL36rocblas_hemvn_kernel_upper_block_sumILi64EidPKPddEviT1_lS3_lT2_lT0_lPT3_i.private_seg_size, 0
	.set _ZL36rocblas_hemvn_kernel_upper_block_sumILi64EidPKPddEviT1_lS3_lT2_lT0_lPT3_i.uses_vcc, 1
	.set _ZL36rocblas_hemvn_kernel_upper_block_sumILi64EidPKPddEviT1_lS3_lT2_lT0_lPT3_i.uses_flat_scratch, 0
	.set _ZL36rocblas_hemvn_kernel_upper_block_sumILi64EidPKPddEviT1_lS3_lT2_lT0_lPT3_i.has_dyn_sized_stack, 0
	.set _ZL36rocblas_hemvn_kernel_upper_block_sumILi64EidPKPddEviT1_lS3_lT2_lT0_lPT3_i.has_recursion, 0
	.set _ZL36rocblas_hemvn_kernel_upper_block_sumILi64EidPKPddEviT1_lS3_lT2_lT0_lPT3_i.has_indirect_call, 0
	.section	.AMDGPU.csdata,"",@progbits
; Kernel info:
; codeLenInByte = 612
; TotalNumSgprs: 25
; NumVgprs: 9
; ScratchSize: 0
; MemoryBound: 0
; FloatMode: 240
; IeeeMode: 1
; LDSByteSize: 0 bytes/workgroup (compile time only)
; SGPRBlocks: 3
; VGPRBlocks: 2
; NumSGPRsForWavesPerEU: 25
; NumVGPRsForWavesPerEU: 9
; Occupancy: 10
; WaveLimiterHint : 1
; COMPUTE_PGM_RSRC2:SCRATCH_EN: 0
; COMPUTE_PGM_RSRC2:USER_SGPR: 6
; COMPUTE_PGM_RSRC2:TRAP_HANDLER: 0
; COMPUTE_PGM_RSRC2:TGID_X_EN: 1
; COMPUTE_PGM_RSRC2:TGID_Y_EN: 0
; COMPUTE_PGM_RSRC2:TGID_Z_EN: 1
; COMPUTE_PGM_RSRC2:TIDIG_COMP_CNT: 0
	.section	.text._ZL50rocblas_symv_kernel_lower_double_buffered_diagonalILi32ELi4E24rocblas_internal_val_ptrIdEPKPKdPKPdEvbiT1_lT2_lllSA_lllS9_lT3_llli,"axG",@progbits,_ZL50rocblas_symv_kernel_lower_double_buffered_diagonalILi32ELi4E24rocblas_internal_val_ptrIdEPKPKdPKPdEvbiT1_lT2_lllSA_lllS9_lT3_llli,comdat
	.globl	_ZL50rocblas_symv_kernel_lower_double_buffered_diagonalILi32ELi4E24rocblas_internal_val_ptrIdEPKPKdPKPdEvbiT1_lT2_lllSA_lllS9_lT3_llli ; -- Begin function _ZL50rocblas_symv_kernel_lower_double_buffered_diagonalILi32ELi4E24rocblas_internal_val_ptrIdEPKPKdPKPdEvbiT1_lT2_lllSA_lllS9_lT3_llli
	.p2align	8
	.type	_ZL50rocblas_symv_kernel_lower_double_buffered_diagonalILi32ELi4E24rocblas_internal_val_ptrIdEPKPKdPKPdEvbiT1_lT2_lllSA_lllS9_lT3_llli,@function
_ZL50rocblas_symv_kernel_lower_double_buffered_diagonalILi32ELi4E24rocblas_internal_val_ptrIdEPKPKdPKPdEvbiT1_lT2_lllSA_lllS9_lT3_llli: ; @_ZL50rocblas_symv_kernel_lower_double_buffered_diagonalILi32ELi4E24rocblas_internal_val_ptrIdEPKPKdPKPdEvbiT1_lT2_lllSA_lllS9_lT3_llli
; %bb.0:
	s_load_dword s0, s[4:5], 0x0
	s_load_dwordx8 s[8:15], s[4:5], 0x8
	s_mov_b32 s18, s7
	s_waitcnt lgkmcnt(0)
	s_bitcmp1_b32 s0, 0
	s_load_dwordx2 s[16:17], s[4:5], 0x28
	s_load_dwordx4 s[0:3], s[4:5], 0x58
	s_cselect_b64 s[22:23], -1, 0
	v_mov_b32_e32 v2, s8
	s_xor_b64 s[20:21], s[22:23], -1
	s_and_b64 vcc, exec, s[22:23]
	v_mov_b32_e32 v3, s9
	s_cbranch_vccnz .LBB168_2
; %bb.1:
	s_mul_i32 s7, s11, s18
	s_mul_hi_u32 s11, s10, s18
	s_add_i32 s11, s11, s7
	s_mul_i32 s10, s10, s18
	s_lshl_b64 s[10:11], s[10:11], 3
	s_add_u32 s8, s8, s10
	s_addc_u32 s9, s9, s11
	v_mov_b32_e32 v2, s8
	v_mov_b32_e32 v3, s9
	flat_load_dwordx2 v[2:3], v[2:3]
.LBB168_2:
	s_waitcnt lgkmcnt(0)
	v_mov_b32_e32 v5, s1
	s_andn2_b64 vcc, exec, s[20:21]
	v_mov_b32_e32 v4, s0
	s_cbranch_vccnz .LBB168_4
; %bb.3:
	s_mul_i32 s3, s3, s18
	s_mul_hi_u32 s7, s2, s18
	s_add_i32 s3, s7, s3
	s_mul_i32 s2, s2, s18
	s_lshl_b64 s[2:3], s[2:3], 3
	s_add_u32 s0, s0, s2
	s_addc_u32 s1, s1, s3
	v_mov_b32_e32 v5, s1
	v_mov_b32_e32 v4, s0
	flat_load_dwordx2 v[4:5], v[4:5]
.LBB168_4:
	s_waitcnt vmcnt(0)
	v_cmp_neq_f64_e32 vcc, 0, v[2:3]
	s_waitcnt lgkmcnt(0)
	v_cmp_neq_f64_e64 s[0:1], 1.0, v[4:5]
	s_or_b64 s[0:1], vcc, s[0:1]
	s_and_saveexec_b64 s[2:3], s[0:1]
	s_cbranch_execz .LBB168_39
; %bb.5:
	v_cmp_neq_f64_e64 s[0:1], 0, v[2:3]
	v_cmp_eq_f64_e32 vcc, 0, v[2:3]
	s_mov_b32 s19, 0
	v_mov_b32_e32 v6, s18
	v_mov_b32_e32 v7, s19
	s_and_saveexec_b64 s[2:3], vcc
	s_xor_b64 s[2:3], exec, s[2:3]
; %bb.6:
	v_mov_b32_e32 v6, s18
	v_mov_b32_e32 v7, s19
; %bb.7:
	s_or_saveexec_b64 s[8:9], s[2:3]
	s_load_dwordx2 s[2:3], s[4:5], 0x68
	v_mov_b32_e32 v10, 0
	v_mov_b32_e32 v8, 0
	;; [unrolled: 1-line block ×4, first 2 shown]
	s_xor_b64 exec, exec, s[8:9]
	s_cbranch_execz .LBB168_9
; %bb.8:
	s_lshl_b64 s[10:11], s[18:19], 3
	s_add_u32 s10, s12, s10
	s_addc_u32 s11, s13, s11
	s_load_dwordx2 s[10:11], s[10:11], 0x0
	s_lshl_b64 s[12:13], s[14:15], 3
	s_waitcnt lgkmcnt(0)
	s_add_u32 s10, s10, s12
	s_addc_u32 s11, s11, s13
	v_mov_b32_e32 v8, s10
	v_mov_b32_e32 v9, s11
.LBB168_9:
	s_or_b64 exec, exec, s[8:9]
	s_load_dwordx4 s[8:11], s[4:5], 0x38
	s_load_dwordx2 s[12:13], s[4:5], 0x48
	v_lshlrev_b64 v[6:7], 3, v[6:7]
	s_and_saveexec_b64 s[14:15], s[0:1]
	s_cbranch_execz .LBB168_11
; %bb.10:
	s_waitcnt lgkmcnt(0)
	v_mov_b32_e32 v11, s9
	v_add_co_u32_e64 v10, s[0:1], s8, v6
	v_addc_co_u32_e64 v11, s[0:1], v11, v7, s[0:1]
	global_load_dwordx2 v[10:11], v[10:11], off
	s_lshl_b64 s[0:1], s[10:11], 3
	v_mov_b32_e32 v12, s1
	s_waitcnt vmcnt(0)
	v_add_co_u32_e64 v10, s[0:1], s0, v10
	v_addc_co_u32_e64 v11, s[0:1], v11, v12, s[0:1]
.LBB168_11:
	s_or_b64 exec, exec, s[14:15]
	s_waitcnt lgkmcnt(0)
	v_mov_b32_e32 v12, s3
	v_add_co_u32_e64 v6, s[0:1], s2, v6
	v_addc_co_u32_e64 v7, s[0:1], v12, v7, s[0:1]
	global_load_dwordx2 v[6:7], v[6:7], off
	s_load_dwordx4 s[0:3], s[4:5], 0x70
	s_lshl_b32 s8, s6, 5
	s_ashr_i32 s9, s8, 31
	s_waitcnt lgkmcnt(0)
	s_lshl_b64 s[0:1], s[0:1], 3
	s_mul_i32 s5, s2, s9
	s_mul_hi_u32 s6, s2, s8
	s_mul_i32 s7, s3, s8
	v_mov_b32_e32 v12, s1
	s_add_i32 s1, s6, s5
	s_mul_i32 s4, s2, s8
	s_add_i32 s5, s1, s7
	s_lshl_b64 s[4:5], s[4:5], 3
	v_mov_b32_e32 v13, s5
	s_waitcnt vmcnt(0)
	v_add_co_u32_e64 v6, s[0:1], s0, v6
	v_addc_co_u32_e64 v7, s[0:1], v7, v12, s[0:1]
	v_add_co_u32_e64 v12, s[0:1], s4, v6
	v_addc_co_u32_e64 v13, s[0:1], v7, v13, s[0:1]
	s_and_saveexec_b64 s[0:1], vcc
	s_xor_b64 s[0:1], exec, s[0:1]
	s_cbranch_execz .LBB168_15
; %bb.12:
	v_cmp_eq_u32_e32 vcc, 0, v1
	s_and_saveexec_b64 s[4:5], vcc
	s_cbranch_execz .LBB168_14
; %bb.13:
	v_mad_u64_u32 v[1:2], s[6:7], s2, v0, 0
	v_mad_u64_u32 v[2:3], s[6:7], s3, v0, v[2:3]
	v_lshlrev_b64 v[0:1], 3, v[1:2]
	v_add_co_u32_e32 v0, vcc, v12, v0
	v_addc_co_u32_e32 v1, vcc, v13, v1, vcc
	flat_load_dwordx2 v[2:3], v[0:1]
	s_waitcnt vmcnt(0) lgkmcnt(0)
	v_mul_f64 v[2:3], v[4:5], v[2:3]
	flat_store_dwordx2 v[0:1], v[2:3]
.LBB168_14:
	s_or_b64 exec, exec, s[4:5]
                                        ; implicit-def: $vgpr1
                                        ; implicit-def: $vgpr0
                                        ; implicit-def: $vgpr2_vgpr3
                                        ; implicit-def: $vgpr4_vgpr5
                                        ; implicit-def: $vgpr12
                                        ; implicit-def: $vgpr13
                                        ; implicit-def: $vgpr8_vgpr9
                                        ; implicit-def: $vgpr10_vgpr11
.LBB168_15:
	s_andn2_saveexec_b64 s[0:1], s[0:1]
	s_cbranch_execz .LBB168_39
; %bb.16:
	v_mov_b32_e32 v6, 0
	v_mov_b32_e32 v7, 0
	v_cmp_eq_u32_e32 vcc, 0, v1
	s_and_saveexec_b64 s[4:5], vcc
	s_cbranch_execz .LBB168_20
; %bb.17:
	v_cmp_neq_f64_e64 s[0:1], 0, v[4:5]
	v_mov_b32_e32 v6, 0
	v_mov_b32_e32 v7, 0
	s_and_saveexec_b64 s[6:7], s[0:1]
	s_cbranch_execz .LBB168_19
; %bb.18:
	v_mad_u64_u32 v[6:7], s[0:1], s2, v0, 0
	v_mad_u64_u32 v[14:15], s[0:1], s3, v0, v[7:8]
	v_mov_b32_e32 v7, v14
	v_lshlrev_b64 v[6:7], 3, v[6:7]
	v_add_co_u32_e64 v6, s[0:1], v12, v6
	v_addc_co_u32_e64 v7, s[0:1], v13, v7, s[0:1]
	flat_load_dwordx2 v[6:7], v[6:7]
	s_waitcnt vmcnt(0) lgkmcnt(0)
	v_mul_f64 v[6:7], v[4:5], v[6:7]
.LBB168_19:
	s_or_b64 exec, exec, s[6:7]
	v_mad_u64_u32 v[14:15], s[6:7], s12, v0, 0
	s_mul_i32 s0, s12, s9
	s_mul_hi_u32 s1, s12, s8
	s_add_i32 s0, s1, s0
	s_mul_i32 s1, s13, s8
	v_mad_u64_u32 v[15:16], s[6:7], s13, v0, v[15:16]
	s_add_i32 s1, s0, s1
	s_mul_i32 s0, s12, s8
	s_lshl_b64 s[0:1], s[0:1], 3
	v_mov_b32_e32 v17, s1
	v_add_co_u32_e64 v16, s[0:1], s0, v10
	v_addc_co_u32_e64 v17, s[0:1], v11, v17, s[0:1]
	v_lshlrev_b64 v[10:11], 3, v[14:15]
	v_lshlrev_b32_e32 v14, 3, v0
	v_add_co_u32_e64 v10, s[0:1], v16, v10
	v_addc_co_u32_e64 v11, s[0:1], v17, v11, s[0:1]
	flat_load_dwordx2 v[10:11], v[10:11]
	s_waitcnt vmcnt(0) lgkmcnt(0)
	ds_write_b64 v14, v[10:11] offset:10240
.LBB168_20:
	s_or_b64 exec, exec, s[4:5]
	s_add_u32 s0, s16, 1
	s_addc_u32 s1, s17, 0
	s_mul_i32 s4, s0, s9
	s_mul_hi_u32 s5, s0, s8
	s_add_i32 s4, s5, s4
	s_mul_i32 s1, s1, s8
	s_add_i32 s1, s4, s1
	v_mad_u64_u32 v[10:11], s[4:5], s16, v1, 0
	s_mul_i32 s0, s0, s8
	s_lshl_b64 s[0:1], s[0:1], 3
	v_mad_u64_u32 v[14:15], s[4:5], s17, v1, v[11:12]
	v_mov_b32_e32 v16, s1
	v_add_co_u32_e64 v15, s[0:1], s0, v8
	v_mov_b32_e32 v11, v14
	v_addc_co_u32_e64 v16, s[0:1], v9, v16, s[0:1]
	v_lshlrev_b64 v[8:9], 3, v[10:11]
	v_lshlrev_b32_e32 v10, 3, v0
	v_add_co_u32_e64 v8, s[0:1], v15, v8
	v_addc_co_u32_e64 v9, s[0:1], v16, v9, s[0:1]
	v_add_co_u32_e64 v14, s[0:1], v8, v10
	v_addc_co_u32_e64 v15, s[0:1], 0, v9, s[0:1]
	s_lshl_b64 s[4:5], s[16:17], 5
	v_mov_b32_e32 v9, s5
	v_add_co_u32_e64 v16, s[0:1], s4, v14
	v_addc_co_u32_e64 v17, s[0:1], v15, v9, s[0:1]
	v_add_co_u32_e64 v18, s[0:1], s4, v16
	v_addc_co_u32_e64 v19, s[0:1], v17, v9, s[0:1]
	v_add_co_u32_e64 v8, s[0:1], s4, v18
	v_addc_co_u32_e64 v9, s[0:1], v19, v9, s[0:1]
	flat_load_dwordx2 v[20:21], v[14:15]
	flat_load_dwordx2 v[22:23], v[16:17]
	;; [unrolled: 1-line block ×4, first 2 shown]
	v_lshlrev_b32_e32 v11, 8, v1
	v_add_u32_e32 v14, v10, v11
	v_add_u32_e32 v15, 0x400, v11
	;; [unrolled: 1-line block ×7, first 2 shown]
	v_cmp_lt_u32_e64 s[0:1], 15, v0
	s_waitcnt vmcnt(0) lgkmcnt(0)
	ds_write_b64 v14, v[20:21]
	ds_write_b64 v16, v[22:23]
	;; [unrolled: 1-line block ×4, first 2 shown]
	s_and_saveexec_b64 s[6:7], s[0:1]
	s_cbranch_execz .LBB168_22
; %bb.21:
	v_mov_b32_e32 v22, s5
	v_add_co_u32_e64 v8, s[0:1], s4, v8
	s_lshl_b64 s[8:9], s[16:17], 2
	v_addc_co_u32_e64 v9, s[0:1], v9, v22, s[0:1]
	s_lshl_b64 s[0:1], s[8:9], 3
	v_mov_b32_e32 v18, s1
	v_add_co_u32_e64 v17, s[0:1], s0, v8
	v_addc_co_u32_e64 v18, s[0:1], v9, v18, s[0:1]
	v_add_co_u32_e64 v19, s[0:1], s4, v17
	v_addc_co_u32_e64 v20, s[0:1], v18, v22, s[0:1]
	;; [unrolled: 2-line block ×3, first 2 shown]
	flat_load_dwordx2 v[23:24], v[8:9]
	flat_load_dwordx2 v[25:26], v[17:18]
	;; [unrolled: 1-line block ×4, first 2 shown]
	s_waitcnt vmcnt(0) lgkmcnt(0)
	ds_write2st64_b64 v14, v[23:24], v[25:26] offset0:8 offset1:10
	ds_write2st64_b64 v14, v[27:28], v[29:30] offset0:12 offset1:14
.LBB168_22:
	s_or_b64 exec, exec, s[6:7]
	v_cmp_ge_u32_e64 s[0:1], v0, v1
	v_lshlrev_b32_e32 v17, 8, v0
	s_waitcnt lgkmcnt(0)
	s_barrier
	s_and_saveexec_b64 s[4:5], s[0:1]
	s_xor_b64 s[0:1], exec, s[4:5]
; %bb.23:
	v_lshlrev_b32_e32 v17, 8, v0
; %bb.24:
	s_or_saveexec_b64 s[0:1], s[0:1]
	v_lshlrev_b32_e32 v8, 5, v1
	v_lshlrev_b32_e32 v9, 3, v1
	s_xor_b64 exec, exec, s[0:1]
	s_cbranch_execz .LBB168_26
; %bb.25:
	v_mul_u32_u24_e32 v18, 0xf8, v0
	v_add3_u32 v18, v10, v18, v9
	ds_read_b64 v[18:19], v18
	v_lshl_add_u32 v20, v8, 3, v10
	s_waitcnt lgkmcnt(0)
	ds_write_b64 v20, v[18:19]
.LBB168_26:
	s_or_b64 exec, exec, s[0:1]
	v_sub_u32_e32 v18, v0, v1
	v_sub_u32_e32 v19, 0, v18
	v_max_i32_e32 v18, v18, v19
	v_cmp_gt_u32_e64 s[0:1], 4, v18
	v_lshl_add_u32 v17, v1, 3, v17
	s_and_saveexec_b64 s[4:5], s[0:1]
	s_cbranch_execnz .LBB168_40
; %bb.27:
	s_or_b64 exec, exec, s[4:5]
	v_cmp_gt_u32_e64 s[0:1], 8, v18
	s_and_saveexec_b64 s[4:5], s[0:1]
	s_cbranch_execnz .LBB168_41
.LBB168_28:
	s_or_b64 exec, exec, s[4:5]
	v_cmp_gt_u32_e64 s[0:1], 12, v18
	s_and_saveexec_b64 s[4:5], s[0:1]
	s_cbranch_execnz .LBB168_42
.LBB168_29:
	s_or_b64 exec, exec, s[4:5]
	v_cmp_gt_u32_e64 s[0:1], 16, v18
	s_and_saveexec_b64 s[4:5], s[0:1]
	s_cbranch_execnz .LBB168_43
.LBB168_30:
	s_or_b64 exec, exec, s[4:5]
	v_cmp_gt_u32_e64 s[0:1], 20, v18
	s_and_saveexec_b64 s[4:5], s[0:1]
	s_cbranch_execnz .LBB168_44
.LBB168_31:
	s_or_b64 exec, exec, s[4:5]
	v_cmp_gt_u32_e64 s[0:1], 24, v18
	s_and_saveexec_b64 s[4:5], s[0:1]
	s_cbranch_execz .LBB168_33
.LBB168_32:
	ds_read_b64 v[19:20], v17 offset:192
	s_waitcnt lgkmcnt(0)
	ds_write_b64 v14, v[19:20] offset:6144
.LBB168_33:
	s_or_b64 exec, exec, s[4:5]
	v_cmp_lt_u32_e64 s[0:1], 27, v18
	v_add_u32_e32 v18, 28, v1
                                        ; implicit-def: $vgpr19
	s_and_saveexec_b64 s[4:5], s[0:1]
	s_xor_b64 s[0:1], exec, s[4:5]
; %bb.34:
	v_add_u32_e32 v18, 28, v1
	v_lshlrev_b32_e32 v19, 8, v18
                                        ; implicit-def: $vgpr17
; %bb.35:
	s_andn2_saveexec_b64 s[0:1], s[0:1]
	s_cbranch_execz .LBB168_37
; %bb.36:
	ds_read_b64 v[20:21], v17 offset:224
	v_lshlrev_b32_e32 v19, 8, v18
	v_add_u32_e32 v17, v10, v19
	s_waitcnt lgkmcnt(0)
	ds_write_b64 v17, v[20:21]
.LBB168_37:
	s_or_b64 exec, exec, s[0:1]
	v_add_u32_e32 v30, 0x2800, v9
	s_waitcnt lgkmcnt(0)
	s_barrier
	ds_read2_b64 v[20:23], v30 offset1:4
	ds_read_b64 v[24:25], v14
	ds_read_b64 v[16:17], v16
	;; [unrolled: 1-line block ×4, first 2 shown]
	v_lshl_add_u32 v1, v1, 8, v10
	s_waitcnt lgkmcnt(3)
	v_fma_f64 v[14:15], v[24:25], v[20:21], 0
	s_waitcnt lgkmcnt(2)
	v_fma_f64 v[20:21], v[16:17], v[22:23], v[14:15]
	ds_read2_b64 v[14:17], v30 offset0:8 offset1:12
	s_waitcnt lgkmcnt(0)
	v_fma_f64 v[14:15], v[26:27], v[14:15], v[20:21]
	v_fma_f64 v[24:25], v[28:29], v[16:17], v[14:15]
	ds_read2st64_b64 v[14:17], v1 offset0:8 offset1:10
	ds_read2_b64 v[20:23], v30 offset0:16 offset1:20
	s_waitcnt lgkmcnt(0)
	v_fma_f64 v[14:15], v[14:15], v[20:21], v[24:25]
	v_fma_f64 v[14:15], v[16:17], v[22:23], v[14:15]
	ds_read_b64 v[16:17], v9 offset:10432
	ds_read_b64 v[20:21], v1 offset:6144
	v_add_u32_e32 v1, v10, v19
	v_lshlrev_b32_e32 v9, 3, v18
	ds_read_b64 v[18:19], v1
	ds_read_b64 v[22:23], v9 offset:10240
	v_add_lshl_u32 v1, v8, v0, 3
	s_waitcnt lgkmcnt(2)
	v_fma_f64 v[14:15], v[20:21], v[16:17], v[14:15]
	s_waitcnt lgkmcnt(0)
	v_fma_f64 v[14:15], v[18:19], v[22:23], v[14:15]
	ds_write_b64 v1, v[14:15] offset:8192
	s_waitcnt lgkmcnt(0)
	s_barrier
	s_and_saveexec_b64 s[0:1], vcc
	s_cbranch_execz .LBB168_39
; %bb.38:
	v_add_u32_e32 v1, 0x2000, v10
	ds_read2_b64 v[8:11], v1 offset1:32
	v_cmp_neq_f64_e32 vcc, 0, v[4:5]
	s_waitcnt lgkmcnt(0)
	v_add_f64 v[8:9], v[8:9], 0
	v_add_f64 v[14:15], v[8:9], v[10:11]
	ds_read2_b64 v[8:11], v1 offset0:64 offset1:96
	s_waitcnt lgkmcnt(0)
	v_add_f64 v[8:9], v[14:15], v[8:9]
	v_add_f64 v[8:9], v[8:9], v[10:11]
	v_mad_u64_u32 v[10:11], s[0:1], s2, v0, 0
	v_mov_b32_e32 v1, v11
	v_mul_f64 v[14:15], v[2:3], v[8:9]
	v_fma_f64 v[2:3], v[2:3], v[8:9], v[6:7]
	v_mad_u64_u32 v[0:1], s[0:1], s3, v0, v[1:2]
	v_cndmask_b32_e32 v3, v15, v3, vcc
	v_cndmask_b32_e32 v2, v14, v2, vcc
	v_mov_b32_e32 v11, v0
	v_lshlrev_b64 v[0:1], 3, v[10:11]
	v_add_co_u32_e32 v0, vcc, v12, v0
	v_addc_co_u32_e32 v1, vcc, v13, v1, vcc
	flat_store_dwordx2 v[0:1], v[2:3]
.LBB168_39:
	s_endpgm
.LBB168_40:
	ds_read_b64 v[19:20], v17 offset:32
	s_waitcnt lgkmcnt(0)
	ds_write_b64 v16, v[19:20]
	s_or_b64 exec, exec, s[4:5]
	v_cmp_gt_u32_e64 s[0:1], 8, v18
	s_and_saveexec_b64 s[4:5], s[0:1]
	s_cbranch_execz .LBB168_28
.LBB168_41:
	ds_read_b64 v[19:20], v17 offset:64
	s_waitcnt lgkmcnt(0)
	ds_write_b64 v15, v[19:20]
	s_or_b64 exec, exec, s[4:5]
	v_cmp_gt_u32_e64 s[0:1], 12, v18
	s_and_saveexec_b64 s[4:5], s[0:1]
	s_cbranch_execz .LBB168_29
.LBB168_42:
	ds_read_b64 v[19:20], v17 offset:96
	s_waitcnt lgkmcnt(0)
	ds_write_b64 v11, v[19:20]
	s_or_b64 exec, exec, s[4:5]
	v_cmp_gt_u32_e64 s[0:1], 16, v18
	s_and_saveexec_b64 s[4:5], s[0:1]
	s_cbranch_execz .LBB168_30
.LBB168_43:
	ds_read_b64 v[19:20], v17 offset:128
	s_waitcnt lgkmcnt(0)
	ds_write_b64 v14, v[19:20] offset:4096
	s_or_b64 exec, exec, s[4:5]
	v_cmp_gt_u32_e64 s[0:1], 20, v18
	s_and_saveexec_b64 s[4:5], s[0:1]
	s_cbranch_execz .LBB168_31
.LBB168_44:
	ds_read_b64 v[19:20], v17 offset:160
	s_waitcnt lgkmcnt(0)
	ds_write_b64 v14, v[19:20] offset:5120
	s_or_b64 exec, exec, s[4:5]
	v_cmp_gt_u32_e64 s[0:1], 24, v18
	s_and_saveexec_b64 s[4:5], s[0:1]
	s_cbranch_execnz .LBB168_32
	s_branch .LBB168_33
	.section	.rodata,"a",@progbits
	.p2align	6, 0x0
	.amdhsa_kernel _ZL50rocblas_symv_kernel_lower_double_buffered_diagonalILi32ELi4E24rocblas_internal_val_ptrIdEPKPKdPKPdEvbiT1_lT2_lllSA_lllS9_lT3_llli
		.amdhsa_group_segment_fixed_size 10496
		.amdhsa_private_segment_fixed_size 0
		.amdhsa_kernarg_size 140
		.amdhsa_user_sgpr_count 6
		.amdhsa_user_sgpr_private_segment_buffer 1
		.amdhsa_user_sgpr_dispatch_ptr 0
		.amdhsa_user_sgpr_queue_ptr 0
		.amdhsa_user_sgpr_kernarg_segment_ptr 1
		.amdhsa_user_sgpr_dispatch_id 0
		.amdhsa_user_sgpr_flat_scratch_init 0
		.amdhsa_user_sgpr_private_segment_size 0
		.amdhsa_uses_dynamic_stack 0
		.amdhsa_system_sgpr_private_segment_wavefront_offset 0
		.amdhsa_system_sgpr_workgroup_id_x 1
		.amdhsa_system_sgpr_workgroup_id_y 0
		.amdhsa_system_sgpr_workgroup_id_z 1
		.amdhsa_system_sgpr_workgroup_info 0
		.amdhsa_system_vgpr_workitem_id 1
		.amdhsa_next_free_vgpr 65
		.amdhsa_next_free_sgpr 98
		.amdhsa_reserve_vcc 1
		.amdhsa_reserve_flat_scratch 0
		.amdhsa_float_round_mode_32 0
		.amdhsa_float_round_mode_16_64 0
		.amdhsa_float_denorm_mode_32 3
		.amdhsa_float_denorm_mode_16_64 3
		.amdhsa_dx10_clamp 1
		.amdhsa_ieee_mode 1
		.amdhsa_fp16_overflow 0
		.amdhsa_exception_fp_ieee_invalid_op 0
		.amdhsa_exception_fp_denorm_src 0
		.amdhsa_exception_fp_ieee_div_zero 0
		.amdhsa_exception_fp_ieee_overflow 0
		.amdhsa_exception_fp_ieee_underflow 0
		.amdhsa_exception_fp_ieee_inexact 0
		.amdhsa_exception_int_div_zero 0
	.end_amdhsa_kernel
	.section	.text._ZL50rocblas_symv_kernel_lower_double_buffered_diagonalILi32ELi4E24rocblas_internal_val_ptrIdEPKPKdPKPdEvbiT1_lT2_lllSA_lllS9_lT3_llli,"axG",@progbits,_ZL50rocblas_symv_kernel_lower_double_buffered_diagonalILi32ELi4E24rocblas_internal_val_ptrIdEPKPKdPKPdEvbiT1_lT2_lllSA_lllS9_lT3_llli,comdat
.Lfunc_end168:
	.size	_ZL50rocblas_symv_kernel_lower_double_buffered_diagonalILi32ELi4E24rocblas_internal_val_ptrIdEPKPKdPKPdEvbiT1_lT2_lllSA_lllS9_lT3_llli, .Lfunc_end168-_ZL50rocblas_symv_kernel_lower_double_buffered_diagonalILi32ELi4E24rocblas_internal_val_ptrIdEPKPKdPKPdEvbiT1_lT2_lllSA_lllS9_lT3_llli
                                        ; -- End function
	.set _ZL50rocblas_symv_kernel_lower_double_buffered_diagonalILi32ELi4E24rocblas_internal_val_ptrIdEPKPKdPKPdEvbiT1_lT2_lllSA_lllS9_lT3_llli.num_vgpr, 31
	.set _ZL50rocblas_symv_kernel_lower_double_buffered_diagonalILi32ELi4E24rocblas_internal_val_ptrIdEPKPKdPKPdEvbiT1_lT2_lllSA_lllS9_lT3_llli.num_agpr, 0
	.set _ZL50rocblas_symv_kernel_lower_double_buffered_diagonalILi32ELi4E24rocblas_internal_val_ptrIdEPKPKdPKPdEvbiT1_lT2_lllSA_lllS9_lT3_llli.numbered_sgpr, 24
	.set _ZL50rocblas_symv_kernel_lower_double_buffered_diagonalILi32ELi4E24rocblas_internal_val_ptrIdEPKPKdPKPdEvbiT1_lT2_lllSA_lllS9_lT3_llli.num_named_barrier, 0
	.set _ZL50rocblas_symv_kernel_lower_double_buffered_diagonalILi32ELi4E24rocblas_internal_val_ptrIdEPKPKdPKPdEvbiT1_lT2_lllSA_lllS9_lT3_llli.private_seg_size, 0
	.set _ZL50rocblas_symv_kernel_lower_double_buffered_diagonalILi32ELi4E24rocblas_internal_val_ptrIdEPKPKdPKPdEvbiT1_lT2_lllSA_lllS9_lT3_llli.uses_vcc, 1
	.set _ZL50rocblas_symv_kernel_lower_double_buffered_diagonalILi32ELi4E24rocblas_internal_val_ptrIdEPKPKdPKPdEvbiT1_lT2_lllSA_lllS9_lT3_llli.uses_flat_scratch, 0
	.set _ZL50rocblas_symv_kernel_lower_double_buffered_diagonalILi32ELi4E24rocblas_internal_val_ptrIdEPKPKdPKPdEvbiT1_lT2_lllSA_lllS9_lT3_llli.has_dyn_sized_stack, 0
	.set _ZL50rocblas_symv_kernel_lower_double_buffered_diagonalILi32ELi4E24rocblas_internal_val_ptrIdEPKPKdPKPdEvbiT1_lT2_lllSA_lllS9_lT3_llli.has_recursion, 0
	.set _ZL50rocblas_symv_kernel_lower_double_buffered_diagonalILi32ELi4E24rocblas_internal_val_ptrIdEPKPKdPKPdEvbiT1_lT2_lllSA_lllS9_lT3_llli.has_indirect_call, 0
	.section	.AMDGPU.csdata,"",@progbits
; Kernel info:
; codeLenInByte = 2244
; TotalNumSgprs: 28
; NumVgprs: 31
; ScratchSize: 0
; MemoryBound: 0
; FloatMode: 240
; IeeeMode: 1
; LDSByteSize: 10496 bytes/workgroup (compile time only)
; SGPRBlocks: 12
; VGPRBlocks: 16
; NumSGPRsForWavesPerEU: 102
; NumVGPRsForWavesPerEU: 65
; Occupancy: 3
; WaveLimiterHint : 1
; COMPUTE_PGM_RSRC2:SCRATCH_EN: 0
; COMPUTE_PGM_RSRC2:USER_SGPR: 6
; COMPUTE_PGM_RSRC2:TRAP_HANDLER: 0
; COMPUTE_PGM_RSRC2:TGID_X_EN: 1
; COMPUTE_PGM_RSRC2:TGID_Y_EN: 0
; COMPUTE_PGM_RSRC2:TGID_Z_EN: 1
; COMPUTE_PGM_RSRC2:TIDIG_COMP_CNT: 1
	.section	.text._ZL54rocblas_symv_kernel_lower_double_buffered_non_diagonalILi32ELi4ELi4E24rocblas_internal_val_ptrIdEPKPKdPKPdEvbiT2_lT3_lllSA_lllT4_llli,"axG",@progbits,_ZL54rocblas_symv_kernel_lower_double_buffered_non_diagonalILi32ELi4ELi4E24rocblas_internal_val_ptrIdEPKPKdPKPdEvbiT2_lT3_lllSA_lllT4_llli,comdat
	.globl	_ZL54rocblas_symv_kernel_lower_double_buffered_non_diagonalILi32ELi4ELi4E24rocblas_internal_val_ptrIdEPKPKdPKPdEvbiT2_lT3_lllSA_lllT4_llli ; -- Begin function _ZL54rocblas_symv_kernel_lower_double_buffered_non_diagonalILi32ELi4ELi4E24rocblas_internal_val_ptrIdEPKPKdPKPdEvbiT2_lT3_lllSA_lllT4_llli
	.p2align	8
	.type	_ZL54rocblas_symv_kernel_lower_double_buffered_non_diagonalILi32ELi4ELi4E24rocblas_internal_val_ptrIdEPKPKdPKPdEvbiT2_lT3_lllSA_lllT4_llli,@function
_ZL54rocblas_symv_kernel_lower_double_buffered_non_diagonalILi32ELi4ELi4E24rocblas_internal_val_ptrIdEPKPKdPKPdEvbiT2_lT3_lllSA_lllT4_llli: ; @_ZL54rocblas_symv_kernel_lower_double_buffered_non_diagonalILi32ELi4ELi4E24rocblas_internal_val_ptrIdEPKPKdPKPdEvbiT2_lT3_lllSA_lllT4_llli
; %bb.0:
	s_load_dword s0, s[4:5], 0x0
	s_load_dwordx8 s[12:19], s[4:5], 0x8
	s_load_dwordx2 s[20:21], s[4:5], 0x28
	s_waitcnt lgkmcnt(0)
	s_bitcmp1_b32 s0, 0
	s_cselect_b64 s[0:1], -1, 0
	v_mov_b32_e32 v5, s12
	s_and_b64 vcc, exec, s[0:1]
	v_mov_b32_e32 v6, s13
	s_cbranch_vccnz .LBB169_2
; %bb.1:
	s_mul_i32 s0, s15, s8
	s_mul_hi_u32 s1, s14, s8
	s_add_i32 s1, s1, s0
	s_mul_i32 s0, s14, s8
	s_lshl_b64 s[0:1], s[0:1], 3
	s_add_u32 s0, s12, s0
	s_addc_u32 s1, s13, s1
	v_mov_b32_e32 v3, s1
	v_mov_b32_e32 v2, s0
	flat_load_dwordx2 v[5:6], v[2:3]
.LBB169_2:
	s_waitcnt vmcnt(0) lgkmcnt(0)
	v_cmp_neq_f64_e32 vcc, 0, v[5:6]
	s_and_saveexec_b64 s[0:1], vcc
	s_cbranch_execz .LBB169_27
; %bb.3:
	s_load_dwordx2 s[2:3], s[4:5], 0x80
	s_waitcnt lgkmcnt(0)
	v_cvt_f32_u32_e32 v2, s3
	s_add_i32 s0, s2, -1
	s_cmp_eq_u32 s6, s0
	v_rcp_iflag_f32_e32 v2, v2
	v_mul_f32_e32 v2, 0x4f7ffffe, v2
	v_cvt_u32_f32_e32 v2, v2
	v_readfirstlane_b32 s0, v2
	s_cbranch_scc1 .LBB169_27
; %bb.4:
	s_not_b32 s1, s6
	s_add_i32 s2, s2, s1
	s_sub_i32 s1, 0, s3
	s_mul_i32 s1, s1, s0
	s_mov_b32 s9, 0
	s_mul_hi_u32 s1, s0, s1
	s_load_dwordx4 s[24:27], s[4:5], 0x38
	s_load_dwordx2 s[12:13], s[4:5], 0x48
	s_add_i32 s22, s0, s1
	s_lshl_b64 s[0:1], s[8:9], 3
	s_add_u32 s8, s16, s0
	s_addc_u32 s9, s17, s1
	s_load_dwordx2 s[10:11], s[4:5], 0x58
	s_waitcnt lgkmcnt(0)
	s_add_u32 s14, s24, s0
	s_addc_u32 s15, s25, s1
	s_load_dwordx2 s[14:15], s[14:15], 0x0
	s_mul_hi_u32 s16, s2, s22
	s_add_u32 s10, s10, s0
	s_addc_u32 s11, s11, s1
	s_lshl_b64 s[0:1], s[26:27], 3
	s_waitcnt lgkmcnt(0)
	s_add_u32 s14, s14, s0
	s_addc_u32 s15, s15, s1
	s_lshl_b32 s23, s6, 5
	s_ashr_i32 s24, s23, 31
	s_mul_i32 s0, s12, s24
	s_mul_hi_u32 s1, s12, s23
	s_add_i32 s0, s1, s0
	s_mul_i32 s1, s13, s23
	s_add_i32 s1, s0, s1
	s_mul_i32 s0, s12, s23
	s_lshl_b64 s[0:1], s[0:1], 3
	s_add_u32 s6, s14, s0
	s_addc_u32 s22, s15, s1
	v_cmp_eq_u32_e32 vcc, 0, v1
	s_and_saveexec_b64 s[14:15], vcc
	s_cbranch_execz .LBB169_6
; %bb.5:
	v_mad_u64_u32 v[2:3], s[0:1], s12, v0, 0
	v_mad_u64_u32 v[3:4], s[0:1], s13, v0, v[3:4]
	v_mov_b32_e32 v4, s22
	v_lshlrev_b64 v[2:3], 3, v[2:3]
	v_add_co_u32_e64 v2, s[0:1], s6, v2
	v_addc_co_u32_e64 v3, s[0:1], v4, v3, s[0:1]
	flat_load_dwordx2 v[2:3], v[2:3]
	v_lshlrev_b32_e32 v4, 3, v0
	s_waitcnt vmcnt(0) lgkmcnt(0)
	ds_write_b64 v4, v[2:3] offset:6144
.LBB169_6:
	s_or_b64 exec, exec, s[14:15]
	s_mul_i32 s0, s16, s3
	s_sub_i32 s0, s2, s0
	s_add_i32 s1, s16, 1
	s_sub_i32 s14, s0, s3
	s_cmp_ge_u32 s0, s3
	s_cselect_b32 s1, s1, s16
	s_cselect_b32 s0, s14, s0
	s_add_i32 s14, s1, 1
	s_cmp_ge_u32 s0, s3
	s_cselect_b32 s15, s14, s1
	s_add_i32 s0, s3, -1
	s_cmp_lg_u32 s7, s0
	s_mov_b32 s14, s15
	s_cbranch_scc1 .LBB169_8
; %bb.7:
	s_mul_i32 s0, s15, s3
	s_sub_i32 s0, s2, s0
	s_add_i32 s14, s0, s15
.LBB169_8:
	s_cmp_eq_u32 s14, 0
	s_cbranch_scc1 .LBB169_27
; %bb.9:
	s_load_dwordx4 s[0:3], s[4:5], 0x60
	s_load_dwordx2 s[16:17], s[10:11], 0x0
	v_lshl_add_u32 v1, v1, 5, v0
	v_and_b32_e32 v7, 15, v0
	v_lshrrev_b32_e32 v58, 4, v1
	s_waitcnt lgkmcnt(0)
	s_lshl_b64 s[0:1], s[0:1], 3
	s_mul_i32 s4, s2, s24
	s_mul_hi_u32 s5, s2, s23
	s_add_u32 s10, s16, s0
	s_addc_u32 s11, s17, s1
	s_add_i32 s0, s5, s4
	s_mul_i32 s1, s3, s23
	s_add_i32 s1, s0, s1
	s_mul_i32 s0, s2, s23
	s_lshl_b64 s[0:1], s[0:1], 3
	s_add_u32 s16, s10, s0
	s_addc_u32 s17, s11, s1
	s_cmp_lt_i32 s14, 1
	s_barrier
	s_cbranch_scc1 .LBB169_18
; %bb.10:
	s_load_dwordx2 s[0:1], s[8:9], 0x0
	s_mul_i32 s7, s7, s15
	s_lshl_b64 s[4:5], s[18:19], 3
	s_lshl_b32 s18, s7, 5
	s_ashr_i32 s19, s18, 31
	s_waitcnt lgkmcnt(0)
	s_add_u32 s7, s0, s4
	s_addc_u32 s8, s1, s5
	s_add_u32 s0, s20, 1
	s_addc_u32 s1, s21, 0
	s_mul_i32 s4, s0, s24
	s_mul_hi_u32 s5, s0, s23
	s_add_i32 s4, s5, s4
	s_mul_i32 s1, s1, s23
	v_lshlrev_b32_e32 v3, 2, v58
	v_mov_b32_e32 v8, 0
	s_add_i32 s1, s4, s1
	v_mad_u64_u32 v[1:2], s[4:5], s20, v3, v[7:8]
	s_mul_i32 s0, s0, s23
	s_lshl_b64 s[0:1], s[0:1], 3
	s_add_u32 s4, s7, s0
	s_addc_u32 s5, s8, s1
	v_mad_u64_u32 v[2:3], s[0:1], s21, v3, v[2:3]
	s_lshl_b64 s[0:1], s[18:19], 3
	s_add_u32 s8, s4, s0
	v_lshlrev_b64 v[10:11], 3, v[1:2]
	s_addc_u32 s9, s5, s1
	v_mov_b32_e32 v2, s9
	v_add_co_u32_e64 v1, s[0:1], s8, v10
	v_addc_co_u32_e64 v2, s[0:1], v2, v11, s[0:1]
	s_lshl_b64 s[4:5], s[20:21], 3
	v_mov_b32_e32 v13, s5
	v_add_co_u32_e64 v3, s[0:1], s4, v1
	v_addc_co_u32_e64 v4, s[0:1], v2, v13, s[0:1]
	v_add_co_u32_e64 v8, s[0:1], s4, v3
	v_addc_co_u32_e64 v9, s[0:1], v4, v13, s[0:1]
	;; [unrolled: 2-line block ×3, first 2 shown]
	flat_load_dwordx2 v[26:27], v[1:2] offset:256
	flat_load_dwordx2 v[28:29], v[3:4] offset:256
	;; [unrolled: 1-line block ×4, first 2 shown]
	s_mul_i32 s0, s2, s19
	s_mul_hi_u32 s1, s2, s18
	s_add_i32 s0, s1, s0
	s_mul_i32 s1, s3, s18
	s_add_i32 s1, s0, s1
	s_mul_i32 s0, s2, s18
	s_lshl_b64 s[10:11], s[12:13], 8
	s_lshl_b64 s[0:1], s[0:1], 3
	s_add_u32 s0, s16, s0
	s_mul_i32 s7, s12, s19
	s_mul_hi_u32 s15, s12, s18
	s_addc_u32 s1, s17, s1
	s_add_i32 s7, s15, s7
	s_mul_i32 s15, s13, s18
	s_add_i32 s19, s7, s15
	s_mul_i32 s18, s12, s18
	s_lshl_b64 s[18:19], s[18:19], 3
	v_or_b32_e32 v12, 16, v7
	s_add_u32 s18, s6, s18
	v_mad_u64_u32 v[1:2], s[6:7], s12, v7, 0
	v_mad_u64_u32 v[3:4], s[6:7], s12, v12, 0
	v_mov_b32_e32 v14, 0x1000
	s_addc_u32 s19, s22, s19
	v_mad_u64_u32 v[8:9], s[6:7], s13, v7, v[2:3]
	v_mov_b32_e32 v2, v4
	v_mad_u64_u32 v[12:13], s[6:7], s13, v12, v[2:3]
	v_mov_b32_e32 v2, v8
	;; [unrolled: 2-line block ×3, first 2 shown]
	v_mov_b32_e32 v12, 0x1800
	v_lshl_add_u32 v61, v58, 5, v12
	v_mad_u64_u32 v[12:13], s[6:7], s3, v0, v[9:10]
	v_lshl_or_b32 v16, v7, 3, v14
	v_lshlrev_b32_e32 v17, 8, v58
	s_lshl_b64 s[6:7], s[2:3], 8
	v_lshl_or_b32 v59, v0, 3, v14
	v_mov_b32_e32 v14, 0
	v_lshlrev_b64 v[24:25], 3, v[1:2]
	v_lshlrev_b64 v[18:19], 3, v[3:4]
	v_mov_b32_e32 v9, v12
	v_mov_b32_e32 v15, 0
	s_cmp_eq_u32 s14, 1
	v_add_u32_e32 v60, v16, v17
	s_cbranch_scc1 .LBB169_19
; %bb.11:
	s_add_u32 s8, s8, 0x100
	s_addc_u32 s9, s9, 0
	s_add_i32 s22, s14, -2
	s_lshl_b64 s[12:13], s[20:21], 4
	s_sub_u32 s20, 0, s12
	s_subb_u32 s12, 0, s13
	v_mov_b32_e32 v16, 0
	v_mov_b32_e32 v13, s1
	;; [unrolled: 1-line block ×6, first 2 shown]
	s_mov_b32 s21, 0
	v_mov_b32_e32 v12, s0
	v_mov_b32_e32 v62, s5
	;; [unrolled: 1-line block ×7, first 2 shown]
.LBB169_12:                             ; =>This Loop Header: Depth=1
                                        ;     Child Loop BB169_14 Depth 2
	s_add_u32 s18, s18, s10
	s_addc_u32 s19, s19, s11
	v_mov_b32_e32 v2, s19
	v_add_co_u32_e64 v1, s[0:1], s18, v24
	v_addc_co_u32_e64 v2, s[0:1], v2, v25, s[0:1]
	v_mov_b32_e32 v4, s9
	v_add_co_u32_e64 v3, s[0:1], s8, v10
	v_addc_co_u32_e64 v4, s[0:1], v4, v11, s[0:1]
	flat_load_dwordx2 v[42:43], v[3:4] offset:128
	v_mov_b32_e32 v35, s19
	v_add_co_u32_e64 v34, s[0:1], s18, v18
	v_addc_co_u32_e64 v35, s[0:1], v35, v19, s[0:1]
	v_add_co_u32_e64 v36, s[0:1], s4, v3
	v_addc_co_u32_e64 v37, s[0:1], v4, v64, s[0:1]
	flat_load_dwordx2 v[46:47], v[36:37] offset:128
	flat_load_dwordx2 v[48:49], v[1:2]
	flat_load_dwordx2 v[44:45], v[34:35]
	v_add_co_u32_e64 v1, s[0:1], s4, v36
	v_addc_co_u32_e64 v2, s[0:1], v37, v62, s[0:1]
	flat_load_dwordx2 v[50:51], v[1:2] offset:128
	v_add_co_u32_e64 v1, s[0:1], s4, v1
	v_addc_co_u32_e64 v2, s[0:1], v2, v62, s[0:1]
	flat_load_dwordx2 v[52:53], v[1:2] offset:128
	flat_load_dwordx2 v[34:35], v[3:4] offset:256
	v_add_co_u32_e64 v1, s[0:1], s20, v1
	v_addc_co_u32_e64 v2, s[0:1], v2, v63, s[0:1]
	v_add_co_u32_e64 v3, s[0:1], s4, v1
	v_addc_co_u32_e64 v4, s[0:1], v2, v62, s[0:1]
	;; [unrolled: 2-line block ×3, first 2 shown]
	flat_load_dwordx2 v[40:41], v[1:2] offset:256
	flat_load_dwordx2 v[38:39], v[3:4] offset:256
	;; [unrolled: 1-line block ×3, first 2 shown]
	ds_read_b128 v[1:4], v61
	ds_read_b128 v[54:57], v61 offset:16
	s_waitcnt vmcnt(0) lgkmcnt(0)
	s_barrier
	v_fma_f64 v[65:66], v[26:27], v[1:2], 0
	v_fma_f64 v[65:66], v[28:29], v[3:4], v[65:66]
	;; [unrolled: 1-line block ×8, first 2 shown]
	ds_write2_b64 v60, v[3:4], v[1:2] offset1:16
	s_waitcnt lgkmcnt(0)
	s_barrier
	s_and_saveexec_b64 s[12:13], vcc
	s_cbranch_execz .LBB169_16
; %bb.13:                               ;   in Loop: Header=BB169_12 Depth=1
	v_mov_b32_e32 v1, s7
	v_add_co_u32_e64 v12, s[0:1], s6, v12
	v_addc_co_u32_e64 v13, s[0:1], v13, v1, s[0:1]
	v_lshlrev_b64 v[1:2], 3, v[8:9]
	ds_read2_b64 v[65:68], v59 offset1:32
	v_add_co_u32_e64 v54, s[0:1], v12, v1
	v_addc_co_u32_e64 v55, s[0:1], v13, v2, s[0:1]
	flat_load_dwordx2 v[3:4], v[54:55]
	s_waitcnt lgkmcnt(0)
	v_add_f64 v[1:2], v[65:66], 0
	s_mov_b64 s[14:15], 0
	v_add_f64 v[1:2], v[1:2], v[67:68]
	ds_read2_b64 v[65:68], v59 offset0:64 offset1:96
	s_waitcnt lgkmcnt(0)
	v_add_f64 v[1:2], v[1:2], v[65:66]
	v_add_f64 v[1:2], v[1:2], v[67:68]
	ds_read2_b64 v[65:68], v59 offset0:128 offset1:160
	s_waitcnt lgkmcnt(0)
	v_add_f64 v[1:2], v[1:2], v[65:66]
	;; [unrolled: 4-line block ×3, first 2 shown]
	v_add_f64 v[1:2], v[1:2], v[67:68]
	v_mul_f64 v[56:57], v[5:6], v[1:2]
.LBB169_14:                             ;   Parent Loop BB169_12 Depth=1
                                        ; =>  This Inner Loop Header: Depth=2
	s_waitcnt vmcnt(0)
	v_add_f64 v[1:2], v[3:4], v[56:57]
	flat_atomic_cmpswap_x2 v[1:2], v[54:55], v[1:4] glc
	s_waitcnt vmcnt(0) lgkmcnt(0)
	v_cmp_eq_u64_e64 s[0:1], v[1:2], v[3:4]
	v_mov_b32_e32 v4, v2
	s_or_b64 s[14:15], s[0:1], s[14:15]
	v_mov_b32_e32 v3, v1
	s_andn2_b64 exec, exec, s[14:15]
	s_cbranch_execnz .LBB169_14
; %bb.15:                               ;   in Loop: Header=BB169_12 Depth=1
	s_or_b64 exec, exec, s[14:15]
.LBB169_16:                             ;   in Loop: Header=BB169_12 Depth=1
	s_or_b64 exec, exec, s[12:13]
	v_fma_f64 v[1:2], v[48:49], v[26:27], v[16:17]
	v_fma_f64 v[3:4], v[48:49], v[28:29], v[22:23]
	;; [unrolled: 1-line block ×4, first 2 shown]
	s_add_u32 s0, s8, 0x100
	s_addc_u32 s1, s9, 0
	s_add_i32 s12, s21, 1
	s_cmp_eq_u32 s21, s22
	v_fma_f64 v[16:17], v[44:45], v[42:43], v[1:2]
	v_fma_f64 v[22:23], v[44:45], v[46:47], v[3:4]
	;; [unrolled: 1-line block ×4, first 2 shown]
	s_cbranch_scc1 .LBB169_20
; %bb.17:                               ;   in Loop: Header=BB169_12 Depth=1
	v_mov_b32_e32 v26, v34
	v_mov_b32_e32 v28, v40
	;; [unrolled: 1-line block ×4, first 2 shown]
	s_mov_b32 s21, s12
	s_mov_b64 s[8:9], s[0:1]
	v_mov_b32_e32 v27, v35
	v_mov_b32_e32 v29, v41
	;; [unrolled: 1-line block ×4, first 2 shown]
	s_branch .LBB169_12
.LBB169_18:
	v_mov_b32_e32 v1, 0
	v_mov_b32_e32 v3, 0
	v_mov_b32_e32 v8, 0
	v_mov_b32_e32 v10, 0
	v_mov_b32_e32 v2, 0
	v_mov_b32_e32 v4, 0
	v_mov_b32_e32 v9, 0
	v_mov_b32_e32 v11, 0
	s_branch .LBB169_24
.LBB169_19:
	v_mov_b32_e32 v13, s1
	s_waitcnt vmcnt(0) lgkmcnt(0)
	v_mov_b32_e32 v37, v33
	v_mov_b32_e32 v39, v31
	;; [unrolled: 1-line block ×15, first 2 shown]
.LBB169_20:
	v_mov_b32_e32 v2, s9
	v_add_co_u32_e64 v1, s[0:1], s8, v10
	v_addc_co_u32_e64 v2, s[0:1], v2, v11, s[0:1]
	flat_load_dwordx2 v[10:11], v[1:2] offset:384
	v_mov_b32_e32 v3, s5
	v_add_co_u32_e64 v1, s[0:1], s4, v1
	v_addc_co_u32_e64 v2, s[0:1], v2, v3, s[0:1]
	flat_load_dwordx2 v[26:27], v[1:2] offset:384
	;; [unrolled: 4-line block ×3, first 2 shown]
	s_add_u32 s8, s18, s10
	s_addc_u32 s9, s19, s11
	v_mov_b32_e32 v4, s9
	v_add_co_u32_e64 v3, s[0:1], s8, v24
	v_addc_co_u32_e64 v4, s[0:1], v4, v25, s[0:1]
	v_add_co_u32_e64 v1, s[0:1], s4, v1
	v_addc_co_u32_e64 v2, s[0:1], v2, v30, s[0:1]
	flat_load_dwordx2 v[24:25], v[1:2] offset:384
	flat_load_dwordx2 v[42:43], v[3:4]
	v_mov_b32_e32 v2, s9
	v_add_co_u32_e64 v1, s[0:1], s8, v18
	v_addc_co_u32_e64 v2, s[0:1], v2, v19, s[0:1]
	flat_load_dwordx2 v[18:19], v[1:2]
	ds_read_b128 v[1:4], v61
	ds_read_b128 v[30:33], v61 offset:16
	s_mov_b64 s[4:5], 0
	s_waitcnt vmcnt(0) lgkmcnt(0)
	s_barrier
	v_fma_f64 v[44:45], v[34:35], v[1:2], 0
	v_fma_f64 v[44:45], v[40:41], v[3:4], v[44:45]
	;; [unrolled: 1-line block ×12, first 2 shown]
	ds_write2_b64 v60, v[3:4], v[1:2] offset1:16
	s_waitcnt lgkmcnt(0)
	s_barrier
	s_and_saveexec_b64 s[8:9], vcc
	s_cbranch_execz .LBB169_23
; %bb.21:
	v_mov_b32_e32 v1, s7
	v_add_co_u32_e64 v3, s[0:1], s6, v12
	v_addc_co_u32_e64 v4, s[0:1], v13, v1, s[0:1]
	v_lshlrev_b64 v[1:2], 3, v[8:9]
	ds_read2_b64 v[30:33], v59 offset1:32
	v_add_co_u32_e64 v8, s[0:1], v3, v1
	v_addc_co_u32_e64 v9, s[0:1], v4, v2, s[0:1]
	flat_load_dwordx2 v[3:4], v[8:9]
	s_waitcnt lgkmcnt(0)
	v_add_f64 v[1:2], v[30:31], 0
	v_add_f64 v[1:2], v[1:2], v[32:33]
	ds_read2_b64 v[30:33], v59 offset0:64 offset1:96
	s_waitcnt lgkmcnt(0)
	v_add_f64 v[1:2], v[1:2], v[30:31]
	v_add_f64 v[1:2], v[1:2], v[32:33]
	ds_read2_b64 v[30:33], v59 offset0:128 offset1:160
	;; [unrolled: 4-line block ×3, first 2 shown]
	s_waitcnt lgkmcnt(0)
	v_add_f64 v[1:2], v[1:2], v[30:31]
	v_add_f64 v[1:2], v[1:2], v[32:33]
	v_mul_f64 v[12:13], v[5:6], v[1:2]
.LBB169_22:                             ; =>This Inner Loop Header: Depth=1
	s_waitcnt vmcnt(0)
	v_add_f64 v[1:2], v[3:4], v[12:13]
	flat_atomic_cmpswap_x2 v[1:2], v[8:9], v[1:4] glc
	s_waitcnt vmcnt(0) lgkmcnt(0)
	v_cmp_eq_u64_e64 s[0:1], v[1:2], v[3:4]
	v_mov_b32_e32 v4, v2
	s_or_b64 s[4:5], s[0:1], s[4:5]
	v_mov_b32_e32 v3, v1
	s_andn2_b64 exec, exec, s[4:5]
	s_cbranch_execnz .LBB169_22
.LBB169_23:
	s_or_b64 exec, exec, s[8:9]
	v_fma_f64 v[10:11], v[18:19], v[10:11], v[16:17]
	v_fma_f64 v[8:9], v[18:19], v[26:27], v[22:23]
	;; [unrolled: 1-line block ×4, first 2 shown]
.LBB169_24:
	v_lshlrev_b32_e32 v12, 9, v58
	v_lshl_or_b32 v12, v7, 3, v12
	ds_write2_b64 v12, v[10:11], v[8:9] offset1:16
	ds_write2_b64 v12, v[3:4], v[1:2] offset0:32 offset1:48
	s_waitcnt lgkmcnt(0)
	s_barrier
	s_and_b64 exec, exec, vcc
	s_cbranch_execz .LBB169_27
; %bb.25:
	v_lshlrev_b32_e32 v19, 7, v0
	v_lshl_or_b32 v1, v7, 3, v19
	ds_read_b64 v[1:2], v1
	v_add_u32_e32 v4, 2, v0
	v_and_b32_e32 v4, 15, v4
	v_add_u32_e32 v3, 1, v0
	v_lshl_or_b32 v8, v4, 3, v19
	s_waitcnt lgkmcnt(0)
	v_add_f64 v[1:2], v[1:2], 0
	v_add_u32_e32 v4, 3, v0
	v_and_b32_e32 v3, 15, v3
	v_and_b32_e32 v4, 15, v4
	v_lshl_or_b32 v3, v3, 3, v19
	v_lshl_or_b32 v10, v4, 3, v19
	ds_read_b64 v[3:4], v3
	ds_read_b64 v[8:9], v8
	;; [unrolled: 1-line block ×3, first 2 shown]
	v_xor_b32_e32 v7, 8, v7
	v_mov_b32_e32 v17, s17
	s_waitcnt lgkmcnt(2)
	v_add_f64 v[1:2], v[1:2], v[3:4]
	v_add_u32_e32 v3, 4, v0
	v_add_u32_e32 v4, 5, v0
	v_and_b32_e32 v3, 15, v3
	v_and_b32_e32 v4, 15, v4
	v_lshl_or_b32 v3, v3, 3, v19
	v_add_u32_e32 v14, 9, v0
	v_add_u32_e32 v16, 11, v0
	s_waitcnt lgkmcnt(1)
	v_add_f64 v[1:2], v[1:2], v[8:9]
	v_add_u32_e32 v8, 6, v0
	v_add_u32_e32 v9, 7, v0
	v_and_b32_e32 v8, 15, v8
	v_and_b32_e32 v9, 15, v9
	v_lshl_or_b32 v12, v9, 3, v19
	v_add_u32_e32 v15, 10, v0
	v_and_b32_e32 v14, 15, v14
	s_waitcnt lgkmcnt(0)
	v_add_f64 v[1:2], v[1:2], v[10:11]
	v_lshl_or_b32 v10, v4, 3, v19
	ds_read_b64 v[3:4], v3
	v_lshl_or_b32 v11, v8, 3, v19
	ds_read_b64 v[8:9], v10
	ds_read_b64 v[10:11], v11
	;; [unrolled: 1-line block ×3, first 2 shown]
	v_and_b32_e32 v16, 15, v16
	v_and_b32_e32 v15, 15, v15
	s_waitcnt lgkmcnt(3)
	v_add_f64 v[1:2], v[1:2], v[3:4]
	v_mad_u64_u32 v[3:4], s[0:1], s2, v0, 0
	s_waitcnt lgkmcnt(2)
	v_add_f64 v[1:2], v[1:2], v[8:9]
	v_lshl_or_b32 v9, v7, 3, v19
	v_mad_u64_u32 v[7:8], s[0:1], s3, v0, v[4:5]
	s_mov_b64 s[0:1], 0
	v_mov_b32_e32 v4, v7
	v_lshlrev_b64 v[3:4], 3, v[3:4]
	s_waitcnt lgkmcnt(1)
	v_add_f64 v[1:2], v[1:2], v[10:11]
	v_add_co_u32_e32 v7, vcc, s16, v3
	v_addc_co_u32_e32 v8, vcc, v17, v4, vcc
	ds_read_b64 v[9:10], v9
	v_lshl_or_b32 v17, v16, 3, v19
	v_lshl_or_b32 v4, v15, 3, v19
	s_waitcnt lgkmcnt(1)
	v_add_f64 v[11:12], v[1:2], v[12:13]
	flat_load_dwordx2 v[2:3], v[7:8]
	v_lshl_or_b32 v1, v14, 3, v19
	ds_read_b64 v[13:14], v1
	ds_read_b64 v[15:16], v4
	;; [unrolled: 1-line block ×3, first 2 shown]
	v_add_u32_e32 v1, 12, v0
	v_and_b32_e32 v1, 15, v1
	v_lshl_or_b32 v1, v1, 3, v19
	v_add_u32_e32 v4, 13, v0
	s_waitcnt lgkmcnt(0)
	v_add_f64 v[9:10], v[11:12], v[9:10]
	ds_read_b64 v[11:12], v1
	v_and_b32_e32 v4, 15, v4
	v_lshl_or_b32 v4, v4, 3, v19
	v_add_f64 v[9:10], v[9:10], v[13:14]
	v_add_u32_e32 v13, 14, v0
	v_add_u32_e32 v0, -1, v0
	v_and_b32_e32 v1, 15, v13
	v_and_b32_e32 v0, 15, v0
	v_lshl_or_b32 v13, v1, 3, v19
	v_add_f64 v[9:10], v[9:10], v[15:16]
	v_lshl_or_b32 v15, v0, 3, v19
	ds_read_b64 v[0:1], v4
	ds_read_b64 v[13:14], v13
	;; [unrolled: 1-line block ×3, first 2 shown]
	v_add_f64 v[9:10], v[9:10], v[17:18]
	s_waitcnt lgkmcnt(0)
	v_add_f64 v[9:10], v[9:10], v[11:12]
	v_add_f64 v[0:1], v[9:10], v[0:1]
	;; [unrolled: 1-line block ×4, first 2 shown]
	v_mul_f64 v[4:5], v[5:6], v[0:1]
.LBB169_26:                             ; =>This Inner Loop Header: Depth=1
	s_waitcnt vmcnt(0)
	v_add_f64 v[0:1], v[2:3], v[4:5]
	flat_atomic_cmpswap_x2 v[0:1], v[7:8], v[0:3] glc
	s_waitcnt vmcnt(0) lgkmcnt(0)
	v_cmp_eq_u64_e32 vcc, v[0:1], v[2:3]
	v_mov_b32_e32 v3, v1
	s_or_b64 s[0:1], vcc, s[0:1]
	v_mov_b32_e32 v2, v0
	s_andn2_b64 exec, exec, s[0:1]
	s_cbranch_execnz .LBB169_26
.LBB169_27:
	s_endpgm
	.section	.rodata,"a",@progbits
	.p2align	6, 0x0
	.amdhsa_kernel _ZL54rocblas_symv_kernel_lower_double_buffered_non_diagonalILi32ELi4ELi4E24rocblas_internal_val_ptrIdEPKPKdPKPdEvbiT2_lT3_lllSA_lllT4_llli
		.amdhsa_group_segment_fixed_size 6400
		.amdhsa_private_segment_fixed_size 0
		.amdhsa_kernarg_size 384
		.amdhsa_user_sgpr_count 6
		.amdhsa_user_sgpr_private_segment_buffer 1
		.amdhsa_user_sgpr_dispatch_ptr 0
		.amdhsa_user_sgpr_queue_ptr 0
		.amdhsa_user_sgpr_kernarg_segment_ptr 1
		.amdhsa_user_sgpr_dispatch_id 0
		.amdhsa_user_sgpr_flat_scratch_init 0
		.amdhsa_user_sgpr_private_segment_size 0
		.amdhsa_uses_dynamic_stack 0
		.amdhsa_system_sgpr_private_segment_wavefront_offset 0
		.amdhsa_system_sgpr_workgroup_id_x 1
		.amdhsa_system_sgpr_workgroup_id_y 1
		.amdhsa_system_sgpr_workgroup_id_z 1
		.amdhsa_system_sgpr_workgroup_info 0
		.amdhsa_system_vgpr_workitem_id 1
		.amdhsa_next_free_vgpr 69
		.amdhsa_next_free_sgpr 98
		.amdhsa_reserve_vcc 1
		.amdhsa_reserve_flat_scratch 0
		.amdhsa_float_round_mode_32 0
		.amdhsa_float_round_mode_16_64 0
		.amdhsa_float_denorm_mode_32 3
		.amdhsa_float_denorm_mode_16_64 3
		.amdhsa_dx10_clamp 1
		.amdhsa_ieee_mode 1
		.amdhsa_fp16_overflow 0
		.amdhsa_exception_fp_ieee_invalid_op 0
		.amdhsa_exception_fp_denorm_src 0
		.amdhsa_exception_fp_ieee_div_zero 0
		.amdhsa_exception_fp_ieee_overflow 0
		.amdhsa_exception_fp_ieee_underflow 0
		.amdhsa_exception_fp_ieee_inexact 0
		.amdhsa_exception_int_div_zero 0
	.end_amdhsa_kernel
	.section	.text._ZL54rocblas_symv_kernel_lower_double_buffered_non_diagonalILi32ELi4ELi4E24rocblas_internal_val_ptrIdEPKPKdPKPdEvbiT2_lT3_lllSA_lllT4_llli,"axG",@progbits,_ZL54rocblas_symv_kernel_lower_double_buffered_non_diagonalILi32ELi4ELi4E24rocblas_internal_val_ptrIdEPKPKdPKPdEvbiT2_lT3_lllSA_lllT4_llli,comdat
.Lfunc_end169:
	.size	_ZL54rocblas_symv_kernel_lower_double_buffered_non_diagonalILi32ELi4ELi4E24rocblas_internal_val_ptrIdEPKPKdPKPdEvbiT2_lT3_lllSA_lllT4_llli, .Lfunc_end169-_ZL54rocblas_symv_kernel_lower_double_buffered_non_diagonalILi32ELi4ELi4E24rocblas_internal_val_ptrIdEPKPKdPKPdEvbiT2_lT3_lllSA_lllT4_llli
                                        ; -- End function
	.set _ZL54rocblas_symv_kernel_lower_double_buffered_non_diagonalILi32ELi4ELi4E24rocblas_internal_val_ptrIdEPKPKdPKPdEvbiT2_lT3_lllSA_lllT4_llli.num_vgpr, 69
	.set _ZL54rocblas_symv_kernel_lower_double_buffered_non_diagonalILi32ELi4ELi4E24rocblas_internal_val_ptrIdEPKPKdPKPdEvbiT2_lT3_lllSA_lllT4_llli.num_agpr, 0
	.set _ZL54rocblas_symv_kernel_lower_double_buffered_non_diagonalILi32ELi4ELi4E24rocblas_internal_val_ptrIdEPKPKdPKPdEvbiT2_lT3_lllSA_lllT4_llli.numbered_sgpr, 28
	.set _ZL54rocblas_symv_kernel_lower_double_buffered_non_diagonalILi32ELi4ELi4E24rocblas_internal_val_ptrIdEPKPKdPKPdEvbiT2_lT3_lllSA_lllT4_llli.num_named_barrier, 0
	.set _ZL54rocblas_symv_kernel_lower_double_buffered_non_diagonalILi32ELi4ELi4E24rocblas_internal_val_ptrIdEPKPKdPKPdEvbiT2_lT3_lllSA_lllT4_llli.private_seg_size, 0
	.set _ZL54rocblas_symv_kernel_lower_double_buffered_non_diagonalILi32ELi4ELi4E24rocblas_internal_val_ptrIdEPKPKdPKPdEvbiT2_lT3_lllSA_lllT4_llli.uses_vcc, 1
	.set _ZL54rocblas_symv_kernel_lower_double_buffered_non_diagonalILi32ELi4ELi4E24rocblas_internal_val_ptrIdEPKPKdPKPdEvbiT2_lT3_lllSA_lllT4_llli.uses_flat_scratch, 0
	.set _ZL54rocblas_symv_kernel_lower_double_buffered_non_diagonalILi32ELi4ELi4E24rocblas_internal_val_ptrIdEPKPKdPKPdEvbiT2_lT3_lllSA_lllT4_llli.has_dyn_sized_stack, 0
	.set _ZL54rocblas_symv_kernel_lower_double_buffered_non_diagonalILi32ELi4ELi4E24rocblas_internal_val_ptrIdEPKPKdPKPdEvbiT2_lT3_lllSA_lllT4_llli.has_recursion, 0
	.set _ZL54rocblas_symv_kernel_lower_double_buffered_non_diagonalILi32ELi4ELi4E24rocblas_internal_val_ptrIdEPKPKdPKPdEvbiT2_lT3_lllSA_lllT4_llli.has_indirect_call, 0
	.section	.AMDGPU.csdata,"",@progbits
; Kernel info:
; codeLenInByte = 3224
; TotalNumSgprs: 32
; NumVgprs: 69
; ScratchSize: 0
; MemoryBound: 0
; FloatMode: 240
; IeeeMode: 1
; LDSByteSize: 6400 bytes/workgroup (compile time only)
; SGPRBlocks: 12
; VGPRBlocks: 17
; NumSGPRsForWavesPerEU: 102
; NumVGPRsForWavesPerEU: 69
; Occupancy: 3
; WaveLimiterHint : 1
; COMPUTE_PGM_RSRC2:SCRATCH_EN: 0
; COMPUTE_PGM_RSRC2:USER_SGPR: 6
; COMPUTE_PGM_RSRC2:TRAP_HANDLER: 0
; COMPUTE_PGM_RSRC2:TGID_X_EN: 1
; COMPUTE_PGM_RSRC2:TGID_Y_EN: 1
; COMPUTE_PGM_RSRC2:TGID_Z_EN: 1
; COMPUTE_PGM_RSRC2:TIDIG_COMP_CNT: 1
	.section	.text._ZL58rocblas_symv_kernel_lower_double_buffered_diagonal_genericILi32ELi4E24rocblas_internal_val_ptrIdEPKPKdPKPdEvbiT1_lT2_lllSA_lllS9_lT3_lllii,"axG",@progbits,_ZL58rocblas_symv_kernel_lower_double_buffered_diagonal_genericILi32ELi4E24rocblas_internal_val_ptrIdEPKPKdPKPdEvbiT1_lT2_lllSA_lllS9_lT3_lllii,comdat
	.globl	_ZL58rocblas_symv_kernel_lower_double_buffered_diagonal_genericILi32ELi4E24rocblas_internal_val_ptrIdEPKPKdPKPdEvbiT1_lT2_lllSA_lllS9_lT3_lllii ; -- Begin function _ZL58rocblas_symv_kernel_lower_double_buffered_diagonal_genericILi32ELi4E24rocblas_internal_val_ptrIdEPKPKdPKPdEvbiT1_lT2_lllSA_lllS9_lT3_lllii
	.p2align	8
	.type	_ZL58rocblas_symv_kernel_lower_double_buffered_diagonal_genericILi32ELi4E24rocblas_internal_val_ptrIdEPKPKdPKPdEvbiT1_lT2_lllSA_lllS9_lT3_lllii,@function
_ZL58rocblas_symv_kernel_lower_double_buffered_diagonal_genericILi32ELi4E24rocblas_internal_val_ptrIdEPKPKdPKPdEvbiT1_lT2_lllSA_lllS9_lT3_lllii: ; @_ZL58rocblas_symv_kernel_lower_double_buffered_diagonal_genericILi32ELi4E24rocblas_internal_val_ptrIdEPKPKdPKPdEvbiT1_lT2_lllSA_lllS9_lT3_lllii
; %bb.0:
	s_load_dword s0, s[4:5], 0x0
	s_load_dwordx8 s[8:15], s[4:5], 0x8
	s_mov_b32 s18, s7
	s_waitcnt lgkmcnt(0)
	s_bitcmp1_b32 s0, 0
	s_load_dwordx2 s[16:17], s[4:5], 0x28
	s_load_dwordx4 s[0:3], s[4:5], 0x58
	s_cselect_b64 s[22:23], -1, 0
	v_mov_b32_e32 v4, s8
	s_xor_b64 s[20:21], s[22:23], -1
	s_and_b64 vcc, exec, s[22:23]
	v_mov_b32_e32 v5, s9
	s_cbranch_vccnz .LBB170_2
; %bb.1:
	s_mul_i32 s7, s11, s18
	s_mul_hi_u32 s11, s10, s18
	s_add_i32 s11, s11, s7
	s_mul_i32 s10, s10, s18
	s_lshl_b64 s[10:11], s[10:11], 3
	s_add_u32 s8, s8, s10
	s_addc_u32 s9, s9, s11
	v_mov_b32_e32 v2, s8
	v_mov_b32_e32 v3, s9
	flat_load_dwordx2 v[4:5], v[2:3]
.LBB170_2:
	s_waitcnt lgkmcnt(0)
	v_mov_b32_e32 v3, s1
	s_andn2_b64 vcc, exec, s[20:21]
	v_mov_b32_e32 v2, s0
	s_cbranch_vccnz .LBB170_4
; %bb.3:
	s_mul_i32 s3, s3, s18
	s_mul_hi_u32 s7, s2, s18
	s_add_i32 s3, s7, s3
	s_mul_i32 s2, s2, s18
	s_lshl_b64 s[2:3], s[2:3], 3
	s_add_u32 s0, s0, s2
	s_addc_u32 s1, s1, s3
	v_mov_b32_e32 v3, s1
	v_mov_b32_e32 v2, s0
	flat_load_dwordx2 v[2:3], v[2:3]
.LBB170_4:
	s_waitcnt vmcnt(0)
	v_cmp_neq_f64_e32 vcc, 0, v[4:5]
	s_waitcnt lgkmcnt(0)
	v_cmp_neq_f64_e64 s[0:1], 1.0, v[2:3]
	s_or_b64 s[0:1], vcc, s[0:1]
	s_and_saveexec_b64 s[2:3], s[0:1]
	s_cbranch_execz .LBB170_66
; %bb.5:
	v_cmp_neq_f64_e64 s[0:1], 0, v[4:5]
	v_cmp_eq_f64_e32 vcc, 0, v[4:5]
	s_mov_b32 s19, 0
	v_mov_b32_e32 v10, s18
	v_mov_b32_e32 v11, s19
	s_and_saveexec_b64 s[2:3], vcc
	s_xor_b64 s[2:3], exec, s[2:3]
; %bb.6:
	v_mov_b32_e32 v10, s18
	v_mov_b32_e32 v11, s19
; %bb.7:
	s_or_saveexec_b64 s[8:9], s[2:3]
	s_load_dwordx2 s[2:3], s[4:5], 0x68
	v_mov_b32_e32 v6, 0
	v_mov_b32_e32 v8, 0
	;; [unrolled: 1-line block ×4, first 2 shown]
	s_xor_b64 exec, exec, s[8:9]
	s_cbranch_execz .LBB170_9
; %bb.8:
	s_lshl_b64 s[10:11], s[18:19], 3
	s_add_u32 s10, s12, s10
	s_addc_u32 s11, s13, s11
	s_load_dwordx2 s[10:11], s[10:11], 0x0
	s_lshl_b64 s[12:13], s[14:15], 3
	s_waitcnt lgkmcnt(0)
	s_add_u32 s10, s10, s12
	s_addc_u32 s11, s11, s13
	v_mov_b32_e32 v8, s10
	v_mov_b32_e32 v9, s11
.LBB170_9:
	s_or_b64 exec, exec, s[8:9]
	s_load_dwordx4 s[8:11], s[4:5], 0x38
	s_load_dwordx2 s[12:13], s[4:5], 0x48
	v_lshlrev_b64 v[10:11], 3, v[10:11]
	s_and_saveexec_b64 s[14:15], s[0:1]
	s_cbranch_execz .LBB170_11
; %bb.10:
	s_waitcnt lgkmcnt(0)
	v_mov_b32_e32 v7, s9
	v_add_co_u32_e64 v6, s[0:1], s8, v10
	v_addc_co_u32_e64 v7, s[0:1], v7, v11, s[0:1]
	global_load_dwordx2 v[6:7], v[6:7], off
	s_lshl_b64 s[0:1], s[10:11], 3
	v_mov_b32_e32 v12, s1
	s_waitcnt vmcnt(0)
	v_add_co_u32_e64 v6, s[0:1], s0, v6
	v_addc_co_u32_e64 v7, s[0:1], v7, v12, s[0:1]
.LBB170_11:
	s_or_b64 exec, exec, s[14:15]
	s_waitcnt lgkmcnt(0)
	v_mov_b32_e32 v12, s3
	v_add_co_u32_e64 v10, s[0:1], s2, v10
	v_addc_co_u32_e64 v11, s[0:1], v12, v11, s[0:1]
	global_load_dwordx2 v[10:11], v[10:11], off
	s_load_dwordx4 s[0:3], s[4:5], 0x70
	s_load_dword s18, s[4:5], 0x88
	s_lshl_b32 s19, s6, 5
	s_ashr_i32 s20, s19, 31
	s_waitcnt lgkmcnt(0)
	s_lshl_b64 s[0:1], s[0:1], 3
	s_mul_i32 s7, s2, s20
	s_mul_hi_u32 s9, s2, s19
	s_mul_i32 s10, s3, s19
	v_mov_b32_e32 v12, s1
	s_add_i32 s1, s9, s7
	s_mul_i32 s8, s2, s19
	s_add_i32 s9, s1, s10
	s_lshl_b64 s[8:9], s[8:9], 3
	v_mov_b32_e32 v13, s9
	s_waitcnt vmcnt(0)
	v_add_co_u32_e64 v10, s[0:1], s0, v10
	v_addc_co_u32_e64 v11, s[0:1], v11, v12, s[0:1]
	v_add_co_u32_e64 v14, s[0:1], s8, v10
	v_addc_co_u32_e64 v15, s[0:1], v11, v13, s[0:1]
	s_and_saveexec_b64 s[0:1], vcc
	s_xor_b64 s[0:1], exec, s[0:1]
	s_cbranch_execz .LBB170_18
; %bb.12:
	v_cmp_eq_u32_e32 vcc, 0, v1
	s_and_saveexec_b64 s[8:9], vcc
	s_cbranch_execz .LBB170_17
; %bb.13:
	v_cmp_gt_i32_e64 s[10:11], s18, v0
	v_cmp_le_i32_e32 vcc, s18, v0
	s_and_saveexec_b64 s[14:15], vcc
	s_cbranch_execz .LBB170_15
; %bb.14:
	s_load_dword s7, s[4:5], 0x90
	s_waitcnt lgkmcnt(0)
	s_add_i32 s7, s7, -1
	s_cmp_lt_u32 s6, s7
	s_cselect_b64 s[22:23], -1, 0
	s_andn2_b64 s[10:11], s[10:11], exec
	s_and_b64 s[22:23], s[22:23], exec
	s_or_b64 s[10:11], s[10:11], s[22:23]
.LBB170_15:
	s_or_b64 exec, exec, s[14:15]
	s_and_b64 exec, exec, s[10:11]
	s_cbranch_execz .LBB170_17
; %bb.16:
	v_mad_u64_u32 v[4:5], s[10:11], s2, v0, 0
	v_mov_b32_e32 v1, v5
	v_mad_u64_u32 v[0:1], s[10:11], s3, v0, v[1:2]
	v_mov_b32_e32 v5, v0
	v_lshlrev_b64 v[0:1], 3, v[4:5]
	v_add_co_u32_e32 v0, vcc, v14, v0
	v_addc_co_u32_e32 v1, vcc, v15, v1, vcc
	flat_load_dwordx2 v[4:5], v[0:1]
	s_waitcnt vmcnt(0) lgkmcnt(0)
	v_mul_f64 v[2:3], v[2:3], v[4:5]
	flat_store_dwordx2 v[0:1], v[2:3]
.LBB170_17:
	s_or_b64 exec, exec, s[8:9]
                                        ; implicit-def: $vgpr1
                                        ; implicit-def: $vgpr4_vgpr5
                                        ; implicit-def: $vgpr2_vgpr3
                                        ; implicit-def: $vgpr0
                                        ; implicit-def: $vgpr14
                                        ; implicit-def: $vgpr15
                                        ; implicit-def: $vgpr8_vgpr9
                                        ; implicit-def: $vgpr6_vgpr7
.LBB170_18:
	s_andn2_saveexec_b64 s[0:1], s[0:1]
	s_cbranch_execz .LBB170_66
; %bb.19:
	s_mul_i32 s0, s12, s20
	s_mul_hi_u32 s1, s12, s19
	s_add_i32 s0, s1, s0
	s_mul_i32 s1, s13, s19
	s_add_i32 s1, s0, s1
	s_mul_i32 s0, s12, s19
	s_lshl_b64 s[0:1], s[0:1], 3
	v_mov_b32_e32 v11, s1
	s_load_dword s1, s[4:5], 0x90
	v_add_co_u32_e32 v10, vcc, s0, v6
	v_addc_co_u32_e32 v11, vcc, v7, v11, vcc
	s_waitcnt lgkmcnt(0)
	s_add_i32 s1, s1, -1
	s_cmp_lg_u32 s6, s1
	s_cselect_b64 s[4:5], -1, 0
	v_cmp_eq_u32_e64 s[0:1], 0, v1
	s_and_b64 vcc, exec, s[4:5]
	s_cbranch_vccz .LBB170_25
; %bb.20:
	v_mov_b32_e32 v6, 0
	v_mov_b32_e32 v7, 0
	s_and_saveexec_b64 s[6:7], s[0:1]
	s_cbranch_execz .LBB170_24
; %bb.21:
	v_mad_u64_u32 v[6:7], s[8:9], s12, v0, 0
	v_lshlrev_b32_e32 v16, 3, v0
	v_mad_u64_u32 v[12:13], s[8:9], s13, v0, v[7:8]
	v_mov_b32_e32 v7, v12
	v_lshlrev_b64 v[6:7], 3, v[6:7]
	v_add_co_u32_e32 v6, vcc, v10, v6
	v_addc_co_u32_e32 v7, vcc, v11, v7, vcc
	flat_load_dwordx2 v[12:13], v[6:7]
	v_cmp_neq_f64_e32 vcc, 0, v[2:3]
	v_mov_b32_e32 v6, 0
	v_mov_b32_e32 v7, 0
	s_waitcnt vmcnt(0) lgkmcnt(0)
	ds_write_b64 v16, v[12:13] offset:10240
	s_and_saveexec_b64 s[8:9], vcc
	s_cbranch_execz .LBB170_23
; %bb.22:
	v_mad_u64_u32 v[6:7], s[10:11], s2, v0, 0
	v_mad_u64_u32 v[12:13], s[10:11], s3, v0, v[7:8]
	v_mov_b32_e32 v7, v12
	v_lshlrev_b64 v[6:7], 3, v[6:7]
	v_add_co_u32_e32 v6, vcc, v14, v6
	v_addc_co_u32_e32 v7, vcc, v15, v7, vcc
	flat_load_dwordx2 v[6:7], v[6:7]
	s_waitcnt vmcnt(0) lgkmcnt(0)
	v_mul_f64 v[6:7], v[2:3], v[6:7]
.LBB170_23:
	s_or_b64 exec, exec, s[8:9]
.LBB170_24:
	s_or_b64 exec, exec, s[6:7]
	s_cbranch_execz .LBB170_26
	s_branch .LBB170_35
.LBB170_25:
                                        ; implicit-def: $vgpr6_vgpr7
.LBB170_26:
	v_mov_b32_e32 v6, 0
	v_mov_b32_e32 v7, 0
	s_and_saveexec_b64 s[6:7], s[0:1]
	s_cbranch_execz .LBB170_34
; %bb.27:
	v_cmp_le_i32_e32 vcc, s18, v0
	s_and_saveexec_b64 s[8:9], vcc
	s_xor_b64 s[8:9], exec, s[8:9]
; %bb.28:
	v_mov_b32_e32 v6, 0
	v_lshlrev_b32_e32 v10, 3, v0
	v_mov_b32_e32 v7, v6
	ds_write_b64 v10, v[6:7] offset:10240
                                        ; implicit-def: $vgpr10
                                        ; implicit-def: $vgpr11
; %bb.29:
	s_or_saveexec_b64 s[8:9], s[8:9]
	v_mov_b32_e32 v6, 0
	v_mov_b32_e32 v7, 0
	s_xor_b64 exec, exec, s[8:9]
	s_cbranch_execz .LBB170_33
; %bb.30:
	v_mad_u64_u32 v[6:7], s[10:11], s12, v0, 0
	v_mad_u64_u32 v[12:13], s[10:11], s13, v0, v[7:8]
	v_mov_b32_e32 v7, v12
	v_lshlrev_b64 v[6:7], 3, v[6:7]
	v_lshlrev_b32_e32 v12, 3, v0
	v_add_co_u32_e32 v6, vcc, v10, v6
	v_addc_co_u32_e32 v7, vcc, v11, v7, vcc
	flat_load_dwordx2 v[10:11], v[6:7]
	v_cmp_neq_f64_e32 vcc, 0, v[2:3]
	v_mov_b32_e32 v6, 0
	v_mov_b32_e32 v7, 0
	s_waitcnt vmcnt(0) lgkmcnt(0)
	ds_write_b64 v12, v[10:11] offset:10240
	s_and_saveexec_b64 s[10:11], vcc
	s_cbranch_execz .LBB170_32
; %bb.31:
	v_mad_u64_u32 v[6:7], s[12:13], s2, v0, 0
	v_mad_u64_u32 v[10:11], s[12:13], s3, v0, v[7:8]
	v_mov_b32_e32 v7, v10
	v_lshlrev_b64 v[6:7], 3, v[6:7]
	v_add_co_u32_e32 v6, vcc, v14, v6
	v_addc_co_u32_e32 v7, vcc, v15, v7, vcc
	flat_load_dwordx2 v[6:7], v[6:7]
	s_waitcnt vmcnt(0) lgkmcnt(0)
	v_mul_f64 v[6:7], v[2:3], v[6:7]
.LBB170_32:
	s_or_b64 exec, exec, s[10:11]
.LBB170_33:
	s_or_b64 exec, exec, s[8:9]
.LBB170_34:
	s_or_b64 exec, exec, s[6:7]
.LBB170_35:
	s_add_u32 s6, s16, 1
	s_addc_u32 s7, s17, 0
	s_mul_i32 s8, s6, s20
	s_mul_hi_u32 s9, s6, s19
	s_add_i32 s8, s9, s8
	s_mul_i32 s7, s7, s19
	s_add_i32 s7, s8, s7
	v_mad_u64_u32 v[10:11], s[8:9], s16, v1, 0
	s_mul_i32 s6, s6, s19
	s_lshl_b64 s[6:7], s[6:7], 3
	v_mad_u64_u32 v[11:12], s[8:9], s17, v1, v[11:12]
	v_mov_b32_e32 v13, s7
	v_add_co_u32_e32 v16, vcc, s6, v8
	v_addc_co_u32_e32 v17, vcc, v9, v13, vcc
	v_lshlrev_b64 v[12:13], 3, v[10:11]
	v_lshlrev_b32_e32 v19, 5, v1
	v_add_co_u32_e32 v10, vcc, v16, v12
	v_addc_co_u32_e32 v11, vcc, v17, v13, vcc
	v_lshlrev_b32_e32 v16, 3, v0
	v_add_co_u32_e32 v10, vcc, v10, v16
	v_addc_co_u32_e32 v11, vcc, 0, v11, vcc
	v_lshlrev_b32_e32 v17, 8, v1
	s_mov_b64 s[8:9], -1
	s_andn2_b64 vcc, exec, s[4:5]
	v_add_u32_e32 v17, v16, v17
	s_cbranch_vccnz .LBB170_37
; %bb.36:
	s_lshl_b64 s[8:9], s[16:17], 5
	v_mov_b32_e32 v18, s9
	v_add_co_u32_e32 v20, vcc, s8, v10
	v_addc_co_u32_e32 v21, vcc, v11, v18, vcc
	v_add_co_u32_e32 v22, vcc, s8, v20
	v_addc_co_u32_e32 v23, vcc, v21, v18, vcc
	;; [unrolled: 2-line block ×3, first 2 shown]
	flat_load_dwordx2 v[26:27], v[10:11]
	flat_load_dwordx2 v[28:29], v[20:21]
	;; [unrolled: 1-line block ×4, first 2 shown]
	v_add_co_u32_e32 v20, vcc, s8, v24
	v_addc_co_u32_e32 v21, vcc, v25, v18, vcc
	v_add_co_u32_e32 v22, vcc, s8, v20
	v_addc_co_u32_e32 v23, vcc, v21, v18, vcc
	;; [unrolled: 2-line block ×4, first 2 shown]
	flat_load_dwordx2 v[36:37], v[20:21]
	flat_load_dwordx2 v[38:39], v[22:23]
	;; [unrolled: 1-line block ×4, first 2 shown]
	s_mov_b64 s[8:9], 0
	s_waitcnt vmcnt(0) lgkmcnt(0)
	ds_write2st64_b64 v17, v[26:27], v[28:29] offset1:2
	ds_write2st64_b64 v17, v[30:31], v[32:33] offset0:4 offset1:6
	ds_write2st64_b64 v17, v[36:37], v[38:39] offset0:8 offset1:10
	;; [unrolled: 1-line block ×3, first 2 shown]
.LBB170_37:
	s_andn2_b64 vcc, exec, s[8:9]
	v_add_u32_e32 v18, v19, v0
	s_cbranch_vccnz .LBB170_45
; %bb.38:
	s_mov_b32 s8, 0
	s_mov_b32 s9, s8
	v_mov_b32_e32 v21, s9
	v_mov_b32_e32 v20, s8
	v_cmp_gt_i32_e32 vcc, s18, v0
	ds_write2st64_b64 v17, v[20:21], v[20:21] offset1:2
	ds_write2st64_b64 v17, v[20:21], v[20:21] offset0:4 offset1:6
	ds_write2st64_b64 v17, v[20:21], v[20:21] offset0:8 offset1:10
	;; [unrolled: 1-line block ×3, first 2 shown]
	s_and_saveexec_b64 s[10:11], vcc
	s_cbranch_execz .LBB170_44
; %bb.39:
	s_cmp_lt_u32 s18, 4
	s_cbranch_scc1 .LBB170_42
; %bb.40:
	v_mov_b32_e32 v21, s7
	v_add_co_u32_e32 v12, vcc, s6, v12
	v_addc_co_u32_e32 v13, vcc, v21, v13, vcc
	v_add_co_u32_e32 v12, vcc, v12, v16
	v_addc_co_u32_e32 v13, vcc, 0, v13, vcc
	s_lshr_b32 s8, s18, 2
	v_add_co_u32_e32 v8, vcc, v8, v12
	s_lshl_b64 s[6:7], s[16:17], 5
	v_lshl_add_u32 v20, v19, 3, v16
	v_addc_co_u32_e32 v9, vcc, v9, v13, vcc
	v_mov_b32_e32 v12, s7
	s_mov_b32 s7, s8
.LBB170_41:                             ; =>This Inner Loop Header: Depth=1
	flat_load_dwordx2 v[21:22], v[8:9]
	s_add_i32 s7, s7, -1
	v_add_co_u32_e32 v8, vcc, s6, v8
	v_addc_co_u32_e32 v9, vcc, v9, v12, vcc
	s_cmp_lg_u32 s7, 0
	s_waitcnt vmcnt(0) lgkmcnt(0)
	ds_write_b64 v20, v[21:22]
	v_add_u32_e32 v20, 0x400, v20
	s_cbranch_scc1 .LBB170_41
.LBB170_42:
	s_and_b32 s6, s18, 3
	v_cmp_gt_u32_e32 vcc, s6, v1
	s_and_b64 exec, exec, vcc
	s_cbranch_execz .LBB170_44
; %bb.43:
	s_lshl_b32 s6, s8, 2
	s_mul_i32 s7, s17, s6
	s_mul_hi_u32 s9, s16, s6
	s_add_i32 s7, s9, s7
	s_mul_i32 s6, s16, s6
	s_lshl_b64 s[6:7], s[6:7], 3
	v_mov_b32_e32 v9, s7
	v_add_co_u32_e32 v8, vcc, s6, v10
	v_addc_co_u32_e32 v9, vcc, v11, v9, vcc
	flat_load_dwordx2 v[8:9], v[8:9]
	v_lshlrev_b32_e32 v10, 3, v18
	v_lshl_add_u32 v10, s8, 10, v10
	s_waitcnt vmcnt(0) lgkmcnt(0)
	ds_write_b64 v10, v[8:9]
.LBB170_44:
	s_or_b64 exec, exec, s[10:11]
.LBB170_45:
	v_cmp_ge_u32_e32 vcc, v0, v1
	v_lshlrev_b32_e32 v9, 8, v0
	s_waitcnt vmcnt(0) lgkmcnt(0)
	s_barrier
	s_and_saveexec_b64 s[6:7], vcc
	s_xor_b64 s[6:7], exec, s[6:7]
; %bb.46:
	v_lshlrev_b32_e32 v9, 8, v0
                                        ; implicit-def: $vgpr19
; %bb.47:
	s_or_saveexec_b64 s[6:7], s[6:7]
	v_lshlrev_b32_e32 v8, 3, v1
	s_xor_b64 exec, exec, s[6:7]
	s_cbranch_execz .LBB170_49
; %bb.48:
	v_mul_u32_u24_e32 v10, 0xf8, v0
	v_add3_u32 v10, v16, v10, v8
	ds_read_b64 v[10:11], v10
	v_lshl_add_u32 v12, v19, 3, v16
	s_waitcnt lgkmcnt(0)
	ds_write_b64 v12, v[10:11]
.LBB170_49:
	s_or_b64 exec, exec, s[6:7]
	v_sub_u32_e32 v10, v0, v1
	v_sub_u32_e32 v11, 0, v10
	v_max_i32_e32 v11, v10, v11
	v_cmp_gt_u32_e32 vcc, 4, v11
	v_lshl_add_u32 v10, v1, 3, v9
	v_lshl_add_u32 v9, v1, 8, v16
	s_and_saveexec_b64 s[6:7], vcc
	s_cbranch_execnz .LBB170_67
; %bb.50:
	s_or_b64 exec, exec, s[6:7]
	v_cmp_gt_u32_e32 vcc, 8, v11
	s_and_saveexec_b64 s[6:7], vcc
	s_cbranch_execnz .LBB170_68
.LBB170_51:
	s_or_b64 exec, exec, s[6:7]
	v_cmp_gt_u32_e32 vcc, 12, v11
	s_and_saveexec_b64 s[6:7], vcc
	s_cbranch_execnz .LBB170_69
.LBB170_52:
	s_or_b64 exec, exec, s[6:7]
	v_cmp_gt_u32_e32 vcc, 16, v11
	s_and_saveexec_b64 s[6:7], vcc
	s_cbranch_execnz .LBB170_70
.LBB170_53:
	s_or_b64 exec, exec, s[6:7]
	v_cmp_gt_u32_e32 vcc, 20, v11
	s_and_saveexec_b64 s[6:7], vcc
	s_cbranch_execnz .LBB170_71
.LBB170_54:
	s_or_b64 exec, exec, s[6:7]
	v_cmp_gt_u32_e32 vcc, 24, v11
	s_and_saveexec_b64 s[6:7], vcc
	s_cbranch_execz .LBB170_56
.LBB170_55:
	ds_read_b64 v[12:13], v10 offset:192
	s_waitcnt lgkmcnt(0)
	ds_write_b64 v17, v[12:13] offset:6144
.LBB170_56:
	s_or_b64 exec, exec, s[6:7]
	v_cmp_lt_u32_e32 vcc, 27, v11
	v_add_u32_e32 v12, 28, v1
                                        ; implicit-def: $vgpr11
	s_and_saveexec_b64 s[6:7], vcc
	s_xor_b64 s[6:7], exec, s[6:7]
; %bb.57:
	v_add_u32_e32 v12, 28, v1
	v_lshlrev_b32_e32 v11, 8, v12
                                        ; implicit-def: $vgpr10
; %bb.58:
	s_andn2_saveexec_b64 s[6:7], s[6:7]
	s_cbranch_execz .LBB170_60
; %bb.59:
	ds_read_b64 v[19:20], v10 offset:224
	v_lshlrev_b32_e32 v11, 8, v12
	v_add_u32_e32 v1, v16, v11
	s_waitcnt lgkmcnt(0)
	ds_write_b64 v1, v[19:20]
.LBB170_60:
	s_or_b64 exec, exec, s[6:7]
	v_add_u32_e32 v1, 0x2800, v8
	s_waitcnt lgkmcnt(0)
	s_barrier
	ds_read_b64 v[23:24], v17
	ds_read2_b64 v[19:22], v1 offset1:4
	v_lshlrev_b32_e32 v10, 3, v12
	ds_read_b64 v[12:13], v8 offset:10432
	ds_read_b64 v[27:28], v10 offset:10240
	s_waitcnt lgkmcnt(2)
	v_fma_f64 v[19:20], v[23:24], v[19:20], 0
	ds_read2st64_b64 v[23:26], v9 offset0:2 offset1:4
	s_waitcnt lgkmcnt(0)
	v_fma_f64 v[23:24], v[23:24], v[21:22], v[19:20]
	ds_read2_b64 v[19:22], v1 offset0:8 offset1:12
	s_waitcnt lgkmcnt(0)
	v_fma_f64 v[19:20], v[25:26], v[19:20], v[23:24]
	ds_read2st64_b64 v[23:26], v9 offset0:6 offset1:8
	s_waitcnt lgkmcnt(0)
	v_fma_f64 v[23:24], v[23:24], v[21:22], v[19:20]
	ds_read2_b64 v[19:22], v1 offset0:16 offset1:20
	v_add_u32_e32 v1, v16, v11
	ds_read_b64 v[10:11], v1
	v_lshlrev_b32_e32 v1, 3, v18
	s_waitcnt lgkmcnt(1)
	v_fma_f64 v[19:20], v[25:26], v[19:20], v[23:24]
	ds_read2st64_b64 v[23:26], v9 offset0:10 offset1:12
	s_waitcnt lgkmcnt(0)
	v_fma_f64 v[8:9], v[23:24], v[21:22], v[19:20]
	v_fma_f64 v[8:9], v[25:26], v[12:13], v[8:9]
	v_fma_f64 v[8:9], v[10:11], v[27:28], v[8:9]
	ds_write_b64 v1, v[8:9] offset:8192
	s_waitcnt lgkmcnt(0)
	s_barrier
	s_and_saveexec_b64 s[6:7], s[0:1]
	s_cbranch_execz .LBB170_66
; %bb.61:
	v_add_u32_e32 v1, 0x2000, v16
	ds_read2_b64 v[8:11], v1 offset1:32
	v_cmp_neq_f64_e32 vcc, 0, v[2:3]
	s_and_b64 s[0:1], exec, s[4:5]
	s_mov_b64 s[6:7], -1
	s_waitcnt lgkmcnt(0)
	v_add_f64 v[8:9], v[8:9], 0
	v_add_f64 v[12:13], v[8:9], v[10:11]
	ds_read2_b64 v[8:11], v1 offset0:64 offset1:96
	s_waitcnt lgkmcnt(0)
	v_add_f64 v[8:9], v[12:13], v[8:9]
	v_add_f64 v[8:9], v[8:9], v[10:11]
	v_mul_f64 v[10:11], v[4:5], v[8:9]
	v_fma_f64 v[4:5], v[4:5], v[8:9], v[6:7]
	v_cndmask_b32_e32 v2, v11, v5, vcc
	v_cndmask_b32_e32 v1, v10, v4, vcc
	s_mov_b64 vcc, s[0:1]
	s_cbranch_vccz .LBB170_63
; %bb.62:
	v_mad_u64_u32 v[3:4], s[0:1], s2, v0, 0
	s_mov_b64 s[6:7], 0
	v_mad_u64_u32 v[4:5], s[0:1], s3, v0, v[4:5]
	v_lshlrev_b64 v[3:4], 3, v[3:4]
	v_add_co_u32_e32 v3, vcc, v14, v3
	v_addc_co_u32_e32 v4, vcc, v15, v4, vcc
	flat_store_dwordx2 v[3:4], v[1:2]
.LBB170_63:
	s_andn2_b64 vcc, exec, s[6:7]
	s_cbranch_vccnz .LBB170_66
; %bb.64:
	v_cmp_gt_i32_e32 vcc, s18, v0
	s_and_b64 exec, exec, vcc
	s_cbranch_execz .LBB170_66
; %bb.65:
	v_mad_u64_u32 v[3:4], s[0:1], s2, v0, 0
	v_mad_u64_u32 v[4:5], s[0:1], s3, v0, v[4:5]
	v_lshlrev_b64 v[3:4], 3, v[3:4]
	v_add_co_u32_e32 v3, vcc, v14, v3
	v_addc_co_u32_e32 v4, vcc, v15, v4, vcc
	flat_store_dwordx2 v[3:4], v[1:2]
.LBB170_66:
	s_endpgm
.LBB170_67:
	ds_read_b64 v[12:13], v10 offset:32
	s_waitcnt lgkmcnt(0)
	ds_write_b64 v9, v[12:13] offset:1024
	s_or_b64 exec, exec, s[6:7]
	v_cmp_gt_u32_e32 vcc, 8, v11
	s_and_saveexec_b64 s[6:7], vcc
	s_cbranch_execz .LBB170_51
.LBB170_68:
	ds_read_b64 v[12:13], v10 offset:64
	s_waitcnt lgkmcnt(0)
	ds_write_b64 v9, v[12:13] offset:2048
	s_or_b64 exec, exec, s[6:7]
	v_cmp_gt_u32_e32 vcc, 12, v11
	s_and_saveexec_b64 s[6:7], vcc
	s_cbranch_execz .LBB170_52
.LBB170_69:
	ds_read_b64 v[12:13], v10 offset:96
	s_waitcnt lgkmcnt(0)
	ds_write_b64 v9, v[12:13] offset:3072
	s_or_b64 exec, exec, s[6:7]
	v_cmp_gt_u32_e32 vcc, 16, v11
	s_and_saveexec_b64 s[6:7], vcc
	s_cbranch_execz .LBB170_53
.LBB170_70:
	ds_read_b64 v[12:13], v10 offset:128
	s_waitcnt lgkmcnt(0)
	ds_write_b64 v17, v[12:13] offset:4096
	s_or_b64 exec, exec, s[6:7]
	v_cmp_gt_u32_e32 vcc, 20, v11
	s_and_saveexec_b64 s[6:7], vcc
	s_cbranch_execz .LBB170_54
.LBB170_71:
	ds_read_b64 v[12:13], v10 offset:160
	s_waitcnt lgkmcnt(0)
	ds_write_b64 v17, v[12:13] offset:5120
	s_or_b64 exec, exec, s[6:7]
	v_cmp_gt_u32_e32 vcc, 24, v11
	s_and_saveexec_b64 s[6:7], vcc
	s_cbranch_execnz .LBB170_55
	s_branch .LBB170_56
	.section	.rodata,"a",@progbits
	.p2align	6, 0x0
	.amdhsa_kernel _ZL58rocblas_symv_kernel_lower_double_buffered_diagonal_genericILi32ELi4E24rocblas_internal_val_ptrIdEPKPKdPKPdEvbiT1_lT2_lllSA_lllS9_lT3_lllii
		.amdhsa_group_segment_fixed_size 10496
		.amdhsa_private_segment_fixed_size 0
		.amdhsa_kernarg_size 400
		.amdhsa_user_sgpr_count 6
		.amdhsa_user_sgpr_private_segment_buffer 1
		.amdhsa_user_sgpr_dispatch_ptr 0
		.amdhsa_user_sgpr_queue_ptr 0
		.amdhsa_user_sgpr_kernarg_segment_ptr 1
		.amdhsa_user_sgpr_dispatch_id 0
		.amdhsa_user_sgpr_flat_scratch_init 0
		.amdhsa_user_sgpr_private_segment_size 0
		.amdhsa_uses_dynamic_stack 0
		.amdhsa_system_sgpr_private_segment_wavefront_offset 0
		.amdhsa_system_sgpr_workgroup_id_x 1
		.amdhsa_system_sgpr_workgroup_id_y 0
		.amdhsa_system_sgpr_workgroup_id_z 1
		.amdhsa_system_sgpr_workgroup_info 0
		.amdhsa_system_vgpr_workitem_id 1
		.amdhsa_next_free_vgpr 65
		.amdhsa_next_free_sgpr 98
		.amdhsa_reserve_vcc 1
		.amdhsa_reserve_flat_scratch 0
		.amdhsa_float_round_mode_32 0
		.amdhsa_float_round_mode_16_64 0
		.amdhsa_float_denorm_mode_32 3
		.amdhsa_float_denorm_mode_16_64 3
		.amdhsa_dx10_clamp 1
		.amdhsa_ieee_mode 1
		.amdhsa_fp16_overflow 0
		.amdhsa_exception_fp_ieee_invalid_op 0
		.amdhsa_exception_fp_denorm_src 0
		.amdhsa_exception_fp_ieee_div_zero 0
		.amdhsa_exception_fp_ieee_overflow 0
		.amdhsa_exception_fp_ieee_underflow 0
		.amdhsa_exception_fp_ieee_inexact 0
		.amdhsa_exception_int_div_zero 0
	.end_amdhsa_kernel
	.section	.text._ZL58rocblas_symv_kernel_lower_double_buffered_diagonal_genericILi32ELi4E24rocblas_internal_val_ptrIdEPKPKdPKPdEvbiT1_lT2_lllSA_lllS9_lT3_lllii,"axG",@progbits,_ZL58rocblas_symv_kernel_lower_double_buffered_diagonal_genericILi32ELi4E24rocblas_internal_val_ptrIdEPKPKdPKPdEvbiT1_lT2_lllSA_lllS9_lT3_lllii,comdat
.Lfunc_end170:
	.size	_ZL58rocblas_symv_kernel_lower_double_buffered_diagonal_genericILi32ELi4E24rocblas_internal_val_ptrIdEPKPKdPKPdEvbiT1_lT2_lllSA_lllS9_lT3_lllii, .Lfunc_end170-_ZL58rocblas_symv_kernel_lower_double_buffered_diagonal_genericILi32ELi4E24rocblas_internal_val_ptrIdEPKPKdPKPdEvbiT1_lT2_lllSA_lllS9_lT3_lllii
                                        ; -- End function
	.set _ZL58rocblas_symv_kernel_lower_double_buffered_diagonal_genericILi32ELi4E24rocblas_internal_val_ptrIdEPKPKdPKPdEvbiT1_lT2_lllSA_lllS9_lT3_lllii.num_vgpr, 44
	.set _ZL58rocblas_symv_kernel_lower_double_buffered_diagonal_genericILi32ELi4E24rocblas_internal_val_ptrIdEPKPKdPKPdEvbiT1_lT2_lllSA_lllS9_lT3_lllii.num_agpr, 0
	.set _ZL58rocblas_symv_kernel_lower_double_buffered_diagonal_genericILi32ELi4E24rocblas_internal_val_ptrIdEPKPKdPKPdEvbiT1_lT2_lllSA_lllS9_lT3_lllii.numbered_sgpr, 24
	.set _ZL58rocblas_symv_kernel_lower_double_buffered_diagonal_genericILi32ELi4E24rocblas_internal_val_ptrIdEPKPKdPKPdEvbiT1_lT2_lllSA_lllS9_lT3_lllii.num_named_barrier, 0
	.set _ZL58rocblas_symv_kernel_lower_double_buffered_diagonal_genericILi32ELi4E24rocblas_internal_val_ptrIdEPKPKdPKPdEvbiT1_lT2_lllSA_lllS9_lT3_lllii.private_seg_size, 0
	.set _ZL58rocblas_symv_kernel_lower_double_buffered_diagonal_genericILi32ELi4E24rocblas_internal_val_ptrIdEPKPKdPKPdEvbiT1_lT2_lllSA_lllS9_lT3_lllii.uses_vcc, 1
	.set _ZL58rocblas_symv_kernel_lower_double_buffered_diagonal_genericILi32ELi4E24rocblas_internal_val_ptrIdEPKPKdPKPdEvbiT1_lT2_lllSA_lllS9_lT3_lllii.uses_flat_scratch, 0
	.set _ZL58rocblas_symv_kernel_lower_double_buffered_diagonal_genericILi32ELi4E24rocblas_internal_val_ptrIdEPKPKdPKPdEvbiT1_lT2_lllSA_lllS9_lT3_lllii.has_dyn_sized_stack, 0
	.set _ZL58rocblas_symv_kernel_lower_double_buffered_diagonal_genericILi32ELi4E24rocblas_internal_val_ptrIdEPKPKdPKPdEvbiT1_lT2_lllSA_lllS9_lT3_lllii.has_recursion, 0
	.set _ZL58rocblas_symv_kernel_lower_double_buffered_diagonal_genericILi32ELi4E24rocblas_internal_val_ptrIdEPKPKdPKPdEvbiT1_lT2_lllSA_lllS9_lT3_lllii.has_indirect_call, 0
	.section	.AMDGPU.csdata,"",@progbits
; Kernel info:
; codeLenInByte = 2672
; TotalNumSgprs: 28
; NumVgprs: 44
; ScratchSize: 0
; MemoryBound: 0
; FloatMode: 240
; IeeeMode: 1
; LDSByteSize: 10496 bytes/workgroup (compile time only)
; SGPRBlocks: 12
; VGPRBlocks: 16
; NumSGPRsForWavesPerEU: 102
; NumVGPRsForWavesPerEU: 65
; Occupancy: 3
; WaveLimiterHint : 1
; COMPUTE_PGM_RSRC2:SCRATCH_EN: 0
; COMPUTE_PGM_RSRC2:USER_SGPR: 6
; COMPUTE_PGM_RSRC2:TRAP_HANDLER: 0
; COMPUTE_PGM_RSRC2:TGID_X_EN: 1
; COMPUTE_PGM_RSRC2:TGID_Y_EN: 0
; COMPUTE_PGM_RSRC2:TGID_Z_EN: 1
; COMPUTE_PGM_RSRC2:TIDIG_COMP_CNT: 1
	.section	.text._ZL62rocblas_symv_kernel_lower_double_buffered_non_diagonal_genericILi32ELi4ELi4E24rocblas_internal_val_ptrIdEPKPKdPKPdEvbiT2_lT3_lllSA_lllT4_lllii,"axG",@progbits,_ZL62rocblas_symv_kernel_lower_double_buffered_non_diagonal_genericILi32ELi4ELi4E24rocblas_internal_val_ptrIdEPKPKdPKPdEvbiT2_lT3_lllSA_lllT4_lllii,comdat
	.globl	_ZL62rocblas_symv_kernel_lower_double_buffered_non_diagonal_genericILi32ELi4ELi4E24rocblas_internal_val_ptrIdEPKPKdPKPdEvbiT2_lT3_lllSA_lllT4_lllii ; -- Begin function _ZL62rocblas_symv_kernel_lower_double_buffered_non_diagonal_genericILi32ELi4ELi4E24rocblas_internal_val_ptrIdEPKPKdPKPdEvbiT2_lT3_lllSA_lllT4_lllii
	.p2align	8
	.type	_ZL62rocblas_symv_kernel_lower_double_buffered_non_diagonal_genericILi32ELi4ELi4E24rocblas_internal_val_ptrIdEPKPKdPKPdEvbiT2_lT3_lllSA_lllT4_lllii,@function
_ZL62rocblas_symv_kernel_lower_double_buffered_non_diagonal_genericILi32ELi4ELi4E24rocblas_internal_val_ptrIdEPKPKdPKPdEvbiT2_lT3_lllSA_lllT4_lllii: ; @_ZL62rocblas_symv_kernel_lower_double_buffered_non_diagonal_genericILi32ELi4ELi4E24rocblas_internal_val_ptrIdEPKPKdPKPdEvbiT2_lT3_lllSA_lllT4_lllii
; %bb.0:
	s_load_dword s0, s[4:5], 0x0
	s_load_dwordx8 s[12:19], s[4:5], 0x8
	s_load_dwordx2 s[2:3], s[4:5], 0x28
	s_waitcnt lgkmcnt(0)
	s_bitcmp1_b32 s0, 0
	s_cselect_b64 s[0:1], -1, 0
	v_mov_b32_e32 v5, s12
	s_and_b64 vcc, exec, s[0:1]
	v_mov_b32_e32 v6, s13
	s_cbranch_vccnz .LBB171_2
; %bb.1:
	s_mul_i32 s0, s15, s8
	s_mul_hi_u32 s1, s14, s8
	s_add_i32 s1, s1, s0
	s_mul_i32 s0, s14, s8
	s_lshl_b64 s[0:1], s[0:1], 3
	s_add_u32 s0, s12, s0
	s_addc_u32 s1, s13, s1
	v_mov_b32_e32 v3, s1
	v_mov_b32_e32 v2, s0
	flat_load_dwordx2 v[5:6], v[2:3]
.LBB171_2:
	s_waitcnt vmcnt(0) lgkmcnt(0)
	v_cmp_neq_f64_e32 vcc, 0, v[5:6]
	s_and_saveexec_b64 s[0:1], vcc
	s_cbranch_execz .LBB171_41
; %bb.3:
	s_load_dwordx2 s[10:11], s[4:5], 0x80
	s_waitcnt lgkmcnt(0)
	v_cvt_f32_u32_e32 v2, s11
	s_add_i32 s22, s10, -1
	s_cmp_eq_u32 s6, s22
	v_rcp_iflag_f32_e32 v2, v2
	v_mul_f32_e32 v2, 0x4f7ffffe, v2
	v_cvt_u32_f32_e32 v2, v2
	v_readfirstlane_b32 s0, v2
	s_cbranch_scc1 .LBB171_41
; %bb.4:
	s_not_b32 s1, s6
	s_add_i32 s22, s22, s1
	s_sub_i32 s1, 0, s11
	s_mul_i32 s1, s1, s0
	s_mov_b32 s9, 0
	s_mul_hi_u32 s1, s0, s1
	s_load_dwordx4 s[24:27], s[4:5], 0x38
	s_load_dwordx2 s[12:13], s[4:5], 0x48
	s_add_i32 s23, s0, s1
	s_lshl_b64 s[0:1], s[8:9], 3
	s_add_u32 s8, s16, s0
	s_addc_u32 s9, s17, s1
	s_load_dwordx2 s[14:15], s[4:5], 0x58
	s_waitcnt lgkmcnt(0)
	s_add_u32 s16, s24, s0
	s_addc_u32 s17, s25, s1
	s_load_dwordx2 s[20:21], s[16:17], 0x0
	s_mul_hi_u32 s23, s22, s23
	s_add_u32 s16, s14, s0
	s_addc_u32 s17, s15, s1
	s_lshl_b64 s[0:1], s[26:27], 3
	s_waitcnt lgkmcnt(0)
	s_add_u32 s14, s20, s0
	s_addc_u32 s15, s21, s1
	s_lshl_b32 s27, s6, 5
	s_ashr_i32 s28, s27, 31
	s_mul_i32 s0, s12, s28
	s_mul_hi_u32 s1, s12, s27
	s_add_i32 s0, s1, s0
	s_mul_i32 s1, s13, s27
	s_add_i32 s1, s0, s1
	s_mul_i32 s0, s12, s27
	s_lshl_b64 s[0:1], s[0:1], 3
	s_add_u32 s20, s14, s0
	s_addc_u32 s21, s15, s1
	v_cmp_eq_u32_e64 s[0:1], 0, v1
	s_and_saveexec_b64 s[14:15], s[0:1]
	s_cbranch_execz .LBB171_6
; %bb.5:
	v_mad_u64_u32 v[2:3], s[24:25], s12, v0, 0
	v_mad_u64_u32 v[3:4], s[24:25], s13, v0, v[3:4]
	v_mov_b32_e32 v4, s21
	v_lshlrev_b64 v[2:3], 3, v[2:3]
	v_add_co_u32_e32 v2, vcc, s20, v2
	v_addc_co_u32_e32 v3, vcc, v4, v3, vcc
	flat_load_dwordx2 v[2:3], v[2:3]
	v_lshlrev_b32_e32 v4, 3, v0
	s_waitcnt vmcnt(0) lgkmcnt(0)
	ds_write_b64 v4, v[2:3] offset:6144
.LBB171_6:
	s_or_b64 exec, exec, s[14:15]
	s_mul_i32 s14, s23, s11
	s_sub_i32 s14, s22, s14
	s_add_i32 s15, s23, 1
	s_sub_i32 s24, s14, s11
	s_cmp_ge_u32 s14, s11
	s_cselect_b32 s15, s15, s23
	s_cselect_b32 s14, s24, s14
	s_add_i32 s23, s15, 1
	s_cmp_ge_u32 s14, s11
	s_cselect_b32 s23, s23, s15
	s_add_i32 s24, s11, -1
	s_cmp_eq_u32 s7, s24
	s_cselect_b64 s[14:15], -1, 0
	s_cmp_lg_u32 s7, s24
	s_mov_b32 s26, s23
	s_cbranch_scc1 .LBB171_8
; %bb.7:
	s_mul_i32 s11, s23, s11
	s_sub_i32 s11, s22, s11
	s_add_i32 s26, s11, s23
.LBB171_8:
	s_cmp_lg_u32 s7, s24
	s_cselect_b64 s[24:25], -1, 0
	s_cmp_eq_u32 s26, 0
	s_cselect_b64 s[30:31], -1, 0
	s_and_b64 s[24:25], s[24:25], s[30:31]
	s_and_b64 vcc, exec, s[24:25]
	s_cbranch_vccnz .LBB171_41
; %bb.9:
	s_load_dwordx2 s[30:31], s[8:9], 0x0
	s_load_dwordx2 s[24:25], s[16:17], 0x0
	s_mul_i32 s7, s7, s23
	s_lshl_b32 s22, s7, 5
	s_ashr_i32 s23, s22, 31
	s_lshl_b64 s[8:9], s[18:19], 3
	s_waitcnt lgkmcnt(0)
	s_add_u32 s7, s30, s8
	s_addc_u32 s11, s31, s9
	s_add_u32 s8, s2, 1
	s_addc_u32 s9, s3, 0
	s_mul_i32 s16, s8, s28
	s_mul_hi_u32 s17, s8, s27
	s_add_i32 s16, s17, s16
	s_mul_i32 s9, s9, s27
	s_add_i32 s9, s16, s9
	s_mul_i32 s8, s8, s27
	s_lshl_b64 s[8:9], s[8:9], 3
	s_add_u32 s7, s7, s8
	v_lshl_add_u32 v1, v1, 5, v0
	s_addc_u32 s11, s11, s9
	s_lshl_b64 s[8:9], s[22:23], 3
	v_lshrrev_b32_e32 v72, 4, v1
	s_add_u32 s16, s7, s8
	s_mul_i32 s7, s12, s23
	s_mul_hi_u32 s8, s12, s22
	v_and_b32_e32 v7, 15, v0
	v_lshlrev_b32_e32 v73, 2, v72
	v_mov_b32_e32 v8, 0
	s_addc_u32 s17, s11, s9
	s_add_i32 s7, s8, s7
	v_mad_u64_u32 v[8:9], s[8:9], s2, v73, v[7:8]
	s_mul_i32 s8, s13, s22
	s_add_i32 s9, s7, s8
	v_mov_b32_e32 v1, v9
	v_mad_u64_u32 v[1:2], s[18:19], s3, v73, v[1:2]
	s_mul_i32 s8, s12, s22
	s_lshl_b64 s[8:9], s[8:9], 3
	s_add_u32 s20, s20, s8
	s_addc_u32 s21, s21, s9
	v_mov_b32_e32 v9, v1
	s_lshl_b64 s[18:19], s[12:13], 5
	s_add_i32 s7, s10, -2
	v_mov_b32_e32 v1, 0
	v_mov_b32_e32 v26, 0
	;; [unrolled: 1-line block ×7, first 2 shown]
	s_cmp_ge_u32 s6, s7
	v_mov_b32_e32 v27, 0
	v_mov_b32_e32 v17, 0
	;; [unrolled: 1-line block ×5, first 2 shown]
	s_barrier
	s_cbranch_scc1 .LBB171_11
; %bb.10:
	v_lshlrev_b64 v[3:4], 3, v[8:9]
	s_lshl_b64 s[6:7], s[18:19], 3
	s_add_u32 s10, s20, s6
	v_mov_b32_e32 v10, s17
	v_add_co_u32_e32 v3, vcc, s16, v3
	s_addc_u32 s11, s21, s7
	v_addc_co_u32_e32 v4, vcc, v10, v4, vcc
	s_lshl_b64 s[6:7], s[2:3], 3
	v_mov_b32_e32 v11, s7
	v_add_co_u32_e32 v10, vcc, s6, v3
	v_addc_co_u32_e32 v11, vcc, v4, v11, vcc
	s_lshl_b64 s[6:7], s[2:3], 4
	v_mov_b32_e32 v15, s7
	v_mad_u64_u32 v[12:13], s[8:9], s2, 24, v[3:4]
	v_add_co_u32_e32 v14, vcc, s6, v3
	v_mad_u64_u32 v[24:25], s[6:7], s12, v7, 0
	v_mad_u64_u32 v[22:23], s[6:7], s3, 24, v[13:14]
	v_mov_b32_e32 v13, v25
	v_mad_u64_u32 v[25:26], s[6:7], s13, v7, v[13:14]
	v_addc_co_u32_e32 v15, vcc, v4, v15, vcc
	flat_load_dwordx2 v[16:17], v[3:4] offset:256
	flat_load_dwordx2 v[18:19], v[10:11] offset:256
	;; [unrolled: 1-line block ×3, first 2 shown]
	v_lshlrev_b64 v[3:4], 3, v[24:25]
	v_mov_b32_e32 v10, s11
	v_add_co_u32_e32 v3, vcc, s10, v3
	v_mov_b32_e32 v13, v22
	v_addc_co_u32_e32 v4, vcc, v10, v4, vcc
	flat_load_dwordx2 v[22:23], v[12:13] offset:256
	flat_load_dwordx2 v[26:27], v[3:4]
.LBB171_11:
	s_load_dwordx4 s[8:11], s[4:5], 0x60
	v_or_b32_e32 v74, 16, v7
	s_waitcnt lgkmcnt(0)
	s_lshl_b64 s[6:7], s[8:9], 3
	s_mul_i32 s8, s10, s28
	s_mul_hi_u32 s9, s10, s27
	s_add_u32 s24, s24, s6
	s_mul_i32 s28, s11, s27
	s_addc_u32 s25, s25, s7
	s_add_i32 s6, s9, s8
	s_add_i32 s7, s6, s28
	s_mul_i32 s6, s10, s27
	s_lshl_b64 s[6:7], s[6:7], 3
	s_add_u32 s33, s24, s6
	s_addc_u32 s36, s25, s7
	s_mul_i32 s6, s10, s23
	s_mul_hi_u32 s7, s10, s22
	s_add_i32 s6, s7, s6
	s_mul_i32 s7, s11, s22
	s_add_i32 s7, s6, s7
	s_mul_i32 s6, s10, s22
	s_lshl_b64 s[6:7], s[6:7], 3
	s_add_u32 s24, s33, s6
	s_addc_u32 s25, s36, s7
	s_cmp_lt_i32 s26, 1
	s_cbranch_scc1 .LBB171_20
; %bb.12:
	v_mad_u64_u32 v[1:2], s[6:7], s12, v74, 0
	v_mov_b32_e32 v10, 0x1800
	v_lshl_add_u32 v77, v73, 3, v10
	v_mad_u64_u32 v[2:3], s[6:7], s13, v74, v[2:3]
	v_mad_u64_u32 v[3:4], s[6:7], s10, v0, 0
	v_mov_b32_e32 v12, 0x1000
	v_lshl_or_b32 v13, v7, 3, v12
	v_mad_u64_u32 v[10:11], s[6:7], s11, v0, v[4:5]
	v_lshlrev_b32_e32 v11, 8, v72
	s_lshl_b64 s[6:7], s[10:11], 8
	v_mov_b32_e32 v4, v10
	v_lshlrev_b64 v[24:25], 3, v[1:2]
	v_lshlrev_b64 v[14:15], 3, v[3:4]
	v_lshl_or_b32 v75, v0, 3, v12
	s_cmp_lg_u32 s26, 1
	v_add_u32_e32 v76, v13, v11
	s_cbranch_scc0 .LBB171_21
; %bb.13:
	v_mad_u64_u32 v[1:2], s[8:9], s12, v7, 0
	s_add_i32 s37, s26, -2
	s_lshl_b64 s[22:23], s[2:3], 3
	v_mad_u64_u32 v[2:3], s[8:9], s13, v7, v[2:3]
	s_lshl_b64 s[8:9], s[2:3], 4
	s_sub_u32 s38, 0, s8
	s_subb_u32 s8, 0, s9
	v_mov_b32_e32 v28, 0
	v_mov_b32_e32 v10, s24
	v_lshlrev_b64 v[44:45], 3, v[8:9]
	v_lshlrev_b64 v[46:47], 3, v[1:2]
	s_waitcnt vmcnt(0)
	v_mov_b32_e32 v49, v27
	v_mov_b32_e32 v30, 0
	;; [unrolled: 1-line block ×9, first 2 shown]
	s_mov_b32 s39, 0
	v_mov_b32_e32 v11, s25
	s_lshl_b64 s[28:29], s[18:19], 3
	v_mov_b32_e32 v78, s23
	v_mov_b32_e32 v79, s8
	s_mov_b64 s[8:9], s[16:17]
	v_mov_b32_e32 v48, v26
	s_mov_b64 s[26:27], s[20:21]
	v_mov_b32_e32 v31, 0
	v_mov_b32_e32 v33, 0
	v_mov_b32_e32 v35, 0
	v_mov_b32_e32 v50, v16
	v_mov_b32_e32 v52, v18
	v_mov_b32_e32 v54, v20
	v_mov_b32_e32 v56, v22
.LBB171_14:                             ; =>This Loop Header: Depth=1
                                        ;     Child Loop BB171_16 Depth 2
	s_add_u32 s26, s26, s28
	s_addc_u32 s27, s27, s29
	v_mov_b32_e32 v2, s27
	v_add_co_u32_e32 v1, vcc, s26, v24
	v_addc_co_u32_e32 v2, vcc, v2, v25, vcc
	flat_load_dwordx2 v[58:59], v[1:2]
	v_mov_b32_e32 v2, s9
	v_add_co_u32_e32 v1, vcc, s8, v44
	v_addc_co_u32_e32 v2, vcc, v2, v45, vcc
	flat_load_dwordx2 v[60:61], v[1:2] offset:384
	v_add_co_u32_e32 v3, vcc, s22, v1
	v_addc_co_u32_e32 v4, vcc, v2, v78, vcc
	flat_load_dwordx2 v[62:63], v[3:4] offset:384
	v_add_co_u32_e32 v3, vcc, s22, v3
	v_addc_co_u32_e32 v4, vcc, v4, v78, vcc
	v_add_co_u32_e32 v12, vcc, s22, v3
	v_addc_co_u32_e32 v13, vcc, v4, v78, vcc
	flat_load_dwordx2 v[64:65], v[12:13] offset:384
	flat_load_dwordx2 v[66:67], v[3:4] offset:384
	flat_load_dwordx2 v[36:37], v[1:2] offset:512
	v_add_co_u32_e32 v1, vcc, s38, v12
	v_addc_co_u32_e32 v2, vcc, v13, v79, vcc
	v_add_co_u32_e32 v3, vcc, s22, v1
	v_addc_co_u32_e32 v4, vcc, v2, v78, vcc
	s_add_u32 s30, s26, s28
	v_add_co_u32_e32 v68, vcc, s22, v3
	s_addc_u32 s31, s27, s29
	v_addc_co_u32_e32 v69, vcc, v4, v78, vcc
	v_mov_b32_e32 v12, s31
	v_add_co_u32_e32 v70, vcc, s30, v46
	v_addc_co_u32_e32 v71, vcc, v12, v47, vcc
	flat_load_dwordx2 v[12:13], v[70:71]
	flat_load_dwordx2 v[40:41], v[1:2] offset:512
	flat_load_dwordx2 v[42:43], v[3:4] offset:512
	;; [unrolled: 1-line block ×3, first 2 shown]
	ds_read_b128 v[1:4], v77
	ds_read_b128 v[68:71], v77 offset:16
	s_waitcnt vmcnt(0) lgkmcnt(0)
	s_barrier
	v_fma_f64 v[80:81], v[50:51], v[1:2], 0
	v_fma_f64 v[80:81], v[52:53], v[3:4], v[80:81]
	;; [unrolled: 1-line block ×8, first 2 shown]
	ds_write2_b64 v76, v[3:4], v[1:2] offset1:16
	s_waitcnt lgkmcnt(0)
	s_barrier
	s_and_saveexec_b64 s[30:31], s[0:1]
	s_cbranch_execz .LBB171_18
; %bb.15:                               ;   in Loop: Header=BB171_14 Depth=1
	v_mov_b32_e32 v1, s7
	v_add_co_u32_e32 v10, vcc, s6, v10
	v_addc_co_u32_e32 v11, vcc, v11, v1, vcc
	v_add_co_u32_e32 v68, vcc, v10, v14
	v_addc_co_u32_e32 v69, vcc, v11, v15, vcc
	flat_load_dwordx2 v[3:4], v[68:69]
	ds_read2_b64 v[80:83], v75 offset1:32
	s_mov_b64 s[34:35], 0
	s_waitcnt lgkmcnt(0)
	v_add_f64 v[1:2], v[80:81], 0
	v_add_f64 v[1:2], v[1:2], v[82:83]
	ds_read2_b64 v[80:83], v75 offset0:64 offset1:96
	s_waitcnt lgkmcnt(0)
	v_add_f64 v[1:2], v[1:2], v[80:81]
	v_add_f64 v[1:2], v[1:2], v[82:83]
	ds_read2_b64 v[80:83], v75 offset0:128 offset1:160
	;; [unrolled: 4-line block ×3, first 2 shown]
	s_waitcnt lgkmcnt(0)
	v_add_f64 v[1:2], v[1:2], v[80:81]
	v_add_f64 v[1:2], v[1:2], v[82:83]
	v_mul_f64 v[70:71], v[5:6], v[1:2]
.LBB171_16:                             ;   Parent Loop BB171_14 Depth=1
                                        ; =>  This Inner Loop Header: Depth=2
	s_waitcnt vmcnt(0)
	v_add_f64 v[1:2], v[3:4], v[70:71]
	flat_atomic_cmpswap_x2 v[1:2], v[68:69], v[1:4] glc
	s_waitcnt vmcnt(0) lgkmcnt(0)
	v_cmp_eq_u64_e32 vcc, v[1:2], v[3:4]
	v_mov_b32_e32 v4, v2
	s_or_b64 s[34:35], vcc, s[34:35]
	v_mov_b32_e32 v3, v1
	s_andn2_b64 exec, exec, s[34:35]
	s_cbranch_execnz .LBB171_16
; %bb.17:                               ;   in Loop: Header=BB171_14 Depth=1
	s_or_b64 exec, exec, s[34:35]
.LBB171_18:                             ;   in Loop: Header=BB171_14 Depth=1
	s_or_b64 exec, exec, s[30:31]
	v_fma_f64 v[1:2], v[48:49], v[50:51], v[28:29]
	v_fma_f64 v[3:4], v[48:49], v[52:53], v[30:31]
	;; [unrolled: 1-line block ×4, first 2 shown]
	s_add_u32 s8, s8, 0x100
	s_addc_u32 s9, s9, 0
	s_add_i32 s30, s39, 1
	s_cmp_eq_u32 s39, s37
	v_fma_f64 v[28:29], v[58:59], v[60:61], v[1:2]
	v_fma_f64 v[30:31], v[58:59], v[62:63], v[3:4]
	;; [unrolled: 1-line block ×4, first 2 shown]
	s_cbranch_scc1 .LBB171_22
; %bb.19:                               ;   in Loop: Header=BB171_14 Depth=1
	v_mov_b32_e32 v49, v13
	v_mov_b32_e32 v51, v37
	;; [unrolled: 1-line block ×5, first 2 shown]
	s_mov_b32 s39, s30
	v_mov_b32_e32 v48, v12
	v_mov_b32_e32 v50, v36
	;; [unrolled: 1-line block ×5, first 2 shown]
	s_branch .LBB171_14
.LBB171_20:
	v_mov_b32_e32 v10, s24
	v_mov_b32_e32 v3, 0
	;; [unrolled: 1-line block ×3, first 2 shown]
	s_waitcnt vmcnt(0)
	v_mov_b32_e32 v18, 0
	v_mov_b32_e32 v16, 0
	;; [unrolled: 1-line block ×9, first 2 shown]
	s_and_b64 vcc, exec, s[14:15]
	s_cbranch_vccnz .LBB171_30
	s_branch .LBB171_38
.LBB171_21:
	s_mov_b64 s[28:29], -1
                                        ; implicit-def: $vgpr38_vgpr39
                                        ; implicit-def: $vgpr42_vgpr43
                                        ; implicit-def: $vgpr40_vgpr41
                                        ; implicit-def: $vgpr36_vgpr37
                                        ; implicit-def: $vgpr34_vgpr35
                                        ; implicit-def: $vgpr32_vgpr33
                                        ; implicit-def: $vgpr30_vgpr31
                                        ; implicit-def: $vgpr28_vgpr29
                                        ; implicit-def: $sgpr26_sgpr27
                                        ; implicit-def: $vgpr10_vgpr11
                                        ; implicit-def: $vgpr12_vgpr13
                                        ; implicit-def: $sgpr8_sgpr9
                                        ; implicit-def: $sgpr22_sgpr23
	s_branch .LBB171_23
.LBB171_22:
	s_mov_b64 s[28:29], 0
.LBB171_23:
	s_and_b64 vcc, exec, s[28:29]
	s_cbranch_vccz .LBB171_25
; %bb.24:
	v_mov_b32_e32 v28, 0
	v_mov_b32_e32 v10, s24
	s_waitcnt vmcnt(0)
	v_mov_b32_e32 v12, v26
	v_mov_b32_e32 v30, 0
	;; [unrolled: 1-line block ×8, first 2 shown]
	s_lshl_b64 s[22:23], s[2:3], 3
	v_mov_b32_e32 v29, 0
	v_mov_b32_e32 v11, s25
	s_mov_b64 s[8:9], s[16:17]
	v_mov_b32_e32 v13, v27
	s_mov_b64 s[26:27], s[20:21]
	v_mov_b32_e32 v31, 0
	v_mov_b32_e32 v33, 0
	;; [unrolled: 1-line block ×7, first 2 shown]
.LBB171_25:
	v_lshlrev_b64 v[1:2], 3, v[8:9]
	v_mov_b32_e32 v3, s9
	v_add_co_u32_e32 v1, vcc, s8, v1
	v_addc_co_u32_e32 v2, vcc, v3, v2, vcc
	v_mad_u64_u32 v[3:4], s[16:17], s2, 24, v[1:2]
	s_lshl_b64 s[16:17], s[18:19], 3
	s_add_u32 s20, s26, s16
	s_addc_u32 s21, s27, s17
	s_waitcnt vmcnt(0)
	v_mad_u64_u32 v[16:17], s[16:17], s3, 24, v[4:5]
	s_sub_u32 s16, 0, s22
	s_subb_u32 s17, 0, s23
	v_mov_b32_e32 v4, s17
	v_add_co_u32_e32 v26, vcc, s16, v3
	v_addc_co_u32_e32 v27, vcc, v16, v4, vcc
	v_add_co_u32_e32 v44, vcc, s16, v26
	v_addc_co_u32_e32 v45, vcc, v27, v4, vcc
	flat_load_dwordx2 v[20:21], v[44:45] offset:384
	flat_load_dwordx2 v[18:19], v[1:2] offset:384
	;; [unrolled: 1-line block ×3, first 2 shown]
	v_mov_b32_e32 v4, v16
	flat_load_dwordx2 v[26:27], v[3:4] offset:384
	v_mov_b32_e32 v2, s21
	v_add_co_u32_e32 v1, vcc, s20, v24
	v_addc_co_u32_e32 v2, vcc, v2, v25, vcc
	flat_load_dwordx2 v[16:17], v[1:2]
	ds_read_b128 v[1:4], v77
	ds_read_b128 v[44:47], v77 offset:16
	v_fma_f64 v[32:33], v[12:13], v[42:43], v[32:33]
	v_fma_f64 v[30:31], v[12:13], v[40:41], v[30:31]
	;; [unrolled: 1-line block ×3, first 2 shown]
	s_waitcnt lgkmcnt(0)
	v_fma_f64 v[24:25], v[36:37], v[1:2], 0
	s_add_u32 s16, s8, 0x100
	s_mov_b64 s[22:23], 0
	s_addc_u32 s17, s9, 0
	s_waitcnt vmcnt(0)
	s_barrier
	v_fma_f64 v[24:25], v[40:41], v[3:4], v[24:25]
	v_fma_f64 v[1:2], v[18:19], v[1:2], 0
	;; [unrolled: 1-line block ×8, first 2 shown]
	ds_write2_b64 v76, v[3:4], v[1:2] offset1:16
	s_waitcnt lgkmcnt(0)
	s_barrier
	s_and_saveexec_b64 s[8:9], s[0:1]
	s_cbranch_execz .LBB171_29
; %bb.26:
	v_mov_b32_e32 v1, s7
	v_add_co_u32_e32 v10, vcc, s6, v10
	v_addc_co_u32_e32 v11, vcc, v11, v1, vcc
	v_add_co_u32_e32 v14, vcc, v10, v14
	v_addc_co_u32_e32 v15, vcc, v11, v15, vcc
	flat_load_dwordx2 v[3:4], v[14:15]
	ds_read2_b64 v[34:37], v75 offset1:32
	s_waitcnt lgkmcnt(0)
	v_add_f64 v[1:2], v[34:35], 0
	v_add_f64 v[1:2], v[1:2], v[36:37]
	ds_read2_b64 v[34:37], v75 offset0:64 offset1:96
	s_waitcnt lgkmcnt(0)
	v_add_f64 v[1:2], v[1:2], v[34:35]
	v_add_f64 v[1:2], v[1:2], v[36:37]
	ds_read2_b64 v[34:37], v75 offset0:128 offset1:160
	;; [unrolled: 4-line block ×3, first 2 shown]
	s_waitcnt lgkmcnt(0)
	v_add_f64 v[1:2], v[1:2], v[34:35]
	v_add_f64 v[1:2], v[1:2], v[36:37]
	v_mul_f64 v[34:35], v[5:6], v[1:2]
.LBB171_27:                             ; =>This Inner Loop Header: Depth=1
	s_waitcnt vmcnt(0)
	v_add_f64 v[1:2], v[3:4], v[34:35]
	flat_atomic_cmpswap_x2 v[1:2], v[14:15], v[1:4] glc
	s_waitcnt vmcnt(0) lgkmcnt(0)
	v_cmp_eq_u64_e32 vcc, v[1:2], v[3:4]
	v_mov_b32_e32 v4, v2
	s_or_b64 s[22:23], vcc, s[22:23]
	v_mov_b32_e32 v3, v1
	s_andn2_b64 exec, exec, s[22:23]
	s_cbranch_execnz .LBB171_27
; %bb.28:
	s_or_b64 exec, exec, s[22:23]
.LBB171_29:
	s_or_b64 exec, exec, s[8:9]
	v_fma_f64 v[18:19], v[16:17], v[18:19], v[28:29]
	v_fma_f64 v[14:15], v[16:17], v[20:21], v[30:31]
	;; [unrolled: 1-line block ×4, first 2 shown]
	s_and_b64 vcc, exec, s[14:15]
	s_cbranch_vccz .LBB171_38
.LBB171_30:
	s_load_dword s6, s[4:5], 0x78
	s_lshl_b64 s[4:5], s[18:19], 3
	s_add_u32 s7, s20, s4
	v_mov_b32_e32 v20, 0
	v_mov_b32_e32 v28, 0
	;; [unrolled: 1-line block ×5, first 2 shown]
	s_addc_u32 s8, s21, s5
	v_mov_b32_e32 v21, 0
	v_mov_b32_e32 v29, 0
	;; [unrolled: 1-line block ×5, first 2 shown]
	s_waitcnt lgkmcnt(0)
	v_cmp_gt_i32_e32 vcc, s6, v7
	s_and_saveexec_b64 s[4:5], vcc
	s_cbranch_execz .LBB171_32
; %bb.31:
	v_lshlrev_b64 v[12:13], 3, v[8:9]
	v_mov_b32_e32 v22, s17
	v_add_co_u32_e32 v12, vcc, s16, v12
	v_addc_co_u32_e32 v13, vcc, v22, v13, vcc
	s_lshl_b64 s[14:15], s[2:3], 3
	v_mov_b32_e32 v23, s15
	v_add_co_u32_e32 v22, vcc, s14, v12
	v_addc_co_u32_e32 v23, vcc, v13, v23, vcc
	s_lshl_b64 s[14:15], s[2:3], 4
	v_mov_b32_e32 v27, s15
	v_mad_u64_u32 v[24:25], s[18:19], s2, 24, v[12:13]
	v_add_co_u32_e32 v26, vcc, s14, v12
	v_mad_u64_u32 v[36:37], s[14:15], s12, v7, 0
	v_mad_u64_u32 v[34:35], s[14:15], s3, 24, v[25:26]
	v_mov_b32_e32 v25, v37
	v_mad_u64_u32 v[37:38], s[14:15], s13, v7, v[25:26]
	v_addc_co_u32_e32 v27, vcc, v13, v27, vcc
	flat_load_dwordx2 v[28:29], v[12:13] offset:256
	flat_load_dwordx2 v[30:31], v[22:23] offset:256
	;; [unrolled: 1-line block ×3, first 2 shown]
	v_lshlrev_b64 v[12:13], 3, v[36:37]
	v_mov_b32_e32 v22, s8
	v_add_co_u32_e32 v12, vcc, s7, v12
	v_mov_b32_e32 v25, v34
	v_addc_co_u32_e32 v13, vcc, v22, v13, vcc
	flat_load_dwordx2 v[34:35], v[24:25] offset:256
	s_nop 0
	flat_load_dwordx2 v[12:13], v[12:13]
.LBB171_32:
	s_or_b64 exec, exec, s[4:5]
	v_mov_b32_e32 v22, 0
	v_mov_b32_e32 v24, 0
	v_mov_b32_e32 v26, 0
	v_mov_b32_e32 v23, 0
	v_mov_b32_e32 v25, 0
	v_mov_b32_e32 v27, 0
	v_cmp_gt_i32_e32 vcc, s6, v74
	s_and_saveexec_b64 s[4:5], vcc
	s_cbranch_execz .LBB171_34
; %bb.33:
	v_lshlrev_b64 v[8:9], 3, v[8:9]
	v_mov_b32_e32 v16, s17
	v_add_co_u32_e32 v8, vcc, s16, v8
	v_addc_co_u32_e32 v9, vcc, v16, v9, vcc
	s_lshl_b64 s[14:15], s[2:3], 3
	v_mov_b32_e32 v17, s15
	v_add_co_u32_e32 v16, vcc, s14, v8
	v_addc_co_u32_e32 v17, vcc, v9, v17, vcc
	s_lshl_b64 s[14:15], s[2:3], 4
	v_mad_u64_u32 v[20:21], s[16:17], s2, 24, v[8:9]
	v_mov_b32_e32 v22, s15
	v_add_co_u32_e32 v36, vcc, s14, v8
	v_mad_u64_u32 v[38:39], s[14:15], s12, v74, 0
	v_addc_co_u32_e32 v37, vcc, v9, v22, vcc
	v_mad_u64_u32 v[21:22], s[2:3], s3, 24, v[21:22]
	v_mov_b32_e32 v22, v39
	v_mad_u64_u32 v[39:40], s[2:3], s13, v74, v[22:23]
	flat_load_dwordx2 v[26:27], v[8:9] offset:384
	flat_load_dwordx2 v[24:25], v[16:17] offset:384
	;; [unrolled: 1-line block ×3, first 2 shown]
                                        ; kill: killed $vgpr16 killed $vgpr17
                                        ; kill: killed $vgpr8 killed $vgpr9
                                        ; kill: killed $vgpr36 killed $vgpr37
	s_nop 0
	flat_load_dwordx2 v[20:21], v[20:21] offset:384
	v_mov_b32_e32 v16, s8
	v_lshlrev_b64 v[8:9], 3, v[38:39]
	v_add_co_u32_e32 v8, vcc, s7, v8
	v_addc_co_u32_e32 v9, vcc, v16, v9, vcc
	flat_load_dwordx2 v[16:17], v[8:9]
.LBB171_34:
	s_or_b64 exec, exec, s[4:5]
	v_lshlrev_b32_e32 v8, 3, v73
	ds_read_b128 v[36:39], v8 offset:6144
	ds_read_b128 v[40:43], v8 offset:6160
	s_waitcnt vmcnt(0) lgkmcnt(0)
	v_fma_f64 v[14:15], v[12:13], v[30:31], v[14:15]
	v_cmp_gt_i32_e32 vcc, s6, v0
	s_mov_b64 s[2:3], 0
	v_fma_f64 v[8:9], v[26:27], v[36:37], 0
	v_fma_f64 v[36:37], v[28:29], v[36:37], 0
	s_and_b64 s[6:7], s[0:1], vcc
	s_barrier
	v_fma_f64 v[8:9], v[24:25], v[38:39], v[8:9]
	v_fma_f64 v[36:37], v[30:31], v[38:39], v[36:37]
	;; [unrolled: 1-line block ×7, first 2 shown]
	v_lshlrev_b32_e32 v18, 3, v7
	v_lshl_or_b32 v18, v72, 8, v18
	v_add_u32_e32 v18, 0x1000, v18
	v_fma_f64 v[1:2], v[20:21], v[42:43], v[38:39]
	v_fma_f64 v[3:4], v[34:35], v[42:43], v[36:37]
	ds_write2_b64 v18, v[3:4], v[1:2] offset1:16
	s_waitcnt lgkmcnt(0)
	s_barrier
	s_and_saveexec_b64 s[4:5], s[6:7]
	s_cbranch_execz .LBB171_37
; %bb.35:
	v_mad_u64_u32 v[1:2], s[6:7], s10, v0, 0
	s_lshl_b64 s[6:7], s[10:11], 8
	v_mov_b32_e32 v4, s7
	v_mad_u64_u32 v[2:3], s[8:9], s11, v0, v[2:3]
	v_add_co_u32_e32 v3, vcc, s6, v10
	v_lshlrev_b64 v[1:2], 3, v[1:2]
	v_addc_co_u32_e32 v4, vcc, v11, v4, vcc
	v_add_co_u32_e32 v10, vcc, v3, v1
	v_addc_co_u32_e32 v11, vcc, v4, v2, vcc
	flat_load_dwordx2 v[3:4], v[10:11]
	v_lshlrev_b32_e32 v1, 3, v0
	v_add_u32_e32 v18, 0x1000, v1
	ds_read2_b64 v[30:33], v18 offset1:32
	s_waitcnt lgkmcnt(0)
	v_add_f64 v[1:2], v[30:31], 0
	v_add_f64 v[1:2], v[1:2], v[32:33]
	ds_read2_b64 v[30:33], v18 offset0:64 offset1:96
	s_waitcnt lgkmcnt(0)
	v_add_f64 v[1:2], v[1:2], v[30:31]
	v_add_f64 v[1:2], v[1:2], v[32:33]
	ds_read2_b64 v[30:33], v18 offset0:128 offset1:160
	;; [unrolled: 4-line block ×3, first 2 shown]
	s_waitcnt lgkmcnt(0)
	v_add_f64 v[1:2], v[1:2], v[30:31]
	v_add_f64 v[1:2], v[1:2], v[32:33]
	v_mul_f64 v[18:19], v[5:6], v[1:2]
.LBB171_36:                             ; =>This Inner Loop Header: Depth=1
	s_waitcnt vmcnt(0)
	v_add_f64 v[1:2], v[3:4], v[18:19]
	flat_atomic_cmpswap_x2 v[1:2], v[10:11], v[1:4] glc
	s_waitcnt vmcnt(0) lgkmcnt(0)
	v_cmp_eq_u64_e32 vcc, v[1:2], v[3:4]
	v_mov_b32_e32 v4, v2
	s_or_b64 s[2:3], vcc, s[2:3]
	v_mov_b32_e32 v3, v1
	s_andn2_b64 exec, exec, s[2:3]
	s_cbranch_execnz .LBB171_36
.LBB171_37:
	s_or_b64 exec, exec, s[4:5]
	v_fma_f64 v[18:19], v[26:27], v[16:17], v[8:9]
	v_fma_f64 v[14:15], v[24:25], v[16:17], v[14:15]
	;; [unrolled: 1-line block ×4, first 2 shown]
.LBB171_38:
	v_lshlrev_b32_e32 v8, 9, v72
	v_lshl_or_b32 v8, v7, 3, v8
	ds_write2_b64 v8, v[18:19], v[14:15] offset1:16
	ds_write2_b64 v8, v[3:4], v[1:2] offset0:32 offset1:48
	s_waitcnt lgkmcnt(0)
	s_barrier
	s_and_b64 exec, exec, s[0:1]
	s_cbranch_execz .LBB171_41
; %bb.39:
	v_lshlrev_b32_e32 v19, 7, v0
	v_lshl_or_b32 v1, v7, 3, v19
	ds_read_b64 v[1:2], v1
	v_add_u32_e32 v4, 2, v0
	v_and_b32_e32 v4, 15, v4
	v_add_u32_e32 v3, 1, v0
	v_lshl_or_b32 v8, v4, 3, v19
	s_waitcnt lgkmcnt(0)
	v_add_f64 v[1:2], v[1:2], 0
	v_add_u32_e32 v4, 3, v0
	v_and_b32_e32 v3, 15, v3
	v_and_b32_e32 v4, 15, v4
	v_lshl_or_b32 v3, v3, 3, v19
	v_lshl_or_b32 v10, v4, 3, v19
	ds_read_b64 v[3:4], v3
	ds_read_b64 v[8:9], v8
	;; [unrolled: 1-line block ×3, first 2 shown]
	v_xor_b32_e32 v7, 8, v7
	v_mov_b32_e32 v17, s36
	s_waitcnt lgkmcnt(2)
	v_add_f64 v[1:2], v[1:2], v[3:4]
	v_add_u32_e32 v3, 4, v0
	v_add_u32_e32 v4, 5, v0
	v_and_b32_e32 v3, 15, v3
	v_and_b32_e32 v4, 15, v4
	v_lshl_or_b32 v3, v3, 3, v19
	v_add_u32_e32 v14, 9, v0
	v_add_u32_e32 v16, 11, v0
	s_waitcnt lgkmcnt(1)
	v_add_f64 v[1:2], v[1:2], v[8:9]
	v_add_u32_e32 v8, 6, v0
	v_add_u32_e32 v9, 7, v0
	v_and_b32_e32 v8, 15, v8
	v_and_b32_e32 v9, 15, v9
	v_lshl_or_b32 v12, v9, 3, v19
	v_add_u32_e32 v15, 10, v0
	v_and_b32_e32 v14, 15, v14
	s_waitcnt lgkmcnt(0)
	v_add_f64 v[1:2], v[1:2], v[10:11]
	v_lshl_or_b32 v10, v4, 3, v19
	ds_read_b64 v[3:4], v3
	v_lshl_or_b32 v11, v8, 3, v19
	ds_read_b64 v[8:9], v10
	ds_read_b64 v[10:11], v11
	;; [unrolled: 1-line block ×3, first 2 shown]
	v_and_b32_e32 v16, 15, v16
	v_and_b32_e32 v15, 15, v15
	s_waitcnt lgkmcnt(3)
	v_add_f64 v[1:2], v[1:2], v[3:4]
	v_mad_u64_u32 v[3:4], s[0:1], s10, v0, 0
	s_waitcnt lgkmcnt(2)
	v_add_f64 v[1:2], v[1:2], v[8:9]
	v_lshl_or_b32 v9, v7, 3, v19
	v_mad_u64_u32 v[7:8], s[0:1], s11, v0, v[4:5]
	s_mov_b64 s[0:1], 0
	v_mov_b32_e32 v4, v7
	v_lshlrev_b64 v[3:4], 3, v[3:4]
	s_waitcnt lgkmcnt(1)
	v_add_f64 v[1:2], v[1:2], v[10:11]
	v_add_co_u32_e32 v7, vcc, s33, v3
	v_addc_co_u32_e32 v8, vcc, v17, v4, vcc
	ds_read_b64 v[9:10], v9
	v_lshl_or_b32 v17, v16, 3, v19
	v_lshl_or_b32 v4, v15, 3, v19
	s_waitcnt lgkmcnt(1)
	v_add_f64 v[11:12], v[1:2], v[12:13]
	flat_load_dwordx2 v[2:3], v[7:8]
	v_lshl_or_b32 v1, v14, 3, v19
	ds_read_b64 v[13:14], v1
	ds_read_b64 v[15:16], v4
	;; [unrolled: 1-line block ×3, first 2 shown]
	v_add_u32_e32 v1, 12, v0
	v_and_b32_e32 v1, 15, v1
	v_lshl_or_b32 v1, v1, 3, v19
	v_add_u32_e32 v4, 13, v0
	s_waitcnt lgkmcnt(0)
	v_add_f64 v[9:10], v[11:12], v[9:10]
	ds_read_b64 v[11:12], v1
	v_and_b32_e32 v4, 15, v4
	v_lshl_or_b32 v4, v4, 3, v19
	v_add_f64 v[9:10], v[9:10], v[13:14]
	v_add_u32_e32 v13, 14, v0
	v_add_u32_e32 v0, -1, v0
	v_and_b32_e32 v1, 15, v13
	v_and_b32_e32 v0, 15, v0
	v_lshl_or_b32 v13, v1, 3, v19
	v_add_f64 v[9:10], v[9:10], v[15:16]
	v_lshl_or_b32 v15, v0, 3, v19
	ds_read_b64 v[0:1], v4
	ds_read_b64 v[13:14], v13
	;; [unrolled: 1-line block ×3, first 2 shown]
	v_add_f64 v[9:10], v[9:10], v[17:18]
	s_waitcnt lgkmcnt(0)
	v_add_f64 v[9:10], v[9:10], v[11:12]
	v_add_f64 v[0:1], v[9:10], v[0:1]
	;; [unrolled: 1-line block ×4, first 2 shown]
	v_mul_f64 v[4:5], v[5:6], v[0:1]
.LBB171_40:                             ; =>This Inner Loop Header: Depth=1
	s_waitcnt vmcnt(0)
	v_add_f64 v[0:1], v[2:3], v[4:5]
	flat_atomic_cmpswap_x2 v[0:1], v[7:8], v[0:3] glc
	s_waitcnt vmcnt(0) lgkmcnt(0)
	v_cmp_eq_u64_e32 vcc, v[0:1], v[2:3]
	v_mov_b32_e32 v3, v1
	s_or_b64 s[0:1], vcc, s[0:1]
	v_mov_b32_e32 v2, v0
	s_andn2_b64 exec, exec, s[0:1]
	s_cbranch_execnz .LBB171_40
.LBB171_41:
	s_endpgm
	.section	.rodata,"a",@progbits
	.p2align	6, 0x0
	.amdhsa_kernel _ZL62rocblas_symv_kernel_lower_double_buffered_non_diagonal_genericILi32ELi4ELi4E24rocblas_internal_val_ptrIdEPKPKdPKPdEvbiT2_lT3_lllSA_lllT4_lllii
		.amdhsa_group_segment_fixed_size 6400
		.amdhsa_private_segment_fixed_size 0
		.amdhsa_kernarg_size 384
		.amdhsa_user_sgpr_count 6
		.amdhsa_user_sgpr_private_segment_buffer 1
		.amdhsa_user_sgpr_dispatch_ptr 0
		.amdhsa_user_sgpr_queue_ptr 0
		.amdhsa_user_sgpr_kernarg_segment_ptr 1
		.amdhsa_user_sgpr_dispatch_id 0
		.amdhsa_user_sgpr_flat_scratch_init 0
		.amdhsa_user_sgpr_private_segment_size 0
		.amdhsa_uses_dynamic_stack 0
		.amdhsa_system_sgpr_private_segment_wavefront_offset 0
		.amdhsa_system_sgpr_workgroup_id_x 1
		.amdhsa_system_sgpr_workgroup_id_y 1
		.amdhsa_system_sgpr_workgroup_id_z 1
		.amdhsa_system_sgpr_workgroup_info 0
		.amdhsa_system_vgpr_workitem_id 1
		.amdhsa_next_free_vgpr 84
		.amdhsa_next_free_sgpr 98
		.amdhsa_reserve_vcc 1
		.amdhsa_reserve_flat_scratch 0
		.amdhsa_float_round_mode_32 0
		.amdhsa_float_round_mode_16_64 0
		.amdhsa_float_denorm_mode_32 3
		.amdhsa_float_denorm_mode_16_64 3
		.amdhsa_dx10_clamp 1
		.amdhsa_ieee_mode 1
		.amdhsa_fp16_overflow 0
		.amdhsa_exception_fp_ieee_invalid_op 0
		.amdhsa_exception_fp_denorm_src 0
		.amdhsa_exception_fp_ieee_div_zero 0
		.amdhsa_exception_fp_ieee_overflow 0
		.amdhsa_exception_fp_ieee_underflow 0
		.amdhsa_exception_fp_ieee_inexact 0
		.amdhsa_exception_int_div_zero 0
	.end_amdhsa_kernel
	.section	.text._ZL62rocblas_symv_kernel_lower_double_buffered_non_diagonal_genericILi32ELi4ELi4E24rocblas_internal_val_ptrIdEPKPKdPKPdEvbiT2_lT3_lllSA_lllT4_lllii,"axG",@progbits,_ZL62rocblas_symv_kernel_lower_double_buffered_non_diagonal_genericILi32ELi4ELi4E24rocblas_internal_val_ptrIdEPKPKdPKPdEvbiT2_lT3_lllSA_lllT4_lllii,comdat
.Lfunc_end171:
	.size	_ZL62rocblas_symv_kernel_lower_double_buffered_non_diagonal_genericILi32ELi4ELi4E24rocblas_internal_val_ptrIdEPKPKdPKPdEvbiT2_lT3_lllSA_lllT4_lllii, .Lfunc_end171-_ZL62rocblas_symv_kernel_lower_double_buffered_non_diagonal_genericILi32ELi4ELi4E24rocblas_internal_val_ptrIdEPKPKdPKPdEvbiT2_lT3_lllSA_lllT4_lllii
                                        ; -- End function
	.set _ZL62rocblas_symv_kernel_lower_double_buffered_non_diagonal_genericILi32ELi4ELi4E24rocblas_internal_val_ptrIdEPKPKdPKPdEvbiT2_lT3_lllSA_lllT4_lllii.num_vgpr, 84
	.set _ZL62rocblas_symv_kernel_lower_double_buffered_non_diagonal_genericILi32ELi4ELi4E24rocblas_internal_val_ptrIdEPKPKdPKPdEvbiT2_lT3_lllSA_lllT4_lllii.num_agpr, 0
	.set _ZL62rocblas_symv_kernel_lower_double_buffered_non_diagonal_genericILi32ELi4ELi4E24rocblas_internal_val_ptrIdEPKPKdPKPdEvbiT2_lT3_lllSA_lllT4_lllii.numbered_sgpr, 40
	.set _ZL62rocblas_symv_kernel_lower_double_buffered_non_diagonal_genericILi32ELi4ELi4E24rocblas_internal_val_ptrIdEPKPKdPKPdEvbiT2_lT3_lllSA_lllT4_lllii.num_named_barrier, 0
	.set _ZL62rocblas_symv_kernel_lower_double_buffered_non_diagonal_genericILi32ELi4ELi4E24rocblas_internal_val_ptrIdEPKPKdPKPdEvbiT2_lT3_lllSA_lllT4_lllii.private_seg_size, 0
	.set _ZL62rocblas_symv_kernel_lower_double_buffered_non_diagonal_genericILi32ELi4ELi4E24rocblas_internal_val_ptrIdEPKPKdPKPdEvbiT2_lT3_lllSA_lllT4_lllii.uses_vcc, 1
	.set _ZL62rocblas_symv_kernel_lower_double_buffered_non_diagonal_genericILi32ELi4ELi4E24rocblas_internal_val_ptrIdEPKPKdPKPdEvbiT2_lT3_lllSA_lllT4_lllii.uses_flat_scratch, 0
	.set _ZL62rocblas_symv_kernel_lower_double_buffered_non_diagonal_genericILi32ELi4ELi4E24rocblas_internal_val_ptrIdEPKPKdPKPdEvbiT2_lT3_lllSA_lllT4_lllii.has_dyn_sized_stack, 0
	.set _ZL62rocblas_symv_kernel_lower_double_buffered_non_diagonal_genericILi32ELi4ELi4E24rocblas_internal_val_ptrIdEPKPKdPKPdEvbiT2_lT3_lllSA_lllT4_lllii.has_recursion, 0
	.set _ZL62rocblas_symv_kernel_lower_double_buffered_non_diagonal_genericILi32ELi4ELi4E24rocblas_internal_val_ptrIdEPKPKdPKPdEvbiT2_lT3_lllSA_lllT4_lllii.has_indirect_call, 0
	.section	.AMDGPU.csdata,"",@progbits
; Kernel info:
; codeLenInByte = 4236
; TotalNumSgprs: 44
; NumVgprs: 84
; ScratchSize: 0
; MemoryBound: 0
; FloatMode: 240
; IeeeMode: 1
; LDSByteSize: 6400 bytes/workgroup (compile time only)
; SGPRBlocks: 12
; VGPRBlocks: 20
; NumSGPRsForWavesPerEU: 102
; NumVGPRsForWavesPerEU: 84
; Occupancy: 3
; WaveLimiterHint : 1
; COMPUTE_PGM_RSRC2:SCRATCH_EN: 0
; COMPUTE_PGM_RSRC2:USER_SGPR: 6
; COMPUTE_PGM_RSRC2:TRAP_HANDLER: 0
; COMPUTE_PGM_RSRC2:TGID_X_EN: 1
; COMPUTE_PGM_RSRC2:TGID_Y_EN: 1
; COMPUTE_PGM_RSRC2:TGID_Z_EN: 1
; COMPUTE_PGM_RSRC2:TIDIG_COMP_CNT: 1
	.section	.text._ZL26rocblas_hemvn_kernel_lowerILb0ELi64ELi4ELi33ELi32ELi16ElPKdPKS1_PdEviT6_lT7_lT5_lS6_lS7_lS5_lT8_i,"axG",@progbits,_ZL26rocblas_hemvn_kernel_lowerILb0ELi64ELi4ELi33ELi32ELi16ElPKdPKS1_PdEviT6_lT7_lT5_lS6_lS7_lS5_lT8_i,comdat
	.globl	_ZL26rocblas_hemvn_kernel_lowerILb0ELi64ELi4ELi33ELi32ELi16ElPKdPKS1_PdEviT6_lT7_lT5_lS6_lS7_lS5_lT8_i ; -- Begin function _ZL26rocblas_hemvn_kernel_lowerILb0ELi64ELi4ELi33ELi32ELi16ElPKdPKS1_PdEviT6_lT7_lT5_lS6_lS7_lS5_lT8_i
	.p2align	8
	.type	_ZL26rocblas_hemvn_kernel_lowerILb0ELi64ELi4ELi33ELi32ELi16ElPKdPKS1_PdEviT6_lT7_lT5_lS6_lS7_lS5_lT8_i,@function
_ZL26rocblas_hemvn_kernel_lowerILb0ELi64ELi4ELi33ELi32ELi16ElPKdPKS1_PdEviT6_lT7_lT5_lS6_lS7_lS5_lT8_i: ; @_ZL26rocblas_hemvn_kernel_lowerILb0ELi64ELi4ELi33ELi32ELi16ElPKdPKS1_PdEviT6_lT7_lT5_lS6_lS7_lS5_lT8_i
; %bb.0:
	s_load_dwordx2 s[2:3], s[4:5], 0x84
	s_add_u32 s0, s4, 0x78
	s_mov_b32 s26, s7
	s_addc_u32 s1, s5, 0
	s_waitcnt lgkmcnt(0)
	s_lshr_b32 s7, s2, 16
	s_and_b32 s2, s2, 0xffff
	s_and_b32 s3, s3, 0xffff
	s_mul_i32 s2, s7, s2
	s_mul_i32 s2, s2, s3
	s_cmpk_lg_i32 s2, 0x100
	s_cbranch_scc1 .LBB172_80
; %bb.1:
	s_load_dwordx8 s[8:15], s[4:5], 0x8
	s_load_dwordx4 s[16:19], s[4:5], 0x58
	s_waitcnt lgkmcnt(0)
	s_mul_i32 s3, s11, s26
	s_mul_hi_u32 s7, s10, s26
	s_mul_i32 s2, s10, s26
	s_add_i32 s3, s7, s3
	s_lshl_b64 s[2:3], s[2:3], 3
	s_mul_i32 s10, s19, s26
	s_add_u32 s2, s8, s2
	s_mul_hi_u32 s7, s18, s26
	s_addc_u32 s3, s9, s3
	s_add_i32 s9, s7, s10
	s_mul_i32 s8, s18, s26
	s_lshl_b64 s[8:9], s[8:9], 3
	s_add_u32 s8, s16, s8
	s_addc_u32 s9, s17, s9
	s_load_dwordx2 s[2:3], s[2:3], 0x0
	s_nop 0
	s_load_dwordx2 s[10:11], s[8:9], 0x0
	s_waitcnt lgkmcnt(0)
	v_cmp_eq_f64_e64 s[8:9], s[2:3], 0
	v_cmp_eq_f64_e64 s[2:3], s[10:11], 1.0
	s_and_b64 s[2:3], s[8:9], s[2:3]
	s_and_b64 vcc, exec, s[2:3]
	s_cbranch_vccnz .LBB172_80
; %bb.2:
	s_mov_b64 s[2:3], 0
	s_and_b64 vcc, exec, s[8:9]
	s_cbranch_vccnz .LBB172_4
; %bb.3:
	s_mov_b64 s[2:3], -1
.LBB172_4:
	s_andn2_b64 vcc, exec, s[2:3]
	s_cbranch_vccnz .LBB172_80
; %bb.5:
	s_mov_b32 s27, 0
	s_load_dword s7, s[0:1], 0x0
	s_load_dwordx4 s[8:11], s[4:5], 0x38
	s_load_dwordx2 s[20:21], s[4:5], 0x48
	s_lshl_b64 s[0:1], s[26:27], 3
	s_add_u32 s2, s12, s0
	s_addc_u32 s3, s13, s1
	s_waitcnt lgkmcnt(0)
	s_add_u32 s0, s8, s0
	s_addc_u32 s1, s9, s1
	s_load_dwordx2 s[12:13], s[0:1], 0x0
	s_load_dwordx2 s[24:25], s[4:5], 0x28
	s_load_dword s27, s[4:5], 0x0
	s_load_dwordx2 s[8:9], s[2:3], 0x0
	s_lshl_b64 s[0:1], s[10:11], 3
	s_waitcnt lgkmcnt(0)
	s_add_u32 s2, s12, s0
	s_addc_u32 s3, s13, s1
	s_lshl_b32 s34, s6, 6
	s_ashr_i32 s33, s27, 31
	s_lshr_b32 s0, s33, 26
	v_add_u32_e32 v34, s34, v0
	s_add_i32 s0, s27, s0
	v_ashrrev_i32_e32 v35, 31, v34
	s_load_dwordx2 s[30:31], s[4:5], 0x68
	s_and_b32 s5, s0, 0xffffffc0
	v_mul_lo_u32 v4, s20, v35
	v_mul_lo_u32 v5, s21, v34
	v_mad_u64_u32 v[2:3], s[0:1], s20, v34, 0
	s_add_i32 s4, s7, -1
	s_sub_i32 s0, s27, s5
	v_add3_u32 v3, v3, v4, v5
	v_lshlrev_b64 v[2:3], 3, v[2:3]
	s_cmp_eq_u32 s6, s4
	v_mov_b32_e32 v4, s3
	v_add_co_u32_e32 v18, vcc, s2, v2
	s_cselect_b32 s28, s0, 0
	v_addc_co_u32_e32 v19, vcc, v4, v3, vcc
	v_cmp_ne_u32_e64 s[0:1], 0, v1
	v_cmp_eq_u32_e64 s[2:3], 0, v1
	s_and_saveexec_b64 s[4:5], s[2:3]
	s_cbranch_execz .LBB172_9
; %bb.6:
	s_cmp_eq_u32 s28, 0
	s_cselect_b64 s[10:11], -1, 0
	v_cmp_gt_i32_e32 vcc, s28, v0
	v_mov_b32_e32 v2, 0
	v_mov_b32_e32 v3, 0
	s_or_b64 s[12:13], s[10:11], vcc
	s_and_saveexec_b64 s[10:11], s[12:13]
	s_cbranch_execz .LBB172_8
; %bb.7:
	flat_load_dwordx2 v[2:3], v[18:19]
.LBB172_8:
	s_or_b64 exec, exec, s[10:11]
	v_lshlrev_b32_e32 v4, 3, v0
	s_waitcnt vmcnt(0) lgkmcnt(0)
	ds_write_b64 v4, v[2:3] offset:9088
.LBB172_9:
	s_or_b64 exec, exec, s[4:5]
	v_lshl_add_u32 v24, v1, 6, v0
	v_and_b32_e32 v2, 31, v0
	v_lshrrev_b32_e32 v11, 5, v24
	v_mov_b32_e32 v3, 0
	v_mad_u64_u32 v[3:4], s[10:11], s24, v11, v[2:3]
	s_lshl_b64 s[4:5], s[14:15], 3
	s_add_u32 s8, s8, s4
	s_addc_u32 s9, s9, s5
	v_mad_u64_u32 v[4:5], s[4:5], s25, v11, v[4:5]
	s_ashr_i32 s35, s34, 31
	s_lshl_b64 s[4:5], s[34:35], 3
	s_add_u32 s4, s8, s4
	v_lshlrev_b64 v[20:21], 3, v[3:4]
	s_addc_u32 s5, s9, s5
	v_mov_b32_e32 v3, s5
	v_add_co_u32_e32 v4, vcc, s4, v20
	s_mul_hi_u32 s4, s24, s34
	s_mul_i32 s5, s24, s35
	s_add_i32 s4, s4, s5
	s_mul_i32 s5, s25, s34
	s_add_i32 s5, s4, s5
	s_mul_i32 s4, s24, s34
	v_addc_co_u32_e32 v5, vcc, v3, v21, vcc
	s_lshl_b64 s[36:37], s[4:5], 3
	v_mov_b32_e32 v6, s37
	v_add_co_u32_e32 v3, vcc, s36, v4
	s_cmp_lg_u32 s28, 0
	v_addc_co_u32_e32 v4, vcc, v5, v6, vcc
	s_cselect_b64 s[38:39], -1, 0
	s_cmp_eq_u32 s28, 0
	s_cselect_b64 s[16:17], -1, 0
	s_mov_b64 s[4:5], -1
	s_and_b64 vcc, exec, s[38:39]
	s_cbranch_vccnz .LBB172_11
; %bb.10:
	s_lshl_b64 s[4:5], s[24:25], 6
	v_mov_b32_e32 v10, s5
	v_add_co_u32_e32 v5, vcc, s4, v3
	v_addc_co_u32_e32 v6, vcc, v4, v10, vcc
	v_add_co_u32_e32 v7, vcc, s4, v5
	v_addc_co_u32_e32 v8, vcc, v6, v10, vcc
	v_add_co_u32_e32 v9, vcc, s4, v7
	v_addc_co_u32_e32 v10, vcc, v8, v10, vcc
	flat_load_dwordx2 v[12:13], v[3:4]
	flat_load_dwordx2 v[14:15], v[5:6]
	;; [unrolled: 1-line block ×4, first 2 shown]
	v_mul_u32_u24_e32 v5, 0x108, v11
	v_lshl_add_u32 v5, v2, 3, v5
	s_mov_b64 s[4:5], 0
	s_waitcnt vmcnt(0) lgkmcnt(0)
	ds_write_b64 v5, v[12:13]
	ds_write_b64 v5, v[14:15] offset:2112
	ds_write_b64 v5, v[16:17] offset:4224
	;; [unrolled: 1-line block ×3, first 2 shown]
.LBB172_11:
	s_andn2_b64 vcc, exec, s[4:5]
	s_cbranch_vccnz .LBB172_21
; %bb.12:
	v_lshlrev_b32_e32 v12, 3, v2
	v_sub_co_u32_e32 v5, vcc, v3, v12
	s_ashr_i32 s29, s28, 31
	v_subbrev_co_u32_e32 v6, vcc, 0, v4, vcc
	s_lshl_b64 s[8:9], s[28:29], 3
	v_mov_b32_e32 v7, s9
	v_add_co_u32_e32 v5, vcc, s8, v5
	v_addc_co_u32_e32 v6, vcc, v6, v7, vcc
	v_add_co_u32_e32 v5, vcc, -8, v5
	v_addc_co_u32_e32 v6, vcc, -1, v6, vcc
	v_cmp_gt_i32_e32 vcc, s28, v2
	v_mov_b32_e32 v7, 0
	v_mov_b32_e32 v9, 0
	v_cndmask_b32_e32 v6, v6, v4, vcc
	v_cndmask_b32_e32 v5, v5, v3, vcc
	v_mov_b32_e32 v8, 0
	v_mov_b32_e32 v10, 0
	v_cmp_gt_i32_e64 s[4:5], s28, v11
	s_and_saveexec_b64 s[10:11], s[4:5]
	s_cbranch_execz .LBB172_14
; %bb.13:
	flat_load_dwordx2 v[9:10], v[5:6]
.LBB172_14:
	s_or_b64 exec, exec, s[10:11]
	v_lshlrev_b32_e32 v13, 3, v2
	s_movk_i32 s4, 0x108
	v_mad_u32_u24 v15, v11, s4, v13
	s_waitcnt vmcnt(0) lgkmcnt(0)
	ds_write_b64 v15, v[9:10]
	v_add_u32_e32 v9, 8, v11
	v_mul_u32_u24_e32 v14, 0x108, v11
	v_cmp_gt_i32_e64 s[4:5], s28, v9
	s_and_saveexec_b64 s[10:11], s[4:5]
	s_cbranch_execz .LBB172_16
; %bb.15:
	s_lshl_b64 s[4:5], s[24:25], 6
	v_mov_b32_e32 v8, s5
	v_add_co_u32_e64 v7, s[4:5], s4, v5
	v_addc_co_u32_e64 v8, s[4:5], v6, v8, s[4:5]
	flat_load_dwordx2 v[7:8], v[7:8]
.LBB172_16:
	s_or_b64 exec, exec, s[10:11]
	v_add_u32_e32 v13, v14, v13
	s_waitcnt vmcnt(0) lgkmcnt(0)
	ds_write_b64 v13, v[7:8] offset:2112
	v_add_u32_e32 v14, 16, v11
	v_mov_b32_e32 v7, 0
	v_mov_b32_e32 v9, 0
	;; [unrolled: 1-line block ×4, first 2 shown]
	v_cmp_gt_i32_e64 s[4:5], s28, v14
	s_and_saveexec_b64 s[10:11], s[4:5]
	s_cbranch_execz .LBB172_18
; %bb.17:
	s_lshl_b64 s[4:5], s[24:25], 7
	v_mov_b32_e32 v10, s5
	v_add_co_u32_e64 v9, s[4:5], s4, v5
	v_addc_co_u32_e64 v10, s[4:5], v6, v10, s[4:5]
	flat_load_dwordx2 v[9:10], v[9:10]
.LBB172_18:
	s_or_b64 exec, exec, s[10:11]
	s_waitcnt vmcnt(0) lgkmcnt(0)
	ds_write_b64 v13, v[9:10] offset:4224
	v_add_u32_e32 v9, 24, v11
	v_cmp_gt_i32_e64 s[4:5], s28, v9
	s_and_saveexec_b64 s[10:11], s[4:5]
	s_cbranch_execz .LBB172_20
; %bb.19:
	v_mov_b32_e32 v7, 0xc0
	v_mad_u64_u32 v[7:8], s[4:5], s24, v7, v[5:6]
	s_mul_i32 s4, s25, 0xc0
	v_add_u32_e32 v8, s4, v8
	flat_load_dwordx2 v[7:8], v[7:8]
.LBB172_20:
	s_or_b64 exec, exec, s[10:11]
	v_add_co_u32_e64 v5, s[4:5], v5, v12
	v_addc_co_u32_e64 v6, s[4:5], 0, v6, s[4:5]
	s_waitcnt vmcnt(0) lgkmcnt(0)
	ds_write_b64 v13, v[7:8] offset:6336
	v_mov_b32_e32 v7, s9
	v_subrev_co_u32_e64 v5, s[4:5], s8, v5
	v_subb_co_u32_e64 v6, s[4:5], v6, v7, s[4:5]
	v_add_co_u32_e64 v5, s[4:5], 8, v5
	v_addc_co_u32_e64 v6, s[4:5], 0, v6, s[4:5]
	v_cndmask_b32_e32 v4, v6, v4, vcc
	v_cndmask_b32_e32 v3, v5, v3, vcc
.LBB172_21:
	v_lshlrev_b32_e32 v9, 2, v11
	v_lshlrev_b32_e32 v10, 3, v2
	v_lshl_or_b32 v5, v2, 8, v10
	v_cmp_lt_u32_e64 s[18:19], v9, v2
	s_waitcnt lgkmcnt(0)
	s_barrier
	s_and_saveexec_b64 s[4:5], s[18:19]
	s_cbranch_execz .LBB172_23
; %bb.22:
	s_movk_i32 s8, 0x420
	v_mad_u32_u24 v6, v11, s8, v10
	ds_read_b64 v[6:7], v6
	v_lshl_add_u32 v8, v9, 3, v5
	s_waitcnt lgkmcnt(0)
	ds_write_b64 v8, v[6:7]
.LBB172_23:
	s_or_b64 exec, exec, s[4:5]
	v_or_b32_e32 v12, 1, v9
	v_cmp_lt_u32_e64 s[8:9], v12, v2
	s_and_saveexec_b64 s[4:5], s[8:9]
	s_cbranch_execz .LBB172_25
; %bb.24:
	s_movk_i32 s10, 0x108
	v_mad_u32_u24 v6, v12, s10, v10
	ds_read_b64 v[6:7], v6
	v_lshl_add_u32 v8, v9, 3, v5
	s_waitcnt lgkmcnt(0)
	ds_write_b64 v8, v[6:7] offset:8
.LBB172_25:
	s_or_b64 exec, exec, s[4:5]
	v_or_b32_e32 v6, 2, v9
	v_cmp_lt_u32_e64 s[10:11], v6, v2
	s_and_saveexec_b64 s[4:5], s[10:11]
	s_cbranch_execz .LBB172_27
; %bb.26:
	s_movk_i32 s12, 0x108
	v_mad_u32_u24 v6, v6, s12, v10
	ds_read_b64 v[6:7], v6
	v_lshl_add_u32 v8, v9, 3, v5
	s_waitcnt lgkmcnt(0)
	ds_write_b64 v8, v[6:7] offset:16
.LBB172_27:
	s_or_b64 exec, exec, s[4:5]
	v_or_b32_e32 v7, 3, v9
	v_cmp_lt_u32_e64 s[12:13], v7, v2
	v_cmp_ge_u32_e32 vcc, v7, v2
                                        ; implicit-def: $vgpr6
	s_and_saveexec_b64 s[4:5], vcc
	s_xor_b64 s[4:5], exec, s[4:5]
; %bb.28:
	v_mul_u32_u24_e32 v6, 0x108, v7
                                        ; implicit-def: $vgpr5
                                        ; implicit-def: $vgpr7
; %bb.29:
	s_andn2_saveexec_b64 s[4:5], s[4:5]
	s_cbranch_execz .LBB172_31
; %bb.30:
	s_movk_i32 s14, 0x108
	v_mad_u32_u24 v6, v7, s14, v10
	ds_read_b64 v[13:14], v6
	v_lshl_add_u32 v5, v9, 3, v5
	v_mul_u32_u24_e32 v6, 0x108, v7
	s_waitcnt lgkmcnt(0)
	ds_write_b64 v5, v[13:14] offset:24
.LBB172_31:
	s_or_b64 exec, exec, s[4:5]
	s_movk_i32 s4, 0x420
	v_mad_u32_u24 v5, v11, s4, v10
	s_waitcnt lgkmcnt(0)
	s_barrier
	v_lshlrev_b32_e32 v14, 3, v9
	ds_read_b64 v[7:8], v5
	ds_read_b128 v[25:28], v14 offset:9088
	s_movk_i32 s4, 0x108
	v_mad_u32_u24 v5, v12, s4, v10
	ds_read2_b64 v[29:32], v5 offset1:33
	v_add_u32_e32 v13, v10, v6
	s_waitcnt lgkmcnt(1)
	v_fma_f64 v[7:8], v[7:8], v[25:26], 0
	v_mov_b32_e32 v36, 0
	v_mov_b32_e32 v37, 0
	v_cmp_gt_u32_e64 s[4:5], 32, v24
	ds_read_b64 v[5:6], v13
	s_waitcnt lgkmcnt(1)
	v_fma_f64 v[7:8], v[29:30], v[27:28], v[7:8]
	ds_read_b128 v[25:28], v14 offset:9104
	s_waitcnt lgkmcnt(0)
	s_barrier
	v_fma_f64 v[7:8], v[31:32], v[25:26], v[7:8]
	v_fma_f64 v[5:6], v[5:6], v[27:28], v[7:8]
	v_mul_u32_u24_e32 v7, 33, v2
	v_lshlrev_b32_e32 v25, 3, v7
	v_lshl_add_u32 v26, v11, 3, v25
	ds_write_b64 v26, v[5:6]
	s_waitcnt lgkmcnt(0)
	s_barrier
	s_and_saveexec_b64 s[14:15], s[4:5]
	s_cbranch_execz .LBB172_33
; %bb.32:
	ds_read2_b64 v[5:8], v25 offset1:1
	ds_read2_b64 v[27:30], v25 offset0:2 offset1:3
	s_waitcnt lgkmcnt(1)
	v_add_f64 v[5:6], v[5:6], v[7:8]
	s_waitcnt lgkmcnt(0)
	v_add_f64 v[5:6], v[5:6], v[27:28]
	v_add_f64 v[15:16], v[5:6], v[29:30]
	ds_read2_b64 v[5:8], v25 offset0:4 offset1:5
	ds_read2_b64 v[27:30], v25 offset0:6 offset1:7
	s_waitcnt lgkmcnt(1)
	v_add_f64 v[5:6], v[15:16], v[5:6]
	v_add_f64 v[5:6], v[5:6], v[7:8]
	s_waitcnt lgkmcnt(0)
	v_add_f64 v[5:6], v[5:6], v[27:28]
	v_add_f64 v[36:37], v[5:6], v[29:30]
.LBB172_33:
	s_or_b64 exec, exec, s[14:15]
	s_lshl_b64 s[22:23], s[24:25], 8
	v_mov_b32_e32 v5, s23
	v_add_co_u32_e32 v3, vcc, s22, v3
	v_addc_co_u32_e32 v4, vcc, v4, v5, vcc
	v_add_co_u32_e32 v15, vcc, 0x100, v3
	v_addc_co_u32_e32 v16, vcc, 0, v4, vcc
	v_cndmask_b32_e64 v5, 0, 1, s[16:17]
	v_cmp_ne_u32_e64 s[14:15], 1, v5
	s_andn2_b64 vcc, exec, s[16:17]
	s_mov_b64 s[16:17], -1
	s_barrier
	s_cbranch_vccnz .LBB172_35
; %bb.34:
	s_lshl_b64 s[16:17], s[24:25], 6
	v_mov_b32_e32 v17, s17
	v_add_co_u32_e32 v5, vcc, s16, v3
	v_addc_co_u32_e32 v6, vcc, v4, v17, vcc
	v_add_co_u32_e32 v7, vcc, s16, v5
	v_addc_co_u32_e32 v8, vcc, v6, v17, vcc
	;; [unrolled: 2-line block ×3, first 2 shown]
	flat_load_dwordx2 v[27:28], v[3:4] offset:256
	flat_load_dwordx2 v[29:30], v[5:6] offset:256
	;; [unrolled: 1-line block ×4, first 2 shown]
	s_movk_i32 s16, 0x108
	v_mad_u32_u24 v5, v11, s16, v10
	s_mov_b64 s[16:17], 0
	s_waitcnt vmcnt(0) lgkmcnt(0)
	ds_write_b64 v5, v[27:28]
	ds_write_b64 v5, v[29:30] offset:2112
	ds_write_b64 v5, v[31:32] offset:4224
	;; [unrolled: 1-line block ×3, first 2 shown]
.LBB172_35:
	s_andn2_b64 vcc, exec, s[16:17]
	s_cbranch_vccnz .LBB172_45
; %bb.36:
	v_lshlrev_b32_e32 v17, 3, v2
	v_sub_co_u32_e32 v3, vcc, v3, v17
	s_ashr_i32 s29, s28, 31
	v_subbrev_co_u32_e32 v4, vcc, 0, v4, vcc
	s_lshl_b64 s[40:41], s[28:29], 3
	v_mov_b32_e32 v6, s41
	v_add_co_u32_e32 v3, vcc, s40, v3
	v_addc_co_u32_e32 v4, vcc, v4, v6, vcc
	v_or_b32_e32 v5, 32, v2
	v_add_co_u32_e32 v3, vcc, -8, v3
	v_addc_co_u32_e32 v4, vcc, -1, v4, vcc
	v_cmp_gt_i32_e64 s[16:17], s28, v5
	s_sub_i32 s29, s28, 32
	v_mov_b32_e32 v5, 0
	v_mov_b32_e32 v7, 0
	v_cndmask_b32_e64 v4, v4, v16, s[16:17]
	v_cndmask_b32_e64 v3, v3, v15, s[16:17]
	v_mov_b32_e32 v6, 0
	v_mov_b32_e32 v8, 0
	v_cmp_gt_i32_e32 vcc, s29, v11
	s_and_saveexec_b64 s[42:43], vcc
	s_cbranch_execz .LBB172_38
; %bb.37:
	flat_load_dwordx2 v[7:8], v[3:4]
.LBB172_38:
	s_or_b64 exec, exec, s[42:43]
	s_movk_i32 s42, 0x108
	v_mad_u32_u24 v23, v11, s42, v10
	s_waitcnt vmcnt(0) lgkmcnt(0)
	ds_write_b64 v23, v[7:8]
	v_add_u32_e32 v7, 8, v11
	v_mul_u32_u24_e32 v22, 0x108, v11
	v_cmp_gt_i32_e32 vcc, s29, v7
	s_and_saveexec_b64 s[42:43], vcc
	s_cbranch_execz .LBB172_40
; %bb.39:
	s_lshl_b64 s[44:45], s[24:25], 6
	v_mov_b32_e32 v6, s45
	v_add_co_u32_e32 v5, vcc, s44, v3
	v_addc_co_u32_e32 v6, vcc, v4, v6, vcc
	flat_load_dwordx2 v[5:6], v[5:6]
.LBB172_40:
	s_or_b64 exec, exec, s[42:43]
	v_add_u32_e32 v22, v22, v10
	s_waitcnt vmcnt(0) lgkmcnt(0)
	ds_write_b64 v22, v[5:6] offset:2112
	v_add_u32_e32 v23, 16, v11
	v_mov_b32_e32 v5, 0
	v_mov_b32_e32 v7, 0
	;; [unrolled: 1-line block ×4, first 2 shown]
	v_cmp_gt_i32_e32 vcc, s29, v23
	s_and_saveexec_b64 s[42:43], vcc
	s_cbranch_execz .LBB172_42
; %bb.41:
	s_lshl_b64 s[44:45], s[24:25], 7
	v_mov_b32_e32 v8, s45
	v_add_co_u32_e32 v7, vcc, s44, v3
	v_addc_co_u32_e32 v8, vcc, v4, v8, vcc
	flat_load_dwordx2 v[7:8], v[7:8]
.LBB172_42:
	s_or_b64 exec, exec, s[42:43]
	s_waitcnt vmcnt(0) lgkmcnt(0)
	ds_write_b64 v22, v[7:8] offset:4224
	v_add_u32_e32 v7, 24, v11
	v_cmp_gt_i32_e32 vcc, s29, v7
	s_and_saveexec_b64 s[42:43], vcc
	s_cbranch_execz .LBB172_44
; %bb.43:
	v_mov_b32_e32 v5, 0xc0
	v_mad_u64_u32 v[5:6], s[44:45], s24, v5, v[3:4]
	s_mul_i32 s29, s25, 0xc0
	v_add_u32_e32 v6, s29, v6
	flat_load_dwordx2 v[5:6], v[5:6]
.LBB172_44:
	s_or_b64 exec, exec, s[42:43]
	v_add_co_u32_e32 v3, vcc, v3, v17
	v_addc_co_u32_e32 v4, vcc, 0, v4, vcc
	s_waitcnt vmcnt(0) lgkmcnt(0)
	ds_write_b64 v22, v[5:6] offset:6336
	v_mov_b32_e32 v5, s41
	v_subrev_co_u32_e32 v3, vcc, s40, v3
	v_subb_co_u32_e32 v4, vcc, v4, v5, vcc
	v_add_co_u32_e32 v3, vcc, 0x108, v3
	v_addc_co_u32_e32 v4, vcc, 0, v4, vcc
	v_cndmask_b32_e64 v16, v4, v16, s[16:17]
	v_cndmask_b32_e64 v15, v3, v15, s[16:17]
.LBB172_45:
	v_mul_u32_u24_e32 v4, 0x420, v11
	v_add_u32_e32 v14, 0x2380, v14
	v_mul_u32_u24_e32 v3, 0x108, v12
	s_lshl_b64 s[16:17], s[24:25], 5
	v_add_u32_e32 v4, v10, v4
	s_waitcnt lgkmcnt(0)
	s_barrier
	s_and_saveexec_b64 s[40:41], s[18:19]
	s_cbranch_execnz .LBB172_54
; %bb.46:
	s_or_b64 exec, exec, s[40:41]
	v_add_u32_e32 v3, v10, v3
	s_and_saveexec_b64 s[18:19], s[8:9]
	s_cbranch_execnz .LBB172_55
.LBB172_47:
	s_or_b64 exec, exec, s[18:19]
	s_and_saveexec_b64 s[8:9], s[10:11]
	s_cbranch_execnz .LBB172_56
.LBB172_48:
	s_or_b64 exec, exec, s[8:9]
	s_and_saveexec_b64 s[8:9], s[12:13]
	s_cbranch_execz .LBB172_50
.LBB172_49:
	ds_read_b64 v[5:6], v13
	v_lshl_add_u32 v7, v9, 3, v25
	s_waitcnt lgkmcnt(0)
	ds_write_b64 v7, v[5:6] offset:24
.LBB172_50:
	s_or_b64 exec, exec, s[8:9]
	s_waitcnt lgkmcnt(0)
	s_barrier
	ds_read_b64 v[22:23], v4
	ds_read_b128 v[4:7], v14 offset:256
	ds_read_b128 v[27:30], v14 offset:272
	ds_read_b64 v[12:13], v13
	ds_read2_b64 v[38:41], v3 offset1:33
	v_cmp_eq_u32_e64 s[10:11], 1, v11
	s_waitcnt lgkmcnt(3)
	v_fma_f64 v[4:5], v[22:23], v[4:5], 0
	s_waitcnt lgkmcnt(0)
	s_barrier
	v_fma_f64 v[3:4], v[38:39], v[6:7], v[4:5]
	v_fma_f64 v[3:4], v[40:41], v[27:28], v[3:4]
	;; [unrolled: 1-line block ×3, first 2 shown]
	ds_write_b64 v26, v[3:4]
	s_waitcnt lgkmcnt(0)
	s_barrier
	s_and_saveexec_b64 s[8:9], s[10:11]
	s_cbranch_execz .LBB172_52
; %bb.51:
	ds_read2_b64 v[3:6], v25 offset1:1
	ds_read2_b64 v[27:30], v25 offset0:2 offset1:3
	s_waitcnt lgkmcnt(1)
	v_add_f64 v[3:4], v[3:4], v[5:6]
	s_waitcnt lgkmcnt(0)
	v_add_f64 v[3:4], v[3:4], v[27:28]
	v_add_f64 v[7:8], v[3:4], v[29:30]
	ds_read2_b64 v[3:6], v25 offset0:4 offset1:5
	ds_read2_b64 v[27:30], v25 offset0:6 offset1:7
	s_waitcnt lgkmcnt(1)
	v_add_f64 v[3:4], v[7:8], v[3:4]
	v_add_f64 v[3:4], v[3:4], v[5:6]
	s_waitcnt lgkmcnt(0)
	v_add_f64 v[3:4], v[3:4], v[27:28]
	v_add_f64 v[36:37], v[3:4], v[29:30]
.LBB172_52:
	s_or_b64 exec, exec, s[8:9]
	s_lshl_b64 s[8:9], s[16:17], 3
	v_mov_b32_e32 v3, s9
	v_subrev_co_u32_e64 v22, s[8:9], s8, v15
	s_and_b64 vcc, exec, s[14:15]
	v_subb_co_u32_e64 v23, s[8:9], v16, v3, s[8:9]
	s_barrier
	s_cbranch_vccnz .LBB172_57
; %bb.53:
	s_lshl_b64 s[8:9], s[24:25], 6
	v_mov_b32_e32 v8, s9
	v_add_co_u32_e32 v3, vcc, s8, v22
	v_addc_co_u32_e32 v4, vcc, v23, v8, vcc
	v_add_co_u32_e32 v5, vcc, s8, v3
	v_addc_co_u32_e32 v6, vcc, v4, v8, vcc
	;; [unrolled: 2-line block ×3, first 2 shown]
	flat_load_dwordx2 v[27:28], v[22:23]
	flat_load_dwordx2 v[29:30], v[3:4]
	;; [unrolled: 1-line block ×4, first 2 shown]
	s_movk_i32 s8, 0x108
	v_mov_b32_e32 v3, 0x840
	v_mov_b32_e32 v4, 0x1080
	v_mov_b32_e32 v5, 0x18c0
	v_mul_u32_u24_e32 v13, 0x108, v11
	v_add_u32_e32 v12, 8, v11
	v_add_u32_e32 v15, 16, v11
	;; [unrolled: 1-line block ×3, first 2 shown]
	v_mad_u32_u24 v6, v11, s8, v10
	v_mad_u32_u24 v16, v11, s8, v3
	v_mad_u32_u24 v17, v11, s8, v4
	v_mad_u32_u24 v8, v11, s8, v5
	v_add_u32_e32 v3, v10, v16
	v_add_u32_e32 v4, v10, v17
	v_add_u32_e32 v5, v10, v8
	s_waitcnt vmcnt(0) lgkmcnt(0)
	ds_write_b64 v6, v[27:28]
	ds_write_b64 v3, v[29:30]
	;; [unrolled: 1-line block ×4, first 2 shown]
	s_cbranch_execz .LBB172_58
	s_branch .LBB172_67
.LBB172_54:
	ds_read_b64 v[5:6], v4
	v_lshl_add_u32 v7, v9, 3, v25
	s_waitcnt lgkmcnt(0)
	ds_write_b64 v7, v[5:6]
	s_or_b64 exec, exec, s[40:41]
	v_add_u32_e32 v3, v10, v3
	s_and_saveexec_b64 s[18:19], s[8:9]
	s_cbranch_execz .LBB172_47
.LBB172_55:
	ds_read_b64 v[5:6], v3
	v_lshl_add_u32 v7, v9, 3, v25
	s_waitcnt lgkmcnt(0)
	ds_write_b64 v7, v[5:6] offset:8
	s_or_b64 exec, exec, s[18:19]
	s_and_saveexec_b64 s[8:9], s[10:11]
	s_cbranch_execz .LBB172_48
.LBB172_56:
	ds_read_b64 v[5:6], v3 offset:264
	v_lshl_add_u32 v7, v9, 3, v25
	s_waitcnt lgkmcnt(0)
	ds_write_b64 v7, v[5:6] offset:16
	s_or_b64 exec, exec, s[8:9]
	s_and_saveexec_b64 s[8:9], s[12:13]
	s_cbranch_execnz .LBB172_49
	s_branch .LBB172_50
.LBB172_57:
                                        ; implicit-def: $vgpr13
                                        ; implicit-def: $vgpr12
                                        ; implicit-def: $vgpr16
                                        ; implicit-def: $vgpr15
                                        ; implicit-def: $vgpr17
                                        ; implicit-def: $vgpr7
                                        ; implicit-def: $vgpr8
.LBB172_58:
	v_or_b32_e32 v3, 32, v2
	v_lshlrev_b32_e32 v4, 3, v3
	v_sub_co_u32_e32 v4, vcc, v22, v4
	s_ashr_i32 s29, s28, 31
	v_subbrev_co_u32_e32 v5, vcc, 0, v23, vcc
	s_lshl_b64 s[12:13], s[28:29], 3
	v_mov_b32_e32 v6, s13
	v_add_co_u32_e32 v4, vcc, s12, v4
	v_addc_co_u32_e32 v5, vcc, v5, v6, vcc
	v_add_co_u32_e32 v6, vcc, -8, v4
	v_cmp_gt_i32_e64 s[8:9], s28, v3
	v_addc_co_u32_e32 v4, vcc, -1, v5, vcc
	v_cndmask_b32_e64 v3, v6, v22, s[8:9]
	v_mov_b32_e32 v5, 0
	v_mov_b32_e32 v7, 0
	v_cndmask_b32_e64 v4, v4, v23, s[8:9]
	v_mov_b32_e32 v6, 0
	v_mov_b32_e32 v8, 0
	v_cmp_gt_i32_e32 vcc, s28, v11
	s_and_saveexec_b64 s[14:15], vcc
	s_cbranch_execz .LBB172_60
; %bb.59:
	flat_load_dwordx2 v[7:8], v[3:4]
.LBB172_60:
	s_or_b64 exec, exec, s[14:15]
	s_movk_i32 s14, 0x108
	v_mad_u32_u24 v12, v11, s14, v10
	s_waitcnt vmcnt(0) lgkmcnt(0)
	ds_write_b64 v12, v[7:8]
	v_add_u32_e32 v12, 8, v11
	v_mul_u32_u24_e32 v13, 0x108, v11
	v_cmp_gt_i32_e32 vcc, s28, v12
	s_and_saveexec_b64 s[14:15], vcc
	s_cbranch_execz .LBB172_62
; %bb.61:
	s_lshl_b64 s[16:17], s[24:25], 6
	v_mov_b32_e32 v6, s17
	v_add_co_u32_e32 v5, vcc, s16, v3
	v_addc_co_u32_e32 v6, vcc, v4, v6, vcc
	flat_load_dwordx2 v[5:6], v[5:6]
.LBB172_62:
	s_or_b64 exec, exec, s[14:15]
	v_add_u32_e32 v16, 0x840, v13
	v_add_u32_e32 v7, v10, v16
	s_waitcnt vmcnt(0) lgkmcnt(0)
	ds_write_b64 v7, v[5:6]
	v_add_u32_e32 v15, 16, v11
	v_mov_b32_e32 v5, 0
	v_mov_b32_e32 v7, 0
	;; [unrolled: 1-line block ×4, first 2 shown]
	v_cmp_gt_i32_e32 vcc, s28, v15
	s_and_saveexec_b64 s[14:15], vcc
	s_cbranch_execz .LBB172_64
; %bb.63:
	s_lshl_b64 s[16:17], s[24:25], 7
	v_mov_b32_e32 v8, s17
	v_add_co_u32_e32 v7, vcc, s16, v3
	v_addc_co_u32_e32 v8, vcc, v4, v8, vcc
	flat_load_dwordx2 v[7:8], v[7:8]
.LBB172_64:
	s_or_b64 exec, exec, s[14:15]
	v_add_u32_e32 v17, 0x840, v16
	v_add_u32_e32 v27, v10, v17
	s_waitcnt vmcnt(0) lgkmcnt(0)
	ds_write_b64 v27, v[7:8]
	v_add_u32_e32 v7, 24, v11
	v_cmp_gt_i32_e32 vcc, s28, v7
	s_and_saveexec_b64 s[14:15], vcc
	s_cbranch_execz .LBB172_66
; %bb.65:
	v_mov_b32_e32 v5, 0xc0
	v_mad_u64_u32 v[5:6], s[16:17], s24, v5, v[3:4]
	s_mul_i32 s16, s25, 0xc0
	v_add_u32_e32 v6, s16, v6
	flat_load_dwordx2 v[5:6], v[5:6]
.LBB172_66:
	s_or_b64 exec, exec, s[14:15]
	v_lshlrev_b32_e32 v2, 3, v2
	v_add_co_u32_e32 v2, vcc, v3, v2
	v_addc_co_u32_e32 v3, vcc, 0, v4, vcc
	v_mov_b32_e32 v4, s13
	v_subrev_co_u32_e32 v2, vcc, s12, v2
	v_subb_co_u32_e32 v3, vcc, v3, v4, vcc
	v_add_co_u32_e32 v2, vcc, 0x108, v2
	v_add_u32_e32 v8, 0x840, v17
	v_addc_co_u32_e32 v3, vcc, 0, v3, vcc
	v_add_u32_e32 v27, v10, v8
	v_cndmask_b32_e64 v23, v3, v23, s[8:9]
	v_cndmask_b32_e64 v22, v2, v22, s[8:9]
	s_waitcnt vmcnt(0) lgkmcnt(0)
	ds_write_b64 v27, v[5:6]
.LBB172_67:
	v_add_u32_e32 v2, v10, v13
	v_lshlrev_b32_e32 v4, 3, v11
	s_waitcnt lgkmcnt(0)
	s_barrier
	ds_read_b64 v[2:3], v2
	ds_read_b64 v[4:5], v4 offset:9088
	v_add_u32_e32 v6, v10, v16
	v_lshlrev_b32_e32 v13, 3, v12
	ds_read_b64 v[11:12], v6
	ds_read_b64 v[27:28], v13 offset:9088
	v_lshlrev_b32_e32 v6, 3, v15
	s_waitcnt lgkmcnt(2)
	v_fma_f64 v[2:3], v[2:3], v[4:5], 0
	v_add_u32_e32 v4, v10, v17
	s_waitcnt lgkmcnt(0)
	v_fma_f64 v[2:3], v[11:12], v[27:28], v[2:3]
	ds_read_b64 v[4:5], v4
	ds_read_b64 v[11:12], v6 offset:9088
	v_add_u32_e32 v6, v10, v8
	v_lshlrev_b32_e32 v8, 3, v7
	ds_read_b64 v[6:7], v6
	ds_read_b64 v[15:16], v8 offset:9088
	v_lshl_add_u32 v8, v9, 3, v25
	s_waitcnt lgkmcnt(2)
	v_fma_f64 v[2:3], v[4:5], v[11:12], v[2:3]
	s_waitcnt lgkmcnt(0)
	v_fma_f64 v[27:28], v[6:7], v[15:16], v[2:3]
	ds_read_b128 v[10:13], v14 offset:256
	ds_read_b128 v[2:5], v14 offset:272
	ds_read2_b64 v[14:17], v8 offset1:1
	ds_read2_b64 v[6:9], v8 offset0:2 offset1:3
	s_waitcnt lgkmcnt(0)
	s_barrier
	ds_write_b64 v26, v[27:28]
	s_waitcnt lgkmcnt(0)
	s_barrier
	s_and_saveexec_b64 s[8:9], s[10:11]
	s_cbranch_execz .LBB172_69
; %bb.68:
	ds_read2_b64 v[27:30], v25 offset1:1
	ds_read2_b64 v[38:41], v25 offset0:2 offset1:3
	s_waitcnt lgkmcnt(1)
	v_add_f64 v[27:28], v[36:37], v[27:28]
	v_add_f64 v[27:28], v[27:28], v[29:30]
	s_waitcnt lgkmcnt(0)
	v_add_f64 v[27:28], v[27:28], v[38:39]
	v_add_f64 v[31:32], v[27:28], v[40:41]
	ds_read2_b64 v[27:30], v25 offset0:4 offset1:5
	ds_read2_b64 v[36:39], v25 offset0:6 offset1:7
	s_waitcnt lgkmcnt(1)
	v_add_f64 v[27:28], v[31:32], v[27:28]
	v_add_f64 v[27:28], v[27:28], v[29:30]
	s_waitcnt lgkmcnt(0)
	v_add_f64 v[27:28], v[27:28], v[36:37]
	v_add_f64 v[36:37], v[27:28], v[38:39]
.LBB172_69:
	s_or_b64 exec, exec, s[8:9]
	v_fma_f64 v[10:11], v[14:15], v[10:11], 0
	s_barrier
	v_fma_f64 v[10:11], v[16:17], v[12:13], v[10:11]
	v_fma_f64 v[2:3], v[6:7], v[2:3], v[10:11]
	;; [unrolled: 1-line block ×3, first 2 shown]
	ds_write_b64 v26, v[2:3]
	s_waitcnt lgkmcnt(0)
	s_barrier
	s_and_saveexec_b64 s[8:9], s[4:5]
	s_cbranch_execz .LBB172_71
; %bb.70:
	ds_read2_b64 v[2:5], v25 offset1:1
	ds_read2_b64 v[6:9], v25 offset0:2 offset1:3
	s_waitcnt lgkmcnt(1)
	v_add_f64 v[2:3], v[36:37], v[2:3]
	v_add_f64 v[2:3], v[2:3], v[4:5]
	s_waitcnt lgkmcnt(0)
	v_add_f64 v[2:3], v[2:3], v[6:7]
	v_add_f64 v[10:11], v[2:3], v[8:9]
	ds_read2_b64 v[2:5], v25 offset0:4 offset1:5
	ds_read2_b64 v[6:9], v25 offset0:6 offset1:7
	s_waitcnt lgkmcnt(1)
	v_add_f64 v[2:3], v[10:11], v[2:3]
	v_add_f64 v[2:3], v[2:3], v[4:5]
	s_waitcnt lgkmcnt(0)
	v_add_f64 v[2:3], v[2:3], v[6:7]
	v_add_f64 v[36:37], v[2:3], v[8:9]
.LBB172_71:
	s_or_b64 exec, exec, s[8:9]
	s_mul_hi_u32 s4, s27, s26
	s_mul_i32 s33, s33, s26
	s_add_i32 s4, s4, s33
	s_mul_i32 s8, s27, s26
	s_mul_i32 s4, s4, s7
	s_mul_hi_u32 s5, s8, s7
	s_add_i32 s5, s5, s4
	s_mul_i32 s4, s8, s7
	s_lshl_b64 s[4:5], s[4:5], 3
	s_add_u32 s7, s30, s4
	s_mul_i32 s4, s27, s6
	s_addc_u32 s8, s31, s5
	s_ashr_i32 s5, s4, 31
	s_lshl_b64 s[4:5], s[4:5], 3
	s_add_u32 s7, s7, s4
	v_cmp_le_i32_e32 vcc, s28, v0
	s_addc_u32 s30, s8, s5
	s_and_b64 vcc, s[38:39], vcc
	s_cmp_lt_i32 s6, 1
	v_lshlrev_b32_e32 v74, 3, v0
	s_barrier
	s_cbranch_scc1 .LBB172_78
; %bb.72:
	s_mul_i32 s4, s20, s35
	s_mul_hi_u32 s5, s20, s34
	s_add_i32 s4, s5, s4
	s_mul_i32 s5, s21, s34
	s_add_i32 s5, s4, s5
	s_mul_i32 s4, s20, s34
	s_lshl_b64 s[4:5], s[4:5], 3
	v_mov_b32_e32 v2, s5
	v_subrev_co_u32_e64 v75, s[4:5], s4, v18
	v_subb_co_u32_e64 v76, s[4:5], v19, v2, s[4:5]
	v_mov_b32_e32 v2, s37
	v_subrev_co_u32_e64 v4, s[4:5], s36, v22
	v_lshlrev_b32_e32 v8, 2, v1
	v_subb_co_u32_e64 v7, s[4:5], v23, v2, s[4:5]
	v_mad_u64_u32 v[2:3], s[4:5], s24, v8, 0
	s_movk_i32 s8, 0xff00
	v_add_co_u32_e64 v9, s[4:5], s8, v4
	v_addc_co_u32_e64 v7, s[4:5], -1, v7, s[4:5]
	v_mad_u64_u32 v[3:4], s[4:5], s25, v8, v[3:4]
	v_sub_co_u32_e64 v4, s[4:5], v9, v20
	v_lshlrev_b64 v[2:3], 3, v[2:3]
	v_subb_co_u32_e64 v7, s[4:5], v7, v21, s[4:5]
	v_add_co_u32_e64 v2, s[4:5], v4, v2
	v_addc_co_u32_e64 v3, s[4:5], v7, v3, s[4:5]
	s_ashr_i32 s29, s28, 31
	s_lshl_b64 s[4:5], s[28:29], 3
	v_mov_b32_e32 v4, s5
	v_add_co_u32_e64 v7, s[4:5], s4, v2
	v_addc_co_u32_e64 v4, s[4:5], v3, v4, s[4:5]
	v_add_co_u32_e64 v7, s[4:5], -8, v7
	v_addc_co_u32_e64 v4, s[4:5], -1, v4, s[4:5]
	v_add_co_u32_e64 v2, s[4:5], v2, v74
	v_addc_co_u32_e64 v3, s[4:5], 0, v3, s[4:5]
	v_cndmask_b32_e32 v41, v3, v4, vcc
	v_and_b32_e32 v3, 48, v0
	v_lshrrev_b32_e32 v5, 4, v24
	v_and_b32_e32 v6, 15, v0
	v_cndmask_b32_e32 v40, v2, v7, vcc
	v_mov_b32_e32 v2, 0x2180
	s_movk_i32 s8, 0x218
	v_lshlrev_b32_e32 v3, 3, v3
	v_lshl_add_u32 v78, v1, 5, v2
	v_lshlrev_b32_e32 v2, 5, v5
	v_mad_u32_u24 v82, v6, s8, v3
	v_or_b32_e32 v3, 0x78, v74
	v_mad_u32_u24 v81, v6, s8, v2
	v_mad_u32_u24 v83, v6, s8, v3
	s_mul_i32 s8, s25, 24
	s_mul_hi_u32 s9, s24, 24
	s_add_i32 s8, s9, s8
	s_mul_i32 s9, s25, 0x90
	s_mul_hi_u32 s10, s24, 0x90
	s_add_i32 s9, s10, s9
	;; [unrolled: 3-line block ×6, first 2 shown]
	s_mul_i32 s14, s25, 0x190
	s_mul_hi_u32 s15, s24, 0x190
	s_mul_i32 s40, s25, 0x188
	s_mul_hi_u32 s41, s24, 0x188
	s_lshl_b64 s[16:17], s[24:25], 3
	s_lshl_b64 s[18:19], s[24:25], 4
	;; [unrolled: 1-line block ×4, first 2 shown]
	s_add_i32 s14, s15, s14
	s_mul_i32 s15, s25, 0x198
	s_mul_hi_u32 s39, s24, 0x198
	s_add_i32 s42, s41, s40
	s_mul_i32 s41, s25, 0x108
	s_mul_hi_u32 s43, s24, 0x108
	s_mulk_i32 s25, 0x88
	s_mul_hi_u32 s44, s24, 0x88
	s_movk_i32 s4, 0x860
	v_mul_i32_i24_e32 v2, 0xffffffe8, v5
	s_add_i32 s15, s39, s15
	s_add_i32 s43, s43, s41
	;; [unrolled: 1-line block ×3, first 2 shown]
	v_mov_b32_e32 v39, 0
	v_add_u32_e32 v77, 0x2180, v74
	v_add_u32_e32 v79, 0x2380, v74
	v_mad_u32_u24 v80, v1, s4, v74
	v_cmp_gt_u32_e64 s[4:5], 64, v24
	s_mul_i32 s31, s24, 24
	s_mul_i32 s33, s24, 0x90
	;; [unrolled: 1-line block ×10, first 2 shown]
	s_mulk_i32 s24, 0x88
	s_mov_b32 s25, 0
	v_mov_b32_e32 v84, s17
	v_mov_b32_e32 v85, s19
	;; [unrolled: 1-line block ×15, first 2 shown]
	v_add_u32_e32 v99, v81, v2
	v_mov_b32_e32 v100, s27
	s_branch .LBB172_74
.LBB172_73:                             ;   in Loop: Header=BB172_74 Depth=1
	s_or_b64 exec, exec, s[10:11]
	v_fma_f64 v[6:7], v[42:43], v[6:7], v[36:37]
	s_add_i32 s25, s25, 64
	s_add_i32 s6, s6, -1
	v_add_co_u32_e64 v40, s[8:9], s26, v40
	s_cmp_eq_u32 s6, 0
	v_addc_co_u32_e64 v41, s[8:9], v41, v100, s[8:9]
	v_fma_f64 v[6:7], v[44:45], v[8:9], v[6:7]
	s_waitcnt vmcnt(0)
	s_barrier
	v_fma_f64 v[2:3], v[46:47], v[2:3], v[6:7]
	v_fma_f64 v[2:3], v[48:49], v[4:5], v[2:3]
	v_fma_f64 v[2:3], v[50:51], v[14:15], v[2:3]
	v_fma_f64 v[2:3], v[52:53], v[16:17], v[2:3]
	v_fma_f64 v[2:3], v[54:55], v[10:11], v[2:3]
	v_fma_f64 v[2:3], v[56:57], v[12:13], v[2:3]
	v_fma_f64 v[2:3], v[58:59], v[22:23], v[2:3]
	v_fma_f64 v[2:3], v[60:61], v[24:25], v[2:3]
	v_fma_f64 v[2:3], v[62:63], v[18:19], v[2:3]
	v_fma_f64 v[2:3], v[64:65], v[20:21], v[2:3]
	v_fma_f64 v[2:3], v[66:67], v[30:31], v[2:3]
	v_fma_f64 v[2:3], v[68:69], v[32:33], v[2:3]
	v_fma_f64 v[2:3], v[72:73], v[26:27], v[2:3]
	v_fma_f64 v[36:37], v[70:71], v[28:29], v[2:3]
	s_cbranch_scc1 .LBB172_78
.LBB172_74:                             ; =>This Inner Loop Header: Depth=1
	s_and_saveexec_b64 s[10:11], s[2:3]
	s_cbranch_execz .LBB172_76
; %bb.75:                               ;   in Loop: Header=BB172_74 Depth=1
	s_mul_i32 s8, s21, s25
	s_mul_hi_u32 s9, s20, s25
	s_add_i32 s9, s9, s8
	s_mul_i32 s8, s20, s25
	s_lshl_b64 s[8:9], s[8:9], 3
	v_mov_b32_e32 v3, s9
	v_add_co_u32_e64 v2, s[8:9], s8, v75
	v_addc_co_u32_e64 v3, s[8:9], v76, v3, s[8:9]
	flat_load_dwordx2 v[2:3], v[2:3]
	s_waitcnt vmcnt(0) lgkmcnt(0)
	ds_write_b64 v77, v[2:3]
.LBB172_76:                             ;   in Loop: Header=BB172_74 Depth=1
	s_or_b64 exec, exec, s[10:11]
	v_add_co_u32_e64 v2, s[8:9], s16, v40
	v_addc_co_u32_e64 v3, s[8:9], v41, v84, s[8:9]
	s_waitcnt lgkmcnt(0)
	s_barrier
	flat_load_dwordx2 v[42:43], v[40:41]
	flat_load_dwordx2 v[44:45], v[2:3]
	v_add_co_u32_e64 v2, s[8:9], s18, v40
	v_addc_co_u32_e64 v3, s[8:9], v41, v85, s[8:9]
	v_add_co_u32_e64 v4, s[8:9], s31, v40
	v_addc_co_u32_e64 v5, s[8:9], v41, v86, s[8:9]
	flat_load_dwordx2 v[46:47], v[2:3]
	flat_load_dwordx2 v[48:49], v[4:5]
	ds_read_b64 v[10:11], v79
	ds_read_b128 v[6:9], v78
	ds_read_b128 v[2:5], v78 offset:16
	v_add_co_u32_e64 v14, s[8:9], s28, v40
	v_add_co_u32_e64 v16, s[10:11], s24, v40
	;; [unrolled: 1-line block ×4, first 2 shown]
	v_addc_co_u32_e64 v15, s[8:9], v41, v87, s[8:9]
	v_addc_co_u32_e64 v17, s[8:9], v41, v88, s[10:11]
	;; [unrolled: 1-line block ×4, first 2 shown]
	v_add_co_u32_e64 v26, s[8:9], s22, v40
	v_add_co_u32_e64 v62, s[10:11], s41, v40
	v_addc_co_u32_e64 v27, s[8:9], v41, v91, s[8:9]
	v_addc_co_u32_e64 v63, s[8:9], v41, v92, s[10:11]
	s_waitcnt vmcnt(0) lgkmcnt(0)
	v_mul_f64 v[12:13], v[42:43], v[10:11]
	v_mul_f64 v[18:19], v[44:45], v[10:11]
	;; [unrolled: 1-line block ×4, first 2 shown]
	ds_write2_b64 v80, v[12:13], v[18:19] offset1:67
	ds_write2_b64 v80, v[20:21], v[10:11] offset0:134 offset1:201
	s_waitcnt lgkmcnt(0)
	s_barrier
	ds_read2_b64 v[10:13], v81 offset1:1
	ds_read2_b64 v[18:21], v81 offset0:2 offset1:3
	s_waitcnt lgkmcnt(0)
	s_barrier
	flat_load_dwordx2 v[50:51], v[14:15]
	flat_load_dwordx2 v[52:53], v[16:17]
	;; [unrolled: 1-line block ×4, first 2 shown]
	v_add_f64 v[10:11], v[10:11], 0
	ds_read_b64 v[14:15], v79
	v_add_f64 v[22:23], v[10:11], v[12:13]
	v_add_f64 v[18:19], v[22:23], v[18:19]
	;; [unrolled: 1-line block ×3, first 2 shown]
	s_waitcnt vmcnt(0) lgkmcnt(0)
	v_mul_f64 v[24:25], v[50:51], v[14:15]
	v_mul_f64 v[28:29], v[52:53], v[14:15]
	v_mul_f64 v[30:31], v[54:55], v[14:15]
	v_mul_f64 v[32:33], v[56:57], v[14:15]
	ds_read_b128 v[14:17], v78 offset:128
	ds_read_b128 v[10:13], v78 offset:144
	ds_write2_b64 v80, v[24:25], v[28:29] offset1:67
	ds_write2_b64 v80, v[30:31], v[32:33] offset0:134 offset1:201
	s_waitcnt lgkmcnt(0)
	s_barrier
	ds_read2_b64 v[22:25], v81 offset1:1
	ds_read2_b64 v[18:21], v81 offset0:2 offset1:3
	s_waitcnt lgkmcnt(0)
	s_barrier
	v_add_f64 v[22:23], v[22:23], 0
	flat_load_dwordx2 v[58:59], v[26:27]
	flat_load_dwordx2 v[60:61], v[62:63]
	v_add_co_u32_e64 v26, s[8:9], s35, v40
	v_addc_co_u32_e64 v27, s[8:9], v41, v93, s[8:9]
	v_add_f64 v[22:23], v[22:23], v[24:25]
	v_add_co_u32_e64 v24, s[10:11], s36, v40
	v_addc_co_u32_e64 v25, s[8:9], v41, v94, s[10:11]
	flat_load_dwordx2 v[62:63], v[26:27]
	flat_load_dwordx2 v[64:65], v[24:25]
	v_add_f64 v[18:19], v[22:23], v[18:19]
	ds_read_b64 v[22:23], v79
	v_add_f64 v[111:112], v[18:19], v[20:21]
	s_waitcnt vmcnt(0) lgkmcnt(0)
	v_mul_f64 v[18:19], v[58:59], v[22:23]
	v_mul_f64 v[20:21], v[60:61], v[22:23]
	ds_write2_b64 v80, v[18:19], v[20:21] offset1:67
	v_mul_f64 v[18:19], v[62:63], v[22:23]
	v_mul_f64 v[20:21], v[64:65], v[22:23]
	ds_write2_b64 v80, v[18:19], v[20:21] offset0:134 offset1:201
	ds_read_b128 v[22:25], v78 offset:256
	ds_read_b128 v[18:21], v78 offset:272
	s_waitcnt lgkmcnt(0)
	s_barrier
	ds_read2_b64 v[26:29], v81 offset1:1
	ds_read2_b64 v[101:104], v81 offset0:2 offset1:3
	s_waitcnt lgkmcnt(0)
	s_barrier
	v_add_f64 v[26:27], v[26:27], 0
	v_add_f64 v[113:114], v[26:27], v[28:29]
	v_add_co_u32_e64 v26, s[8:9], s37, v40
	v_addc_co_u32_e64 v27, s[8:9], v41, v95, s[8:9]
	v_add_co_u32_e64 v28, s[8:9], s40, v40
	v_addc_co_u32_e64 v29, s[8:9], v41, v96, s[8:9]
	flat_load_dwordx2 v[66:67], v[26:27]
	flat_load_dwordx2 v[68:69], v[28:29]
	ds_read_b64 v[26:27], v79
	v_add_f64 v[101:102], v[113:114], v[101:102]
	s_waitcnt vmcnt(0) lgkmcnt(0)
	v_mul_f64 v[28:29], v[66:67], v[26:27]
	v_mul_f64 v[30:31], v[68:69], v[26:27]
	ds_write2_b64 v80, v[28:29], v[30:31] offset1:67
	v_add_co_u32_e64 v28, s[8:9], s38, v40
	v_addc_co_u32_e64 v29, s[8:9], v41, v97, s[8:9]
	v_add_co_u32_e64 v30, s[8:9], s39, v40
	v_addc_co_u32_e64 v31, s[8:9], v41, v98, s[8:9]
	flat_load_dwordx2 v[72:73], v[28:29]
	flat_load_dwordx2 v[70:71], v[30:31]
	s_waitcnt vmcnt(0) lgkmcnt(0)
	v_mul_f64 v[28:29], v[72:73], v[26:27]
	v_mul_f64 v[26:27], v[70:71], v[26:27]
	ds_write2_b64 v80, v[28:29], v[26:27] offset0:134 offset1:201
	ds_read_b128 v[30:33], v78 offset:384
	ds_read_b128 v[26:29], v78 offset:400
	s_waitcnt lgkmcnt(0)
	s_barrier
	ds_read2_b64 v[105:108], v81 offset1:1
	s_waitcnt lgkmcnt(0)
	v_add_f64 v[105:106], v[105:106], 0
	v_add_f64 v[105:106], v[105:106], v[107:108]
	;; [unrolled: 1-line block ×3, first 2 shown]
	ds_read2_b64 v[101:104], v81 offset0:2 offset1:3
	s_waitcnt lgkmcnt(0)
	s_barrier
	v_add_f64 v[101:102], v[105:106], v[101:102]
	v_add_f64 v[101:102], v[101:102], v[103:104]
	ds_write2_b64 v99, v[109:110], v[111:112] offset1:16
	ds_write2_b64 v99, v[107:108], v[101:102] offset0:32 offset1:48
	s_waitcnt lgkmcnt(0)
	s_barrier
	s_and_saveexec_b64 s[10:11], s[4:5]
	s_cbranch_execz .LBB172_73
; %bb.77:                               ;   in Loop: Header=BB172_74 Depth=1
	ds_read2_b64 v[101:104], v82 offset1:1
	ds_read2_b64 v[105:108], v82 offset0:2 offset1:3
	v_add_u32_e32 v38, s25, v0
	s_waitcnt lgkmcnt(1)
	v_add_f64 v[101:102], v[101:102], v[103:104]
	s_waitcnt lgkmcnt(0)
	v_add_f64 v[101:102], v[101:102], v[105:106]
	v_add_f64 v[109:110], v[101:102], v[107:108]
	ds_read2_b64 v[101:104], v82 offset0:4 offset1:5
	ds_read2_b64 v[105:108], v82 offset0:6 offset1:7
	s_waitcnt lgkmcnt(1)
	v_add_f64 v[101:102], v[109:110], v[101:102]
	v_add_f64 v[101:102], v[101:102], v[103:104]
	s_waitcnt lgkmcnt(0)
	v_add_f64 v[101:102], v[101:102], v[105:106]
	v_add_f64 v[109:110], v[101:102], v[107:108]
	ds_read2_b64 v[101:104], v82 offset0:8 offset1:9
	ds_read2_b64 v[105:108], v82 offset0:10 offset1:11
	s_waitcnt lgkmcnt(1)
	v_add_f64 v[101:102], v[109:110], v[101:102]
	v_add_f64 v[101:102], v[101:102], v[103:104]
	s_waitcnt lgkmcnt(0)
	v_add_f64 v[101:102], v[101:102], v[105:106]
	v_add_f64 v[105:106], v[101:102], v[107:108]
	ds_read2_b64 v[101:104], v82 offset0:12 offset1:13
	ds_read_b64 v[107:108], v82 offset:112
	s_waitcnt lgkmcnt(1)
	v_add_f64 v[101:102], v[105:106], v[101:102]
	v_add_f64 v[101:102], v[101:102], v[103:104]
	ds_read_b64 v[103:104], v83
	s_waitcnt lgkmcnt(1)
	v_add_f64 v[101:102], v[101:102], v[107:108]
	s_waitcnt lgkmcnt(0)
	v_add_f64 v[101:102], v[101:102], v[103:104]
	v_lshlrev_b64 v[103:104], 3, v[38:39]
	v_mov_b32_e32 v38, s30
	v_add_co_u32_e64 v103, s[8:9], s7, v103
	v_addc_co_u32_e64 v104, s[8:9], v38, v104, s[8:9]
	global_store_dwordx2 v[103:104], v[101:102], off
	s_branch .LBB172_73
.LBB172_78:
	s_movk_i32 s2, 0x218
	v_mad_u32_u24 v0, v1, s2, v74
	s_nor_b64 s[0:1], s[0:1], vcc
	ds_write_b64 v0, v[36:37]
	s_waitcnt lgkmcnt(0)
	s_barrier
	s_and_saveexec_b64 s[2:3], s[0:1]
	s_cbranch_execz .LBB172_80
; %bb.79:
	ds_read2_b64 v[0:3], v74 offset1:67
	s_waitcnt lgkmcnt(0)
	v_add_f64 v[4:5], v[0:1], v[2:3]
	ds_read2_b64 v[0:3], v74 offset0:134 offset1:201
	s_waitcnt lgkmcnt(0)
	v_add_f64 v[0:1], v[4:5], v[0:1]
	v_mov_b32_e32 v4, s30
	v_add_f64 v[0:1], v[0:1], v[2:3]
	v_lshlrev_b64 v[2:3], 3, v[34:35]
	v_add_co_u32_e32 v2, vcc, s7, v2
	v_addc_co_u32_e32 v3, vcc, v4, v3, vcc
	global_store_dwordx2 v[2:3], v[0:1], off
.LBB172_80:
	s_endpgm
	.section	.rodata,"a",@progbits
	.p2align	6, 0x0
	.amdhsa_kernel _ZL26rocblas_hemvn_kernel_lowerILb0ELi64ELi4ELi33ELi32ELi16ElPKdPKS1_PdEviT6_lT7_lT5_lS6_lS7_lS5_lT8_i
		.amdhsa_group_segment_fixed_size 9600
		.amdhsa_private_segment_fixed_size 0
		.amdhsa_kernarg_size 376
		.amdhsa_user_sgpr_count 6
		.amdhsa_user_sgpr_private_segment_buffer 1
		.amdhsa_user_sgpr_dispatch_ptr 0
		.amdhsa_user_sgpr_queue_ptr 0
		.amdhsa_user_sgpr_kernarg_segment_ptr 1
		.amdhsa_user_sgpr_dispatch_id 0
		.amdhsa_user_sgpr_flat_scratch_init 0
		.amdhsa_user_sgpr_private_segment_size 0
		.amdhsa_uses_dynamic_stack 0
		.amdhsa_system_sgpr_private_segment_wavefront_offset 0
		.amdhsa_system_sgpr_workgroup_id_x 1
		.amdhsa_system_sgpr_workgroup_id_y 0
		.amdhsa_system_sgpr_workgroup_id_z 1
		.amdhsa_system_sgpr_workgroup_info 0
		.amdhsa_system_vgpr_workitem_id 1
		.amdhsa_next_free_vgpr 115
		.amdhsa_next_free_sgpr 93
		.amdhsa_reserve_vcc 1
		.amdhsa_reserve_flat_scratch 0
		.amdhsa_float_round_mode_32 0
		.amdhsa_float_round_mode_16_64 0
		.amdhsa_float_denorm_mode_32 3
		.amdhsa_float_denorm_mode_16_64 3
		.amdhsa_dx10_clamp 1
		.amdhsa_ieee_mode 1
		.amdhsa_fp16_overflow 0
		.amdhsa_exception_fp_ieee_invalid_op 0
		.amdhsa_exception_fp_denorm_src 0
		.amdhsa_exception_fp_ieee_div_zero 0
		.amdhsa_exception_fp_ieee_overflow 0
		.amdhsa_exception_fp_ieee_underflow 0
		.amdhsa_exception_fp_ieee_inexact 0
		.amdhsa_exception_int_div_zero 0
	.end_amdhsa_kernel
	.section	.text._ZL26rocblas_hemvn_kernel_lowerILb0ELi64ELi4ELi33ELi32ELi16ElPKdPKS1_PdEviT6_lT7_lT5_lS6_lS7_lS5_lT8_i,"axG",@progbits,_ZL26rocblas_hemvn_kernel_lowerILb0ELi64ELi4ELi33ELi32ELi16ElPKdPKS1_PdEviT6_lT7_lT5_lS6_lS7_lS5_lT8_i,comdat
.Lfunc_end172:
	.size	_ZL26rocblas_hemvn_kernel_lowerILb0ELi64ELi4ELi33ELi32ELi16ElPKdPKS1_PdEviT6_lT7_lT5_lS6_lS7_lS5_lT8_i, .Lfunc_end172-_ZL26rocblas_hemvn_kernel_lowerILb0ELi64ELi4ELi33ELi32ELi16ElPKdPKS1_PdEviT6_lT7_lT5_lS6_lS7_lS5_lT8_i
                                        ; -- End function
	.set _ZL26rocblas_hemvn_kernel_lowerILb0ELi64ELi4ELi33ELi32ELi16ElPKdPKS1_PdEviT6_lT7_lT5_lS6_lS7_lS5_lT8_i.num_vgpr, 115
	.set _ZL26rocblas_hemvn_kernel_lowerILb0ELi64ELi4ELi33ELi32ELi16ElPKdPKS1_PdEviT6_lT7_lT5_lS6_lS7_lS5_lT8_i.num_agpr, 0
	.set _ZL26rocblas_hemvn_kernel_lowerILb0ELi64ELi4ELi33ELi32ELi16ElPKdPKS1_PdEviT6_lT7_lT5_lS6_lS7_lS5_lT8_i.numbered_sgpr, 46
	.set _ZL26rocblas_hemvn_kernel_lowerILb0ELi64ELi4ELi33ELi32ELi16ElPKdPKS1_PdEviT6_lT7_lT5_lS6_lS7_lS5_lT8_i.num_named_barrier, 0
	.set _ZL26rocblas_hemvn_kernel_lowerILb0ELi64ELi4ELi33ELi32ELi16ElPKdPKS1_PdEviT6_lT7_lT5_lS6_lS7_lS5_lT8_i.private_seg_size, 0
	.set _ZL26rocblas_hemvn_kernel_lowerILb0ELi64ELi4ELi33ELi32ELi16ElPKdPKS1_PdEviT6_lT7_lT5_lS6_lS7_lS5_lT8_i.uses_vcc, 1
	.set _ZL26rocblas_hemvn_kernel_lowerILb0ELi64ELi4ELi33ELi32ELi16ElPKdPKS1_PdEviT6_lT7_lT5_lS6_lS7_lS5_lT8_i.uses_flat_scratch, 0
	.set _ZL26rocblas_hemvn_kernel_lowerILb0ELi64ELi4ELi33ELi32ELi16ElPKdPKS1_PdEviT6_lT7_lT5_lS6_lS7_lS5_lT8_i.has_dyn_sized_stack, 0
	.set _ZL26rocblas_hemvn_kernel_lowerILb0ELi64ELi4ELi33ELi32ELi16ElPKdPKS1_PdEviT6_lT7_lT5_lS6_lS7_lS5_lT8_i.has_recursion, 0
	.set _ZL26rocblas_hemvn_kernel_lowerILb0ELi64ELi4ELi33ELi32ELi16ElPKdPKS1_PdEviT6_lT7_lT5_lS6_lS7_lS5_lT8_i.has_indirect_call, 0
	.section	.AMDGPU.csdata,"",@progbits
; Kernel info:
; codeLenInByte = 6456
; TotalNumSgprs: 50
; NumVgprs: 115
; ScratchSize: 0
; MemoryBound: 0
; FloatMode: 240
; IeeeMode: 1
; LDSByteSize: 9600 bytes/workgroup (compile time only)
; SGPRBlocks: 12
; VGPRBlocks: 28
; NumSGPRsForWavesPerEU: 97
; NumVGPRsForWavesPerEU: 115
; Occupancy: 2
; WaveLimiterHint : 1
; COMPUTE_PGM_RSRC2:SCRATCH_EN: 0
; COMPUTE_PGM_RSRC2:USER_SGPR: 6
; COMPUTE_PGM_RSRC2:TRAP_HANDLER: 0
; COMPUTE_PGM_RSRC2:TGID_X_EN: 1
; COMPUTE_PGM_RSRC2:TGID_Y_EN: 0
; COMPUTE_PGM_RSRC2:TGID_Z_EN: 1
; COMPUTE_PGM_RSRC2:TIDIG_COMP_CNT: 1
	.section	.text._ZL36rocblas_hemvn_kernel_lower_block_sumILi64ElPKdPKPddEviT1_lS5_lT2_lT0_lPT3_i,"axG",@progbits,_ZL36rocblas_hemvn_kernel_lower_block_sumILi64ElPKdPKPddEviT1_lS5_lT2_lT0_lPT3_i,comdat
	.globl	_ZL36rocblas_hemvn_kernel_lower_block_sumILi64ElPKdPKPddEviT1_lS5_lT2_lT0_lPT3_i ; -- Begin function _ZL36rocblas_hemvn_kernel_lower_block_sumILi64ElPKdPKPddEviT1_lS5_lT2_lT0_lPT3_i
	.p2align	8
	.type	_ZL36rocblas_hemvn_kernel_lower_block_sumILi64ElPKdPKPddEviT1_lS5_lT2_lT0_lPT3_i,@function
_ZL36rocblas_hemvn_kernel_lower_block_sumILi64ElPKdPKPddEviT1_lS5_lT2_lT0_lPT3_i: ; @_ZL36rocblas_hemvn_kernel_lower_block_sumILi64ElPKdPKPddEviT1_lS5_lT2_lT0_lPT3_i
; %bb.0:
	s_load_dwordx8 s[16:23], s[4:5], 0x8
	s_waitcnt lgkmcnt(0)
	s_mul_i32 s0, s19, s7
	s_mul_hi_u32 s1, s18, s7
	s_add_i32 s1, s1, s0
	s_mul_i32 s0, s18, s7
	s_lshl_b64 s[0:1], s[0:1], 3
	s_add_u32 s0, s16, s0
	s_addc_u32 s1, s17, s1
	s_load_dwordx2 s[8:9], s[0:1], 0x0
	s_mul_i32 s0, s23, s7
	s_mul_hi_u32 s1, s22, s7
	s_add_i32 s1, s1, s0
	s_mul_i32 s0, s22, s7
	s_lshl_b64 s[0:1], s[0:1], 3
	s_add_u32 s0, s20, s0
	s_addc_u32 s1, s21, s1
	s_load_dwordx2 s[10:11], s[0:1], 0x0
	s_waitcnt lgkmcnt(0)
	v_cmp_eq_f64_e64 s[0:1], s[8:9], 0
	v_cmp_eq_f64_e64 s[2:3], s[10:11], 1.0
	s_and_b64 s[0:1], s[0:1], s[2:3]
	s_and_b64 vcc, exec, s[0:1]
	s_cbranch_vccnz .LBB173_19
; %bb.1:
	s_load_dwordx2 s[12:13], s[4:5], 0x28
	s_mov_b32 s14, s7
	s_mov_b32 s15, 0
	s_lshl_b64 s[18:19], s[14:15], 3
	s_load_dword s16, s[4:5], 0x0
	s_load_dwordx4 s[0:3], s[4:5], 0x30
	s_waitcnt lgkmcnt(0)
	s_add_u32 s12, s12, s18
	s_addc_u32 s13, s13, s19
	v_cmp_neq_f64_e64 s[18:19], s[8:9], 0
	s_load_dwordx2 s[20:21], s[12:13], 0x0
	s_lshl_b64 s[0:1], s[0:1], 3
	v_lshl_or_b32 v6, s6, 6, v0
	s_mov_b64 s[12:13], 0
	s_waitcnt lgkmcnt(0)
	s_add_u32 s7, s20, s0
	s_addc_u32 s15, s21, s1
	s_and_b64 vcc, exec, s[18:19]
	v_cmp_gt_i32_e64 s[0:1], s16, v6
	s_cbranch_vccnz .LBB173_6
; %bb.2:
	s_mov_b64 s[18:19], 0
                                        ; implicit-def: $vgpr2_vgpr3
                                        ; implicit-def: $vgpr0_vgpr1
	s_and_saveexec_b64 s[20:21], s[0:1]
	s_cbranch_execz .LBB173_7
; %bb.3:
	v_cmp_eq_f64_e64 s[0:1], s[10:11], 0
	v_ashrrev_i32_e32 v0, 31, v6
	v_mul_lo_u32 v4, s3, v6
	v_mul_lo_u32 v5, s2, v0
	v_mad_u64_u32 v[0:1], s[12:13], s2, v6, 0
	v_mov_b32_e32 v2, 0
	v_mov_b32_e32 v3, 0
	v_add3_u32 v1, v1, v5, v4
	s_and_b64 vcc, exec, s[0:1]
	s_cbranch_vccnz .LBB173_5
; %bb.4:
	v_lshlrev_b64 v[2:3], 3, v[0:1]
	v_mov_b32_e32 v4, s15
	v_add_co_u32_e32 v2, vcc, s7, v2
	v_addc_co_u32_e32 v3, vcc, v4, v3, vcc
	flat_load_dwordx2 v[2:3], v[2:3]
	s_waitcnt vmcnt(0) lgkmcnt(0)
	v_mul_f64 v[2:3], s[10:11], v[2:3]
.LBB173_5:
	s_mov_b64 s[12:13], exec
	s_or_b64 exec, exec, s[20:21]
	s_and_b64 vcc, exec, s[18:19]
	s_cbranch_vccnz .LBB173_8
	s_branch .LBB173_17
.LBB173_6:
                                        ; implicit-def: $vgpr2_vgpr3
                                        ; implicit-def: $vgpr0_vgpr1
	s_cbranch_execnz .LBB173_8
	s_branch .LBB173_17
.LBB173_7:
	s_or_b64 exec, exec, s[20:21]
	s_and_b64 vcc, exec, s[18:19]
	s_cbranch_vccz .LBB173_17
.LBB173_8:
	v_cmp_gt_i32_e32 vcc, s16, v6
                                        ; implicit-def: $vgpr2_vgpr3
                                        ; implicit-def: $vgpr0_vgpr1
	s_and_saveexec_b64 s[0:1], vcc
	s_cbranch_execz .LBB173_16
; %bb.9:
	s_load_dword s18, s[4:5], 0x58
	v_mov_b32_e32 v4, 0
	v_mov_b32_e32 v5, 0
	s_waitcnt lgkmcnt(0)
	s_cmp_ge_i32 s6, s18
	s_cbranch_scc1 .LBB173_12
; %bb.10:
	s_ashr_i32 s17, s16, 31
	s_mul_i32 s19, s16, s6
	s_load_dwordx2 s[4:5], s[4:5], 0x48
	v_add_u32_e32 v0, s19, v6
	s_mul_hi_u32 s19, s16, s14
	s_mul_i32 s20, s17, s14
	s_add_i32 s19, s19, s20
	s_mul_i32 s14, s16, s14
	s_mul_i32 s19, s19, s18
	s_mul_hi_u32 s20, s14, s18
	s_add_i32 s21, s20, s19
	s_mul_i32 s20, s14, s18
	v_ashrrev_i32_e32 v1, 31, v0
	s_lshl_b64 s[20:21], s[20:21], 3
	v_lshlrev_b64 v[0:1], 3, v[0:1]
	s_waitcnt lgkmcnt(0)
	s_add_u32 s4, s4, s20
	s_addc_u32 s5, s5, s21
	v_mov_b32_e32 v2, s5
	v_add_co_u32_e32 v0, vcc, s4, v0
	s_lshl_b64 s[4:5], s[16:17], 3
	v_mov_b32_e32 v4, 0
	v_addc_co_u32_e32 v1, vcc, v2, v1, vcc
	v_mov_b32_e32 v5, 0
	v_mov_b32_e32 v2, s5
.LBB173_11:                             ; =>This Inner Loop Header: Depth=1
	global_load_dwordx2 v[7:8], v[0:1], off
	s_add_i32 s6, s6, 1
	v_add_co_u32_e32 v0, vcc, s4, v0
	s_cmp_ge_i32 s6, s18
	v_addc_co_u32_e32 v1, vcc, v1, v2, vcc
	s_waitcnt vmcnt(0)
	v_add_f64 v[4:5], v[4:5], v[7:8]
	s_cbranch_scc0 .LBB173_11
.LBB173_12:
	v_cmp_eq_f64_e64 s[16:17], s[10:11], 0
	v_ashrrev_i32_e32 v0, 31, v6
	v_mul_lo_u32 v7, s3, v6
	v_mul_lo_u32 v8, s2, v0
	s_mov_b64 s[4:5], 0
	s_and_b64 vcc, exec, s[16:17]
	s_cbranch_vccz .LBB173_20
; %bb.13:
	v_mad_u64_u32 v[0:1], s[16:17], s2, v6, 0
	v_mul_f64 v[2:3], s[8:9], v[4:5]
	v_add3_u32 v1, v1, v8, v7
	s_andn2_b64 vcc, exec, s[4:5]
	s_cbranch_vccnz .LBB173_15
.LBB173_14:
	v_mad_u64_u32 v[0:1], s[2:3], s2, v6, 0
	v_mov_b32_e32 v6, s15
	v_add3_u32 v1, v1, v8, v7
	v_lshlrev_b64 v[2:3], 3, v[0:1]
	v_add_co_u32_e32 v2, vcc, s7, v2
	v_addc_co_u32_e32 v3, vcc, v6, v3, vcc
	flat_load_dwordx2 v[2:3], v[2:3]
	s_waitcnt vmcnt(0) lgkmcnt(0)
	v_mul_f64 v[2:3], s[10:11], v[2:3]
	v_fma_f64 v[2:3], s[8:9], v[4:5], v[2:3]
.LBB173_15:
	s_or_b64 s[12:13], s[12:13], exec
.LBB173_16:
	s_or_b64 exec, exec, s[0:1]
.LBB173_17:
	s_and_saveexec_b64 s[0:1], s[12:13]
	s_cbranch_execz .LBB173_19
; %bb.18:
	v_lshlrev_b64 v[0:1], 3, v[0:1]
	v_mov_b32_e32 v4, s15
	v_add_co_u32_e32 v0, vcc, s7, v0
	v_addc_co_u32_e32 v1, vcc, v4, v1, vcc
	flat_store_dwordx2 v[0:1], v[2:3]
.LBB173_19:
	s_endpgm
.LBB173_20:
                                        ; implicit-def: $vgpr2_vgpr3
                                        ; implicit-def: $vgpr0_vgpr1
	s_branch .LBB173_14
	.section	.rodata,"a",@progbits
	.p2align	6, 0x0
	.amdhsa_kernel _ZL36rocblas_hemvn_kernel_lower_block_sumILi64ElPKdPKPddEviT1_lS5_lT2_lT0_lPT3_i
		.amdhsa_group_segment_fixed_size 0
		.amdhsa_private_segment_fixed_size 0
		.amdhsa_kernarg_size 344
		.amdhsa_user_sgpr_count 6
		.amdhsa_user_sgpr_private_segment_buffer 1
		.amdhsa_user_sgpr_dispatch_ptr 0
		.amdhsa_user_sgpr_queue_ptr 0
		.amdhsa_user_sgpr_kernarg_segment_ptr 1
		.amdhsa_user_sgpr_dispatch_id 0
		.amdhsa_user_sgpr_flat_scratch_init 0
		.amdhsa_user_sgpr_private_segment_size 0
		.amdhsa_uses_dynamic_stack 0
		.amdhsa_system_sgpr_private_segment_wavefront_offset 0
		.amdhsa_system_sgpr_workgroup_id_x 1
		.amdhsa_system_sgpr_workgroup_id_y 0
		.amdhsa_system_sgpr_workgroup_id_z 1
		.amdhsa_system_sgpr_workgroup_info 0
		.amdhsa_system_vgpr_workitem_id 0
		.amdhsa_next_free_vgpr 9
		.amdhsa_next_free_sgpr 24
		.amdhsa_reserve_vcc 1
		.amdhsa_reserve_flat_scratch 0
		.amdhsa_float_round_mode_32 0
		.amdhsa_float_round_mode_16_64 0
		.amdhsa_float_denorm_mode_32 3
		.amdhsa_float_denorm_mode_16_64 3
		.amdhsa_dx10_clamp 1
		.amdhsa_ieee_mode 1
		.amdhsa_fp16_overflow 0
		.amdhsa_exception_fp_ieee_invalid_op 0
		.amdhsa_exception_fp_denorm_src 0
		.amdhsa_exception_fp_ieee_div_zero 0
		.amdhsa_exception_fp_ieee_overflow 0
		.amdhsa_exception_fp_ieee_underflow 0
		.amdhsa_exception_fp_ieee_inexact 0
		.amdhsa_exception_int_div_zero 0
	.end_amdhsa_kernel
	.section	.text._ZL36rocblas_hemvn_kernel_lower_block_sumILi64ElPKdPKPddEviT1_lS5_lT2_lT0_lPT3_i,"axG",@progbits,_ZL36rocblas_hemvn_kernel_lower_block_sumILi64ElPKdPKPddEviT1_lS5_lT2_lT0_lPT3_i,comdat
.Lfunc_end173:
	.size	_ZL36rocblas_hemvn_kernel_lower_block_sumILi64ElPKdPKPddEviT1_lS5_lT2_lT0_lPT3_i, .Lfunc_end173-_ZL36rocblas_hemvn_kernel_lower_block_sumILi64ElPKdPKPddEviT1_lS5_lT2_lT0_lPT3_i
                                        ; -- End function
	.set _ZL36rocblas_hemvn_kernel_lower_block_sumILi64ElPKdPKPddEviT1_lS5_lT2_lT0_lPT3_i.num_vgpr, 9
	.set _ZL36rocblas_hemvn_kernel_lower_block_sumILi64ElPKdPKPddEviT1_lS5_lT2_lT0_lPT3_i.num_agpr, 0
	.set _ZL36rocblas_hemvn_kernel_lower_block_sumILi64ElPKdPKPddEviT1_lS5_lT2_lT0_lPT3_i.numbered_sgpr, 24
	.set _ZL36rocblas_hemvn_kernel_lower_block_sumILi64ElPKdPKPddEviT1_lS5_lT2_lT0_lPT3_i.num_named_barrier, 0
	.set _ZL36rocblas_hemvn_kernel_lower_block_sumILi64ElPKdPKPddEviT1_lS5_lT2_lT0_lPT3_i.private_seg_size, 0
	.set _ZL36rocblas_hemvn_kernel_lower_block_sumILi64ElPKdPKPddEviT1_lS5_lT2_lT0_lPT3_i.uses_vcc, 1
	.set _ZL36rocblas_hemvn_kernel_lower_block_sumILi64ElPKdPKPddEviT1_lS5_lT2_lT0_lPT3_i.uses_flat_scratch, 0
	.set _ZL36rocblas_hemvn_kernel_lower_block_sumILi64ElPKdPKPddEviT1_lS5_lT2_lT0_lPT3_i.has_dyn_sized_stack, 0
	.set _ZL36rocblas_hemvn_kernel_lower_block_sumILi64ElPKdPKPddEviT1_lS5_lT2_lT0_lPT3_i.has_recursion, 0
	.set _ZL36rocblas_hemvn_kernel_lower_block_sumILi64ElPKdPKPddEviT1_lS5_lT2_lT0_lPT3_i.has_indirect_call, 0
	.section	.AMDGPU.csdata,"",@progbits
; Kernel info:
; codeLenInByte = 752
; TotalNumSgprs: 28
; NumVgprs: 9
; ScratchSize: 0
; MemoryBound: 0
; FloatMode: 240
; IeeeMode: 1
; LDSByteSize: 0 bytes/workgroup (compile time only)
; SGPRBlocks: 3
; VGPRBlocks: 2
; NumSGPRsForWavesPerEU: 28
; NumVGPRsForWavesPerEU: 9
; Occupancy: 10
; WaveLimiterHint : 1
; COMPUTE_PGM_RSRC2:SCRATCH_EN: 0
; COMPUTE_PGM_RSRC2:USER_SGPR: 6
; COMPUTE_PGM_RSRC2:TRAP_HANDLER: 0
; COMPUTE_PGM_RSRC2:TGID_X_EN: 1
; COMPUTE_PGM_RSRC2:TGID_Y_EN: 0
; COMPUTE_PGM_RSRC2:TGID_Z_EN: 1
; COMPUTE_PGM_RSRC2:TIDIG_COMP_CNT: 0
	.section	.text._ZL26rocblas_hemvn_kernel_lowerILb0ELi64ELi4ELi33ELi32ELi16EiPKdPKS1_PdEviT6_lT7_lT5_lS6_lS7_lS5_lT8_i,"axG",@progbits,_ZL26rocblas_hemvn_kernel_lowerILb0ELi64ELi4ELi33ELi32ELi16EiPKdPKS1_PdEviT6_lT7_lT5_lS6_lS7_lS5_lT8_i,comdat
	.globl	_ZL26rocblas_hemvn_kernel_lowerILb0ELi64ELi4ELi33ELi32ELi16EiPKdPKS1_PdEviT6_lT7_lT5_lS6_lS7_lS5_lT8_i ; -- Begin function _ZL26rocblas_hemvn_kernel_lowerILb0ELi64ELi4ELi33ELi32ELi16EiPKdPKS1_PdEviT6_lT7_lT5_lS6_lS7_lS5_lT8_i
	.p2align	8
	.type	_ZL26rocblas_hemvn_kernel_lowerILb0ELi64ELi4ELi33ELi32ELi16EiPKdPKS1_PdEviT6_lT7_lT5_lS6_lS7_lS5_lT8_i,@function
_ZL26rocblas_hemvn_kernel_lowerILb0ELi64ELi4ELi33ELi32ELi16EiPKdPKS1_PdEviT6_lT7_lT5_lS6_lS7_lS5_lT8_i: ; @_ZL26rocblas_hemvn_kernel_lowerILb0ELi64ELi4ELi33ELi32ELi16EiPKdPKS1_PdEviT6_lT7_lT5_lS6_lS7_lS5_lT8_i
; %bb.0:
	s_load_dwordx2 s[2:3], s[4:5], 0x84
	s_add_u32 s0, s4, 0x78
	s_mov_b32 s20, s7
	s_addc_u32 s1, s5, 0
	s_waitcnt lgkmcnt(0)
	s_lshr_b32 s7, s2, 16
	s_and_b32 s2, s2, 0xffff
	s_and_b32 s3, s3, 0xffff
	s_mul_i32 s2, s7, s2
	s_mul_i32 s2, s2, s3
	s_cmpk_lg_i32 s2, 0x100
	s_cbranch_scc1 .LBB174_80
; %bb.1:
	s_load_dwordx8 s[8:15], s[4:5], 0x8
	s_load_dwordx4 s[16:19], s[4:5], 0x58
	s_waitcnt lgkmcnt(0)
	s_mul_i32 s3, s11, s20
	s_mul_hi_u32 s7, s10, s20
	s_mul_i32 s2, s10, s20
	s_add_i32 s3, s7, s3
	s_lshl_b64 s[2:3], s[2:3], 3
	s_mul_i32 s10, s19, s20
	s_add_u32 s2, s8, s2
	s_mul_hi_u32 s7, s18, s20
	s_addc_u32 s3, s9, s3
	s_add_i32 s9, s7, s10
	s_mul_i32 s8, s18, s20
	s_lshl_b64 s[8:9], s[8:9], 3
	s_add_u32 s8, s16, s8
	s_addc_u32 s9, s17, s9
	s_load_dwordx2 s[2:3], s[2:3], 0x0
	s_nop 0
	s_load_dwordx2 s[10:11], s[8:9], 0x0
	s_waitcnt lgkmcnt(0)
	v_cmp_eq_f64_e64 s[8:9], s[2:3], 0
	v_cmp_eq_f64_e64 s[2:3], s[10:11], 1.0
	s_and_b64 s[2:3], s[8:9], s[2:3]
	s_and_b64 vcc, exec, s[2:3]
	s_cbranch_vccnz .LBB174_80
; %bb.2:
	v_mov_b32_e32 v2, v1
	s_mov_b64 s[2:3], 0
	s_and_b64 vcc, exec, s[8:9]
	s_cbranch_vccnz .LBB174_4
; %bb.3:
	s_mov_b64 s[2:3], -1
.LBB174_4:
	s_andn2_b64 vcc, exec, s[2:3]
	s_cbranch_vccnz .LBB174_80
; %bb.5:
	s_mov_b32 s21, 0
	s_load_dwordx4 s[8:11], s[4:5], 0x38
	s_load_dword s7, s[4:5], 0x48
	s_lshl_b64 s[2:3], s[20:21], 3
	s_add_u32 s12, s12, s2
	s_addc_u32 s13, s13, s3
	s_waitcnt lgkmcnt(0)
	s_add_u32 s2, s8, s2
	s_addc_u32 s3, s9, s3
	s_load_dwordx2 s[16:17], s[2:3], 0x0
	s_load_dwordx2 s[28:29], s[4:5], 0x68
	s_load_dword s21, s[4:5], 0x0
	s_load_dword s33, s[0:1], 0x0
	s_load_dwordx2 s[8:9], s[12:13], 0x0
	s_lshl_b64 s[0:1], s[10:11], 3
	s_waitcnt lgkmcnt(0)
	s_add_u32 s0, s16, s0
	s_addc_u32 s1, s17, s1
	s_lshl_b32 s26, s6, 6
	v_add_u32_e32 v35, s26, v0
	v_mul_lo_u32 v3, s7, v35
	s_ashr_i32 s42, s21, 31
	s_lshr_b32 s3, s42, 26
	s_add_i32 s3, s21, s3
	v_ashrrev_i32_e32 v4, 31, v3
	s_andn2_b32 s3, s3, 63
	v_lshlrev_b64 v[3:4], 3, v[3:4]
	s_add_i32 s2, s33, -1
	s_sub_i32 s3, s21, s3
	s_cmp_eq_u32 s6, s2
	v_mov_b32_e32 v1, s1
	v_add_co_u32_e32 v19, vcc, s0, v3
	s_cselect_b32 s24, s3, 0
	v_addc_co_u32_e32 v20, vcc, v1, v4, vcc
	v_cmp_ne_u32_e64 s[0:1], 0, v2
	v_cmp_eq_u32_e64 s[2:3], 0, v2
	s_and_saveexec_b64 s[10:11], s[2:3]
	s_cbranch_execz .LBB174_9
; %bb.6:
	s_cmp_eq_u32 s24, 0
	s_cselect_b64 s[12:13], -1, 0
	v_cmp_gt_i32_e32 vcc, s24, v0
	v_mov_b32_e32 v3, 0
	v_mov_b32_e32 v4, 0
	s_or_b64 s[16:17], s[12:13], vcc
	s_and_saveexec_b64 s[12:13], s[16:17]
	s_cbranch_execz .LBB174_8
; %bb.7:
	flat_load_dwordx2 v[3:4], v[19:20]
.LBB174_8:
	s_or_b64 exec, exec, s[12:13]
	v_lshlrev_b32_e32 v1, 3, v0
	s_waitcnt vmcnt(0) lgkmcnt(0)
	ds_write_b64 v1, v[3:4] offset:9088
.LBB174_9:
	s_or_b64 exec, exec, s[10:11]
	s_load_dword s22, s[4:5], 0x28
	v_lshl_add_u32 v25, v2, 6, v0
	v_and_b32_e32 v1, 31, v0
	v_lshrrev_b32_e32 v11, 5, v25
	s_lshl_b64 s[10:11], s[14:15], 3
	s_waitcnt lgkmcnt(0)
	v_mad_u64_u32 v[3:4], s[4:5], s22, v11, v[1:2]
	s_add_u32 s8, s8, s10
	s_addc_u32 s9, s9, s11
	s_ashr_i32 s27, s26, 31
	v_ashrrev_i32_e32 v4, 31, v3
	s_lshl_b64 s[4:5], s[26:27], 3
	v_lshlrev_b64 v[21:22], 3, v[3:4]
	s_add_u32 s4, s8, s4
	s_addc_u32 s5, s9, s5
	v_add_co_u32_e32 v4, vcc, s4, v21
	s_mul_i32 s4, s22, s26
	v_mov_b32_e32 v3, s5
	s_ashr_i32 s5, s4, 31
	v_addc_co_u32_e32 v5, vcc, v3, v22, vcc
	s_lshl_b64 s[30:31], s[4:5], 3
	v_mov_b32_e32 v6, s31
	v_add_co_u32_e32 v3, vcc, s30, v4
	s_cmp_lg_u32 s24, 0
	v_addc_co_u32_e32 v4, vcc, v5, v6, vcc
	s_cselect_b64 s[34:35], -1, 0
	s_cmp_eq_u32 s24, 0
	s_cselect_b64 s[16:17], -1, 0
	s_mov_b64 s[4:5], -1
	s_and_b64 vcc, exec, s[34:35]
	s_cbranch_vccnz .LBB174_11
; %bb.10:
	s_lshl_b32 s4, s22, 3
	s_ashr_i32 s5, s4, 31
	s_lshl_b64 s[4:5], s[4:5], 3
	v_mov_b32_e32 v6, s5
	v_add_co_u32_e32 v5, vcc, s4, v3
	s_ashr_i32 s23, s22, 31
	v_addc_co_u32_e32 v6, vcc, v4, v6, vcc
	s_lshl_b64 s[4:5], s[22:23], 6
	v_mov_b32_e32 v10, s5
	v_add_co_u32_e32 v7, vcc, s4, v5
	v_addc_co_u32_e32 v8, vcc, v6, v10, vcc
	v_add_co_u32_e32 v9, vcc, s4, v7
	v_addc_co_u32_e32 v10, vcc, v8, v10, vcc
	flat_load_dwordx2 v[12:13], v[3:4]
	flat_load_dwordx2 v[14:15], v[5:6]
	;; [unrolled: 1-line block ×4, first 2 shown]
	v_mul_u32_u24_e32 v5, 0x108, v11
	v_lshl_add_u32 v5, v1, 3, v5
	s_mov_b64 s[4:5], 0
	s_waitcnt vmcnt(0) lgkmcnt(0)
	ds_write_b64 v5, v[12:13]
	ds_write_b64 v5, v[14:15] offset:2112
	ds_write_b64 v5, v[16:17] offset:4224
	;; [unrolled: 1-line block ×3, first 2 shown]
.LBB174_11:
	s_andn2_b64 vcc, exec, s[4:5]
	v_lshlrev_b32_e32 v12, 3, v1
	s_cbranch_vccnz .LBB174_21
; %bb.12:
	v_sub_co_u32_e32 v5, vcc, v3, v12
	s_ashr_i32 s25, s24, 31
	v_subbrev_co_u32_e32 v6, vcc, 0, v4, vcc
	s_lshl_b64 s[8:9], s[24:25], 3
	v_mov_b32_e32 v7, s9
	v_add_co_u32_e32 v5, vcc, s8, v5
	v_addc_co_u32_e32 v6, vcc, v6, v7, vcc
	v_add_co_u32_e32 v5, vcc, -8, v5
	v_addc_co_u32_e32 v6, vcc, -1, v6, vcc
	v_cmp_gt_i32_e32 vcc, s24, v1
	v_mov_b32_e32 v7, 0
	v_mov_b32_e32 v9, 0
	v_cndmask_b32_e32 v6, v6, v4, vcc
	v_cndmask_b32_e32 v5, v5, v3, vcc
	v_mov_b32_e32 v8, 0
	v_mov_b32_e32 v10, 0
	v_cmp_gt_i32_e64 s[4:5], s24, v11
	s_and_saveexec_b64 s[10:11], s[4:5]
	s_cbranch_execz .LBB174_14
; %bb.13:
	flat_load_dwordx2 v[9:10], v[5:6]
.LBB174_14:
	s_or_b64 exec, exec, s[10:11]
	s_movk_i32 s4, 0x108
	v_mad_u32_u24 v14, v11, s4, v12
	s_waitcnt vmcnt(0) lgkmcnt(0)
	ds_write_b64 v14, v[9:10]
	v_add_u32_e32 v9, 8, v11
	v_mul_u32_u24_e32 v13, 0x108, v11
	v_cmp_gt_i32_e64 s[4:5], s24, v9
	s_and_saveexec_b64 s[10:11], s[4:5]
	s_cbranch_execz .LBB174_16
; %bb.15:
	s_lshl_b32 s4, s22, 3
	s_ashr_i32 s5, s4, 31
	s_lshl_b64 s[4:5], s[4:5], 3
	v_mov_b32_e32 v8, s5
	v_add_co_u32_e64 v7, s[4:5], s4, v5
	v_addc_co_u32_e64 v8, s[4:5], v6, v8, s[4:5]
	flat_load_dwordx2 v[7:8], v[7:8]
.LBB174_16:
	s_or_b64 exec, exec, s[10:11]
	v_add_u32_e32 v13, v13, v12
	s_waitcnt vmcnt(0) lgkmcnt(0)
	ds_write_b64 v13, v[7:8] offset:2112
	v_add_u32_e32 v14, 16, v11
	v_mov_b32_e32 v7, 0
	v_mov_b32_e32 v9, 0
	;; [unrolled: 1-line block ×4, first 2 shown]
	v_cmp_gt_i32_e64 s[4:5], s24, v14
	s_and_saveexec_b64 s[10:11], s[4:5]
	s_cbranch_execz .LBB174_18
; %bb.17:
	s_lshl_b32 s4, s22, 4
	s_ashr_i32 s5, s4, 31
	s_lshl_b64 s[4:5], s[4:5], 3
	v_mov_b32_e32 v10, s5
	v_add_co_u32_e64 v9, s[4:5], s4, v5
	v_addc_co_u32_e64 v10, s[4:5], v6, v10, s[4:5]
	flat_load_dwordx2 v[9:10], v[9:10]
.LBB174_18:
	s_or_b64 exec, exec, s[10:11]
	s_waitcnt vmcnt(0) lgkmcnt(0)
	ds_write_b64 v13, v[9:10] offset:4224
	v_add_u32_e32 v9, 24, v11
	v_cmp_gt_i32_e64 s[4:5], s24, v9
	s_and_saveexec_b64 s[10:11], s[4:5]
	s_cbranch_execz .LBB174_20
; %bb.19:
	s_mul_i32 s4, s22, 24
	s_ashr_i32 s5, s4, 31
	s_lshl_b64 s[4:5], s[4:5], 3
	v_mov_b32_e32 v8, s5
	v_add_co_u32_e64 v7, s[4:5], s4, v5
	v_addc_co_u32_e64 v8, s[4:5], v6, v8, s[4:5]
	flat_load_dwordx2 v[7:8], v[7:8]
.LBB174_20:
	s_or_b64 exec, exec, s[10:11]
	v_add_co_u32_e64 v5, s[4:5], v5, v12
	v_addc_co_u32_e64 v6, s[4:5], 0, v6, s[4:5]
	s_waitcnt vmcnt(0) lgkmcnt(0)
	ds_write_b64 v13, v[7:8] offset:6336
	v_mov_b32_e32 v7, s9
	v_subrev_co_u32_e64 v5, s[4:5], s8, v5
	v_subb_co_u32_e64 v6, s[4:5], v6, v7, s[4:5]
	v_add_co_u32_e64 v5, s[4:5], 8, v5
	v_addc_co_u32_e64 v6, s[4:5], 0, v6, s[4:5]
	v_cndmask_b32_e32 v4, v6, v4, vcc
	v_cndmask_b32_e32 v3, v5, v3, vcc
.LBB174_21:
	v_lshlrev_b32_e32 v9, 2, v11
	v_lshl_or_b32 v5, v1, 8, v12
	v_cmp_lt_u32_e64 s[18:19], v9, v1
	s_waitcnt lgkmcnt(0)
	s_barrier
	s_and_saveexec_b64 s[4:5], s[18:19]
	s_cbranch_execz .LBB174_23
; %bb.22:
	s_movk_i32 s8, 0x420
	v_mad_u32_u24 v6, v11, s8, v12
	ds_read_b64 v[6:7], v6
	v_lshl_add_u32 v8, v9, 3, v5
	s_waitcnt lgkmcnt(0)
	ds_write_b64 v8, v[6:7]
.LBB174_23:
	s_or_b64 exec, exec, s[4:5]
	v_or_b32_e32 v13, 1, v9
	v_cmp_lt_u32_e64 s[8:9], v13, v1
	s_and_saveexec_b64 s[4:5], s[8:9]
	s_cbranch_execz .LBB174_25
; %bb.24:
	s_movk_i32 s10, 0x108
	v_mad_u32_u24 v6, v13, s10, v12
	ds_read_b64 v[6:7], v6
	v_lshl_add_u32 v8, v9, 3, v5
	s_waitcnt lgkmcnt(0)
	ds_write_b64 v8, v[6:7] offset:8
.LBB174_25:
	s_or_b64 exec, exec, s[4:5]
	v_or_b32_e32 v6, 2, v9
	v_cmp_lt_u32_e64 s[10:11], v6, v1
	s_and_saveexec_b64 s[4:5], s[10:11]
	s_cbranch_execz .LBB174_27
; %bb.26:
	s_movk_i32 s12, 0x108
	v_mad_u32_u24 v6, v6, s12, v12
	ds_read_b64 v[6:7], v6
	v_lshl_add_u32 v8, v9, 3, v5
	s_waitcnt lgkmcnt(0)
	ds_write_b64 v8, v[6:7] offset:16
.LBB174_27:
	s_or_b64 exec, exec, s[4:5]
	v_or_b32_e32 v7, 3, v9
	v_cmp_lt_u32_e64 s[12:13], v7, v1
	v_cmp_ge_u32_e32 vcc, v7, v1
                                        ; implicit-def: $vgpr6
	s_and_saveexec_b64 s[4:5], vcc
	s_xor_b64 s[4:5], exec, s[4:5]
; %bb.28:
	v_mul_u32_u24_e32 v6, 0x108, v7
                                        ; implicit-def: $vgpr5
                                        ; implicit-def: $vgpr7
; %bb.29:
	s_andn2_saveexec_b64 s[4:5], s[4:5]
	s_cbranch_execz .LBB174_31
; %bb.30:
	s_movk_i32 s14, 0x108
	v_mad_u32_u24 v6, v7, s14, v12
	ds_read_b64 v[14:15], v6
	v_lshl_add_u32 v5, v9, 3, v5
	v_mul_u32_u24_e32 v6, 0x108, v7
	s_waitcnt lgkmcnt(0)
	ds_write_b64 v5, v[14:15] offset:24
.LBB174_31:
	s_or_b64 exec, exec, s[4:5]
	s_movk_i32 s4, 0x420
	v_mad_u32_u24 v5, v11, s4, v12
	s_waitcnt lgkmcnt(0)
	s_barrier
	v_lshlrev_b32_e32 v10, 3, v9
	ds_read_b64 v[7:8], v5
	ds_read_b128 v[14:17], v10 offset:9088
	s_movk_i32 s4, 0x108
	v_mad_u32_u24 v5, v13, s4, v12
	ds_read2_b64 v[26:29], v5 offset1:33
	v_mov_b32_e32 v36, 0
	s_waitcnt lgkmcnt(1)
	v_fma_f64 v[7:8], v[7:8], v[14:15], 0
	v_add_u32_e32 v14, v12, v6
	v_mov_b32_e32 v37, 0
	v_cmp_gt_u32_e64 s[4:5], 32, v25
	ds_read_b64 v[5:6], v14
	s_waitcnt lgkmcnt(1)
	v_fma_f64 v[7:8], v[26:27], v[16:17], v[7:8]
	ds_read_b128 v[15:18], v10 offset:9104
	s_waitcnt lgkmcnt(0)
	s_barrier
	v_fma_f64 v[7:8], v[28:29], v[15:16], v[7:8]
	v_fma_f64 v[5:6], v[5:6], v[17:18], v[7:8]
	v_mul_u32_u24_e32 v7, 33, v1
	v_lshlrev_b32_e32 v26, 3, v7
	v_lshl_add_u32 v27, v11, 3, v26
	ds_write_b64 v27, v[5:6]
	s_waitcnt lgkmcnt(0)
	s_barrier
	s_and_saveexec_b64 s[14:15], s[4:5]
	s_cbranch_execz .LBB174_33
; %bb.32:
	ds_read2_b64 v[5:8], v26 offset1:1
	ds_read2_b64 v[15:18], v26 offset0:2 offset1:3
	s_waitcnt lgkmcnt(1)
	v_add_f64 v[5:6], v[5:6], v[7:8]
	s_waitcnt lgkmcnt(0)
	v_add_f64 v[5:6], v[5:6], v[15:16]
	v_add_f64 v[23:24], v[5:6], v[17:18]
	ds_read2_b64 v[5:8], v26 offset0:4 offset1:5
	ds_read2_b64 v[15:18], v26 offset0:6 offset1:7
	s_waitcnt lgkmcnt(1)
	v_add_f64 v[5:6], v[23:24], v[5:6]
	v_add_f64 v[5:6], v[5:6], v[7:8]
	s_waitcnt lgkmcnt(0)
	v_add_f64 v[5:6], v[5:6], v[15:16]
	v_add_f64 v[36:37], v[5:6], v[17:18]
.LBB174_33:
	s_or_b64 exec, exec, s[14:15]
	s_lshl_b32 s14, s22, 5
	s_ashr_i32 s15, s14, 31
	s_lshl_b64 s[36:37], s[14:15], 3
	v_mov_b32_e32 v5, s37
	v_add_co_u32_e32 v3, vcc, s36, v3
	v_addc_co_u32_e32 v4, vcc, v4, v5, vcc
	v_add_co_u32_e32 v15, vcc, 0x100, v3
	v_addc_co_u32_e32 v16, vcc, 0, v4, vcc
	v_cndmask_b32_e64 v5, 0, 1, s[16:17]
	v_cmp_ne_u32_e64 s[14:15], 1, v5
	s_andn2_b64 vcc, exec, s[16:17]
	s_mov_b64 s[16:17], -1
	s_barrier
	s_cbranch_vccnz .LBB174_35
; %bb.34:
	s_lshl_b32 s16, s22, 3
	s_ashr_i32 s17, s16, 31
	s_lshl_b64 s[16:17], s[16:17], 3
	v_mov_b32_e32 v6, s17
	v_add_co_u32_e32 v5, vcc, s16, v3
	s_ashr_i32 s23, s22, 31
	v_addc_co_u32_e32 v6, vcc, v4, v6, vcc
	s_lshl_b64 s[16:17], s[22:23], 6
	v_mov_b32_e32 v18, s17
	v_add_co_u32_e32 v7, vcc, s16, v5
	v_addc_co_u32_e32 v8, vcc, v6, v18, vcc
	v_add_co_u32_e32 v17, vcc, s16, v7
	v_addc_co_u32_e32 v18, vcc, v8, v18, vcc
	flat_load_dwordx2 v[23:24], v[3:4] offset:256
	flat_load_dwordx2 v[28:29], v[5:6] offset:256
	flat_load_dwordx2 v[30:31], v[7:8] offset:256
	flat_load_dwordx2 v[32:33], v[17:18] offset:256
	s_movk_i32 s16, 0x108
	v_mad_u32_u24 v5, v11, s16, v12
	s_mov_b64 s[16:17], 0
	s_waitcnt vmcnt(0) lgkmcnt(0)
	ds_write_b64 v5, v[23:24]
	ds_write_b64 v5, v[28:29] offset:2112
	ds_write_b64 v5, v[30:31] offset:4224
	;; [unrolled: 1-line block ×3, first 2 shown]
.LBB174_35:
	s_andn2_b64 vcc, exec, s[16:17]
	s_cbranch_vccnz .LBB174_45
; %bb.36:
	v_sub_co_u32_e32 v3, vcc, v3, v12
	s_ashr_i32 s25, s24, 31
	v_subbrev_co_u32_e32 v4, vcc, 0, v4, vcc
	s_lshl_b64 s[38:39], s[24:25], 3
	v_mov_b32_e32 v6, s39
	v_add_co_u32_e32 v3, vcc, s38, v3
	v_addc_co_u32_e32 v4, vcc, v4, v6, vcc
	v_or_b32_e32 v5, 32, v1
	v_add_co_u32_e32 v3, vcc, -8, v3
	v_addc_co_u32_e32 v4, vcc, -1, v4, vcc
	v_cmp_gt_i32_e64 s[16:17], s24, v5
	s_sub_i32 s23, s24, 32
	v_mov_b32_e32 v5, 0
	v_mov_b32_e32 v7, 0
	v_cndmask_b32_e64 v4, v4, v16, s[16:17]
	v_cndmask_b32_e64 v3, v3, v15, s[16:17]
	v_mov_b32_e32 v6, 0
	v_mov_b32_e32 v8, 0
	v_cmp_gt_i32_e32 vcc, s23, v11
	s_and_saveexec_b64 s[40:41], vcc
	s_cbranch_execz .LBB174_38
; %bb.37:
	flat_load_dwordx2 v[7:8], v[3:4]
.LBB174_38:
	s_or_b64 exec, exec, s[40:41]
	s_movk_i32 s25, 0x108
	v_mad_u32_u24 v18, v11, s25, v12
	s_waitcnt vmcnt(0) lgkmcnt(0)
	ds_write_b64 v18, v[7:8]
	v_add_u32_e32 v7, 8, v11
	v_mul_u32_u24_e32 v17, 0x108, v11
	v_cmp_gt_i32_e32 vcc, s23, v7
	s_and_saveexec_b64 s[40:41], vcc
	s_cbranch_execz .LBB174_40
; %bb.39:
	s_lshl_b32 s44, s22, 3
	s_ashr_i32 s45, s44, 31
	s_lshl_b64 s[44:45], s[44:45], 3
	v_mov_b32_e32 v6, s45
	v_add_co_u32_e32 v5, vcc, s44, v3
	v_addc_co_u32_e32 v6, vcc, v4, v6, vcc
	flat_load_dwordx2 v[5:6], v[5:6]
.LBB174_40:
	s_or_b64 exec, exec, s[40:41]
	v_add_u32_e32 v17, v17, v12
	s_waitcnt vmcnt(0) lgkmcnt(0)
	ds_write_b64 v17, v[5:6] offset:2112
	v_add_u32_e32 v18, 16, v11
	v_mov_b32_e32 v5, 0
	v_mov_b32_e32 v7, 0
	;; [unrolled: 1-line block ×4, first 2 shown]
	v_cmp_gt_i32_e32 vcc, s23, v18
	s_and_saveexec_b64 s[40:41], vcc
	s_cbranch_execz .LBB174_42
; %bb.41:
	s_lshl_b32 s44, s22, 4
	s_ashr_i32 s45, s44, 31
	s_lshl_b64 s[44:45], s[44:45], 3
	v_mov_b32_e32 v8, s45
	v_add_co_u32_e32 v7, vcc, s44, v3
	v_addc_co_u32_e32 v8, vcc, v4, v8, vcc
	flat_load_dwordx2 v[7:8], v[7:8]
.LBB174_42:
	s_or_b64 exec, exec, s[40:41]
	s_waitcnt vmcnt(0) lgkmcnt(0)
	ds_write_b64 v17, v[7:8] offset:4224
	v_add_u32_e32 v7, 24, v11
	v_cmp_gt_i32_e32 vcc, s23, v7
	s_and_saveexec_b64 s[40:41], vcc
	s_cbranch_execz .LBB174_44
; %bb.43:
	s_mul_i32 s44, s22, 24
	s_ashr_i32 s45, s44, 31
	s_lshl_b64 s[44:45], s[44:45], 3
	v_mov_b32_e32 v6, s45
	v_add_co_u32_e32 v5, vcc, s44, v3
	v_addc_co_u32_e32 v6, vcc, v4, v6, vcc
	flat_load_dwordx2 v[5:6], v[5:6]
.LBB174_44:
	s_or_b64 exec, exec, s[40:41]
	v_add_co_u32_e32 v3, vcc, v3, v12
	v_addc_co_u32_e32 v4, vcc, 0, v4, vcc
	s_waitcnt vmcnt(0) lgkmcnt(0)
	ds_write_b64 v17, v[5:6] offset:6336
	v_mov_b32_e32 v5, s39
	v_subrev_co_u32_e32 v3, vcc, s38, v3
	v_subb_co_u32_e32 v4, vcc, v4, v5, vcc
	v_add_co_u32_e32 v3, vcc, 0x108, v3
	v_addc_co_u32_e32 v4, vcc, 0, v4, vcc
	v_cndmask_b32_e64 v16, v4, v16, s[16:17]
	v_cndmask_b32_e64 v15, v3, v15, s[16:17]
.LBB174_45:
	v_mul_u32_u24_e32 v4, 0x420, v11
	v_add_u32_e32 v10, 0x2380, v10
	v_mul_u32_u24_e32 v3, 0x108, v13
	v_add_u32_e32 v4, v12, v4
	s_waitcnt lgkmcnt(0)
	s_barrier
	s_and_saveexec_b64 s[16:17], s[18:19]
	s_cbranch_execnz .LBB174_54
; %bb.46:
	s_or_b64 exec, exec, s[16:17]
	v_add_u32_e32 v3, v12, v3
	s_and_saveexec_b64 s[16:17], s[8:9]
	s_cbranch_execnz .LBB174_55
.LBB174_47:
	s_or_b64 exec, exec, s[16:17]
	s_and_saveexec_b64 s[8:9], s[10:11]
	s_cbranch_execnz .LBB174_56
.LBB174_48:
	s_or_b64 exec, exec, s[8:9]
	s_and_saveexec_b64 s[8:9], s[12:13]
	s_cbranch_execz .LBB174_50
.LBB174_49:
	ds_read_b64 v[5:6], v14
	v_lshl_add_u32 v7, v9, 3, v26
	s_waitcnt lgkmcnt(0)
	ds_write_b64 v7, v[5:6] offset:24
.LBB174_50:
	s_or_b64 exec, exec, s[8:9]
	s_waitcnt lgkmcnt(0)
	s_barrier
	ds_read_b64 v[17:18], v4
	ds_read_b128 v[4:7], v10 offset:256
	ds_read_b128 v[28:31], v10 offset:272
	ds_read_b64 v[13:14], v14
	ds_read2_b64 v[38:41], v3 offset1:33
	v_cmp_eq_u32_e64 s[10:11], 1, v11
	s_waitcnt lgkmcnt(3)
	v_fma_f64 v[4:5], v[17:18], v[4:5], 0
	s_waitcnt lgkmcnt(0)
	s_barrier
	v_fma_f64 v[3:4], v[38:39], v[6:7], v[4:5]
	v_fma_f64 v[3:4], v[40:41], v[28:29], v[3:4]
	;; [unrolled: 1-line block ×3, first 2 shown]
	ds_write_b64 v27, v[3:4]
	s_waitcnt lgkmcnt(0)
	s_barrier
	s_and_saveexec_b64 s[8:9], s[10:11]
	s_cbranch_execz .LBB174_52
; %bb.51:
	ds_read2_b64 v[3:6], v26 offset1:1
	ds_read2_b64 v[28:31], v26 offset0:2 offset1:3
	s_waitcnt lgkmcnt(1)
	v_add_f64 v[3:4], v[3:4], v[5:6]
	s_waitcnt lgkmcnt(0)
	v_add_f64 v[3:4], v[3:4], v[28:29]
	v_add_f64 v[7:8], v[3:4], v[30:31]
	ds_read2_b64 v[3:6], v26 offset0:4 offset1:5
	ds_read2_b64 v[28:31], v26 offset0:6 offset1:7
	s_waitcnt lgkmcnt(1)
	v_add_f64 v[3:4], v[7:8], v[3:4]
	v_add_f64 v[3:4], v[3:4], v[5:6]
	s_waitcnt lgkmcnt(0)
	v_add_f64 v[3:4], v[3:4], v[28:29]
	v_add_f64 v[36:37], v[3:4], v[30:31]
.LBB174_52:
	s_or_b64 exec, exec, s[8:9]
	v_mov_b32_e32 v3, s37
	v_subrev_co_u32_e64 v23, s[8:9], s36, v15
	s_and_b64 vcc, exec, s[14:15]
	v_subb_co_u32_e64 v24, s[8:9], v16, v3, s[8:9]
	s_barrier
	s_cbranch_vccnz .LBB174_57
; %bb.53:
	s_lshl_b32 s8, s22, 3
	s_ashr_i32 s9, s8, 31
	s_lshl_b64 s[8:9], s[8:9], 3
	v_mov_b32_e32 v4, s9
	v_add_co_u32_e32 v3, vcc, s8, v23
	s_ashr_i32 s23, s22, 31
	v_addc_co_u32_e32 v4, vcc, v24, v4, vcc
	s_lshl_b64 s[8:9], s[22:23], 6
	v_mov_b32_e32 v8, s9
	v_add_co_u32_e32 v5, vcc, s8, v3
	v_addc_co_u32_e32 v6, vcc, v4, v8, vcc
	v_add_co_u32_e32 v7, vcc, s8, v5
	v_addc_co_u32_e32 v8, vcc, v6, v8, vcc
	flat_load_dwordx2 v[28:29], v[23:24]
	flat_load_dwordx2 v[30:31], v[3:4]
	flat_load_dwordx2 v[32:33], v[5:6]
	flat_load_dwordx2 v[38:39], v[7:8]
	s_movk_i32 s8, 0x108
	v_mov_b32_e32 v3, 0x840
	v_mov_b32_e32 v4, 0x1080
	;; [unrolled: 1-line block ×3, first 2 shown]
	v_mul_u32_u24_e32 v14, 0x108, v11
	v_add_u32_e32 v13, 8, v11
	v_add_u32_e32 v15, 16, v11
	;; [unrolled: 1-line block ×3, first 2 shown]
	v_mad_u32_u24 v6, v11, s8, v12
	v_mad_u32_u24 v16, v11, s8, v3
	;; [unrolled: 1-line block ×4, first 2 shown]
	v_add_u32_e32 v3, v12, v16
	v_add_u32_e32 v4, v12, v17
	;; [unrolled: 1-line block ×3, first 2 shown]
	s_waitcnt vmcnt(0) lgkmcnt(0)
	ds_write_b64 v6, v[28:29]
	ds_write_b64 v3, v[30:31]
	;; [unrolled: 1-line block ×4, first 2 shown]
	s_cbranch_execz .LBB174_58
	s_branch .LBB174_67
.LBB174_54:
	ds_read_b64 v[5:6], v4
	v_lshl_add_u32 v7, v9, 3, v26
	s_waitcnt lgkmcnt(0)
	ds_write_b64 v7, v[5:6]
	s_or_b64 exec, exec, s[16:17]
	v_add_u32_e32 v3, v12, v3
	s_and_saveexec_b64 s[16:17], s[8:9]
	s_cbranch_execz .LBB174_47
.LBB174_55:
	ds_read_b64 v[5:6], v3
	v_lshl_add_u32 v7, v9, 3, v26
	s_waitcnt lgkmcnt(0)
	ds_write_b64 v7, v[5:6] offset:8
	s_or_b64 exec, exec, s[16:17]
	s_and_saveexec_b64 s[8:9], s[10:11]
	s_cbranch_execz .LBB174_48
.LBB174_56:
	ds_read_b64 v[5:6], v3 offset:264
	v_lshl_add_u32 v7, v9, 3, v26
	s_waitcnt lgkmcnt(0)
	ds_write_b64 v7, v[5:6] offset:16
	s_or_b64 exec, exec, s[8:9]
	s_and_saveexec_b64 s[8:9], s[12:13]
	s_cbranch_execnz .LBB174_49
	s_branch .LBB174_50
.LBB174_57:
                                        ; implicit-def: $vgpr14
                                        ; implicit-def: $vgpr13
                                        ; implicit-def: $vgpr16
                                        ; implicit-def: $vgpr15
                                        ; implicit-def: $vgpr17
                                        ; implicit-def: $vgpr7
                                        ; implicit-def: $vgpr8
.LBB174_58:
	v_or_b32_e32 v1, 32, v1
	v_lshlrev_b32_e32 v3, 3, v1
	v_sub_co_u32_e32 v3, vcc, v23, v3
	s_ashr_i32 s25, s24, 31
	v_subbrev_co_u32_e32 v4, vcc, 0, v24, vcc
	s_lshl_b64 s[12:13], s[24:25], 3
	v_mov_b32_e32 v5, s13
	v_add_co_u32_e32 v3, vcc, s12, v3
	v_addc_co_u32_e32 v4, vcc, v4, v5, vcc
	v_add_co_u32_e32 v3, vcc, -8, v3
	v_addc_co_u32_e32 v4, vcc, -1, v4, vcc
	v_cmp_gt_i32_e64 s[8:9], s24, v1
	v_mov_b32_e32 v5, 0
	v_mov_b32_e32 v7, 0
	v_cndmask_b32_e64 v4, v4, v24, s[8:9]
	v_cndmask_b32_e64 v3, v3, v23, s[8:9]
	v_mov_b32_e32 v6, 0
	v_mov_b32_e32 v8, 0
	v_cmp_gt_i32_e32 vcc, s24, v11
	s_and_saveexec_b64 s[14:15], vcc
	s_cbranch_execz .LBB174_60
; %bb.59:
	flat_load_dwordx2 v[7:8], v[3:4]
.LBB174_60:
	s_or_b64 exec, exec, s[14:15]
	s_movk_i32 s14, 0x108
	v_add_u32_e32 v13, 8, v11
	v_mul_u32_u24_e32 v14, 0x108, v11
	v_mad_u32_u24 v1, v11, s14, v12
	v_cmp_gt_i32_e32 vcc, s24, v13
	s_waitcnt vmcnt(0) lgkmcnt(0)
	ds_write_b64 v1, v[7:8]
	s_and_saveexec_b64 s[14:15], vcc
	s_cbranch_execz .LBB174_62
; %bb.61:
	s_lshl_b32 s16, s22, 3
	s_ashr_i32 s17, s16, 31
	s_lshl_b64 s[16:17], s[16:17], 3
	v_mov_b32_e32 v1, s17
	v_add_co_u32_e32 v5, vcc, s16, v3
	v_addc_co_u32_e32 v6, vcc, v4, v1, vcc
	flat_load_dwordx2 v[5:6], v[5:6]
.LBB174_62:
	s_or_b64 exec, exec, s[14:15]
	v_add_u32_e32 v16, 0x840, v14
	v_add_u32_e32 v1, v12, v16
	s_waitcnt vmcnt(0) lgkmcnt(0)
	ds_write_b64 v1, v[5:6]
	v_add_u32_e32 v15, 16, v11
	v_mov_b32_e32 v5, 0
	v_mov_b32_e32 v7, 0
	;; [unrolled: 1-line block ×4, first 2 shown]
	v_cmp_gt_i32_e32 vcc, s24, v15
	s_and_saveexec_b64 s[14:15], vcc
	s_cbranch_execz .LBB174_64
; %bb.63:
	s_lshl_b32 s16, s22, 4
	s_ashr_i32 s17, s16, 31
	s_lshl_b64 s[16:17], s[16:17], 3
	v_mov_b32_e32 v1, s17
	v_add_co_u32_e32 v7, vcc, s16, v3
	v_addc_co_u32_e32 v8, vcc, v4, v1, vcc
	flat_load_dwordx2 v[7:8], v[7:8]
.LBB174_64:
	s_or_b64 exec, exec, s[14:15]
	v_add_u32_e32 v17, 0x840, v16
	v_add_u32_e32 v1, v12, v17
	s_waitcnt vmcnt(0) lgkmcnt(0)
	ds_write_b64 v1, v[7:8]
	v_add_u32_e32 v7, 24, v11
	v_cmp_gt_i32_e32 vcc, s24, v7
	s_and_saveexec_b64 s[14:15], vcc
	s_cbranch_execz .LBB174_66
; %bb.65:
	s_mul_i32 s16, s22, 24
	s_ashr_i32 s17, s16, 31
	s_lshl_b64 s[16:17], s[16:17], 3
	v_mov_b32_e32 v1, s17
	v_add_co_u32_e32 v5, vcc, s16, v3
	v_addc_co_u32_e32 v6, vcc, v4, v1, vcc
	flat_load_dwordx2 v[5:6], v[5:6]
.LBB174_66:
	s_or_b64 exec, exec, s[14:15]
	v_add_u32_e32 v8, 0x840, v17
	v_add_u32_e32 v1, v12, v8
	s_waitcnt vmcnt(0) lgkmcnt(0)
	ds_write_b64 v1, v[5:6]
	v_add_co_u32_e32 v1, vcc, v3, v12
	v_addc_co_u32_e32 v3, vcc, 0, v4, vcc
	v_mov_b32_e32 v4, s13
	v_subrev_co_u32_e32 v1, vcc, s12, v1
	v_subb_co_u32_e32 v3, vcc, v3, v4, vcc
	v_add_co_u32_e32 v1, vcc, 0x108, v1
	v_addc_co_u32_e32 v3, vcc, 0, v3, vcc
	v_cndmask_b32_e64 v24, v3, v24, s[8:9]
	v_cndmask_b32_e64 v23, v1, v23, s[8:9]
.LBB174_67:
	v_add_u32_e32 v1, v12, v14
	v_lshlrev_b32_e32 v5, 3, v11
	s_waitcnt lgkmcnt(0)
	s_barrier
	ds_read_b64 v[3:4], v1
	ds_read_b64 v[5:6], v5 offset:9088
	v_add_u32_e32 v1, v12, v16
	v_lshlrev_b32_e32 v11, 3, v13
	ds_read_b64 v[13:14], v1
	ds_read_b64 v[28:29], v11 offset:9088
	v_add_u32_e32 v1, v12, v17
	s_waitcnt lgkmcnt(2)
	v_fma_f64 v[3:4], v[3:4], v[5:6], 0
	v_lshlrev_b32_e32 v11, 3, v15
	s_waitcnt lgkmcnt(0)
	v_fma_f64 v[3:4], v[13:14], v[28:29], v[3:4]
	ds_read_b64 v[5:6], v1
	ds_read_b64 v[13:14], v11 offset:9088
	v_add_u32_e32 v1, v12, v8
	v_lshlrev_b32_e32 v11, 3, v7
	ds_read_b64 v[7:8], v1
	ds_read_b64 v[11:12], v11 offset:9088
	v_lshl_add_u32 v1, v9, 3, v26
	s_waitcnt lgkmcnt(2)
	v_fma_f64 v[3:4], v[5:6], v[13:14], v[3:4]
	s_waitcnt lgkmcnt(0)
	v_fma_f64 v[28:29], v[7:8], v[11:12], v[3:4]
	ds_read_b128 v[11:14], v10 offset:256
	ds_read_b128 v[3:6], v10 offset:272
	ds_read2_b64 v[15:18], v1 offset1:1
	ds_read2_b64 v[7:10], v1 offset0:2 offset1:3
	s_waitcnt lgkmcnt(0)
	s_barrier
	ds_write_b64 v27, v[28:29]
	s_waitcnt lgkmcnt(0)
	s_barrier
	s_and_saveexec_b64 s[8:9], s[10:11]
	s_cbranch_execz .LBB174_69
; %bb.68:
	ds_read2_b64 v[28:31], v26 offset1:1
	ds_read2_b64 v[38:41], v26 offset0:2 offset1:3
	s_waitcnt lgkmcnt(1)
	v_add_f64 v[28:29], v[36:37], v[28:29]
	v_add_f64 v[28:29], v[28:29], v[30:31]
	s_waitcnt lgkmcnt(0)
	v_add_f64 v[28:29], v[28:29], v[38:39]
	v_add_f64 v[32:33], v[28:29], v[40:41]
	ds_read2_b64 v[28:31], v26 offset0:4 offset1:5
	ds_read2_b64 v[36:39], v26 offset0:6 offset1:7
	s_waitcnt lgkmcnt(1)
	v_add_f64 v[28:29], v[32:33], v[28:29]
	v_add_f64 v[28:29], v[28:29], v[30:31]
	s_waitcnt lgkmcnt(0)
	v_add_f64 v[28:29], v[28:29], v[36:37]
	v_add_f64 v[36:37], v[28:29], v[38:39]
.LBB174_69:
	s_or_b64 exec, exec, s[8:9]
	v_fma_f64 v[11:12], v[15:16], v[11:12], 0
	s_barrier
	v_fma_f64 v[11:12], v[17:18], v[13:14], v[11:12]
	v_fma_f64 v[3:4], v[7:8], v[3:4], v[11:12]
	;; [unrolled: 1-line block ×3, first 2 shown]
	ds_write_b64 v27, v[3:4]
	s_waitcnt lgkmcnt(0)
	s_barrier
	s_and_saveexec_b64 s[8:9], s[4:5]
	s_cbranch_execz .LBB174_71
; %bb.70:
	ds_read2_b64 v[3:6], v26 offset1:1
	ds_read2_b64 v[7:10], v26 offset0:2 offset1:3
	s_waitcnt lgkmcnt(1)
	v_add_f64 v[3:4], v[36:37], v[3:4]
	v_add_f64 v[3:4], v[3:4], v[5:6]
	s_waitcnt lgkmcnt(0)
	v_add_f64 v[3:4], v[3:4], v[7:8]
	v_add_f64 v[11:12], v[3:4], v[9:10]
	ds_read2_b64 v[3:6], v26 offset0:4 offset1:5
	ds_read2_b64 v[7:10], v26 offset0:6 offset1:7
	s_waitcnt lgkmcnt(1)
	v_add_f64 v[3:4], v[11:12], v[3:4]
	v_add_f64 v[3:4], v[3:4], v[5:6]
	s_waitcnt lgkmcnt(0)
	v_add_f64 v[3:4], v[3:4], v[7:8]
	v_add_f64 v[36:37], v[3:4], v[9:10]
.LBB174_71:
	s_or_b64 exec, exec, s[8:9]
	s_mul_hi_u32 s4, s21, s20
	s_mul_i32 s42, s42, s20
	s_add_i32 s4, s4, s42
	s_mul_i32 s8, s21, s20
	s_mul_i32 s4, s4, s33
	s_mul_hi_u32 s5, s8, s33
	s_add_i32 s5, s5, s4
	s_mul_i32 s4, s8, s33
	s_lshl_b64 s[4:5], s[4:5], 3
	s_add_u32 s8, s28, s4
	s_mul_i32 s4, s21, s6
	s_addc_u32 s9, s29, s5
	s_ashr_i32 s5, s4, 31
	s_lshl_b64 s[4:5], s[4:5], 3
	s_add_u32 s28, s8, s4
	v_cmp_le_i32_e32 vcc, s24, v0
	s_addc_u32 s29, s9, s5
	s_and_b64 s[4:5], s[34:35], vcc
	s_cmp_lt_i32 s6, 1
	v_lshlrev_b32_e32 v72, 3, v0
	s_barrier
	s_cbranch_scc1 .LBB174_78
; %bb.72:
	s_mul_i32 s8, s7, s26
	s_ashr_i32 s9, s8, 31
	s_lshl_b64 s[8:9], s[8:9], 3
	v_mov_b32_e32 v1, s9
	v_subrev_co_u32_e32 v73, vcc, s8, v19
	v_subb_co_u32_e32 v74, vcc, v20, v1, vcc
	v_mov_b32_e32 v1, s31
	v_subrev_co_u32_e32 v3, vcc, s30, v23
	v_mul_lo_u32 v4, v2, s22
	v_subb_co_u32_e32 v1, vcc, v24, v1, vcc
	v_add_co_u32_e32 v3, vcc, 0xffffff00, v3
	v_addc_co_u32_e32 v1, vcc, -1, v1, vcc
	v_sub_co_u32_e32 v7, vcc, v3, v21
	v_lshl_add_u32 v3, v4, 2, v0
	v_ashrrev_i32_e32 v4, 31, v3
	v_lshlrev_b64 v[3:4], 3, v[3:4]
	v_subb_co_u32_e32 v1, vcc, v1, v22, vcc
	v_add_co_u32_e32 v3, vcc, v7, v3
	v_addc_co_u32_e32 v4, vcc, v1, v4, vcc
	v_sub_co_u32_e32 v7, vcc, v3, v72
	s_ashr_i32 s25, s24, 31
	v_subbrev_co_u32_e32 v8, vcc, 0, v4, vcc
	s_lshl_b64 s[8:9], s[24:25], 3
	v_mov_b32_e32 v9, s9
	v_add_co_u32_e32 v7, vcc, s8, v7
	v_addc_co_u32_e32 v8, vcc, v8, v9, vcc
	v_add_co_u32_e32 v7, vcc, -8, v7
	v_addc_co_u32_e32 v8, vcc, -1, v8, vcc
	v_cndmask_b32_e64 v39, v4, v8, s[4:5]
	s_movk_i32 s8, 0x860
	v_and_b32_e32 v4, 48, v0
	v_lshrrev_b32_e32 v5, 4, v25
	v_and_b32_e32 v6, 15, v0
	v_cndmask_b32_e64 v38, v3, v7, s[4:5]
	v_mov_b32_e32 v3, 0x2180
	v_mad_u32_u24 v78, v2, s8, v72
	s_movk_i32 s8, 0x218
	v_lshlrev_b32_e32 v4, 3, v4
	v_lshl_add_u32 v76, v2, 5, v3
	v_lshlrev_b32_e32 v3, 5, v5
	v_mad_u32_u24 v80, v6, s8, v4
	v_or_b32_e32 v4, 0x78, v72
	s_ashr_i32 s23, s22, 31
	v_mad_u32_u24 v79, v6, s8, v3
	v_mul_i32_i24_e32 v3, 0xffffffe8, v5
	v_mad_u32_u24 v81, v6, s8, v4
	s_lshl_b64 s[16:17], s[22:23], 3
	s_lshl_b64 s[18:19], s[22:23], 4
	;; [unrolled: 1-line block ×3, first 2 shown]
	s_mul_hi_i32 s8, s22, 24
	s_lshl_b64 s[24:25], s[22:23], 7
	s_mul_hi_i32 s9, s22, 0x90
	s_mul_hi_i32 s10, s22, 0x98
	s_lshl_b64 s[26:27], s[22:23], 8
	s_mul_hi_i32 s11, s22, 0x110
	s_mul_hi_i32 s12, s22, 0x118
	;; [unrolled: 1-line block ×8, first 2 shown]
	v_mov_b32_e32 v1, 0
	s_lshl_b32 s7, s7, 6
	v_add_u32_e32 v75, 0x2180, v72
	v_add_u32_e32 v77, 0x2380, v72
	v_cmp_gt_u32_e32 vcc, 64, v25
	s_mul_i32 s30, s22, 24
	s_mul_i32 s31, s22, 0x90
	;; [unrolled: 1-line block ×11, first 2 shown]
	s_mov_b32 s22, 0
	v_mov_b32_e32 v82, s17
	v_mov_b32_e32 v83, s19
	;; [unrolled: 1-line block ×15, first 2 shown]
	v_add_u32_e32 v97, v79, v3
	v_mov_b32_e32 v98, s21
	s_branch .LBB174_74
.LBB174_73:                             ;   in Loop: Header=BB174_74 Depth=1
	s_or_b64 exec, exec, s[10:11]
	v_fma_f64 v[7:8], v[40:41], v[7:8], v[36:37]
	v_add_co_u32_e64 v38, s[8:9], s20, v38
	s_add_i32 s6, s6, -1
	s_add_i32 s22, s22, s7
	v_addc_co_u32_e64 v39, s[8:9], v39, v98, s[8:9]
	s_cmp_eq_u32 s6, 0
	v_fma_f64 v[7:8], v[42:43], v[9:10], v[7:8]
	v_add_u32_e32 v0, 64, v0
	s_waitcnt vmcnt(0)
	s_barrier
	v_fma_f64 v[3:4], v[44:45], v[3:4], v[7:8]
	v_fma_f64 v[3:4], v[46:47], v[5:6], v[3:4]
	;; [unrolled: 1-line block ×14, first 2 shown]
	s_cbranch_scc1 .LBB174_78
.LBB174_74:                             ; =>This Inner Loop Header: Depth=1
	s_and_saveexec_b64 s[10:11], s[2:3]
	s_cbranch_execz .LBB174_76
; %bb.75:                               ;   in Loop: Header=BB174_74 Depth=1
	s_ashr_i32 s23, s22, 31
	s_lshl_b64 s[8:9], s[22:23], 3
	v_mov_b32_e32 v4, s9
	v_add_co_u32_e64 v3, s[8:9], s8, v73
	v_addc_co_u32_e64 v4, s[8:9], v74, v4, s[8:9]
	flat_load_dwordx2 v[3:4], v[3:4]
	s_waitcnt vmcnt(0) lgkmcnt(0)
	ds_write_b64 v75, v[3:4]
.LBB174_76:                             ;   in Loop: Header=BB174_74 Depth=1
	s_or_b64 exec, exec, s[10:11]
	v_add_co_u32_e64 v3, s[8:9], s16, v38
	v_addc_co_u32_e64 v4, s[8:9], v39, v82, s[8:9]
	s_waitcnt lgkmcnt(0)
	s_barrier
	flat_load_dwordx2 v[40:41], v[38:39]
	flat_load_dwordx2 v[42:43], v[3:4]
	v_add_co_u32_e64 v3, s[8:9], s18, v38
	v_addc_co_u32_e64 v4, s[8:9], v39, v83, s[8:9]
	v_add_co_u32_e64 v5, s[8:9], s30, v38
	v_addc_co_u32_e64 v6, s[8:9], v39, v84, s[8:9]
	flat_load_dwordx2 v[44:45], v[3:4]
	flat_load_dwordx2 v[46:47], v[5:6]
	ds_read_b64 v[11:12], v77
	ds_read_b128 v[7:10], v76
	ds_read_b128 v[3:6], v76 offset:16
	v_add_co_u32_e64 v15, s[8:9], s24, v38
	v_add_co_u32_e64 v17, s[10:11], s41, v38
	;; [unrolled: 1-line block ×4, first 2 shown]
	v_addc_co_u32_e64 v16, s[8:9], v39, v85, s[8:9]
	v_addc_co_u32_e64 v18, s[8:9], v39, v86, s[10:11]
	;; [unrolled: 1-line block ×4, first 2 shown]
	v_add_co_u32_e64 v27, s[8:9], s26, v38
	v_add_co_u32_e64 v60, s[10:11], s40, v38
	v_addc_co_u32_e64 v28, s[8:9], v39, v89, s[8:9]
	v_addc_co_u32_e64 v61, s[8:9], v39, v90, s[10:11]
	s_waitcnt vmcnt(0) lgkmcnt(0)
	v_mul_f64 v[13:14], v[40:41], v[11:12]
	v_mul_f64 v[19:20], v[42:43], v[11:12]
	;; [unrolled: 1-line block ×4, first 2 shown]
	ds_write2_b64 v78, v[13:14], v[19:20] offset1:67
	ds_write2_b64 v78, v[21:22], v[11:12] offset0:134 offset1:201
	s_waitcnt lgkmcnt(0)
	s_barrier
	ds_read2_b64 v[11:14], v79 offset1:1
	ds_read2_b64 v[19:22], v79 offset0:2 offset1:3
	s_waitcnt lgkmcnt(0)
	s_barrier
	flat_load_dwordx2 v[48:49], v[15:16]
	flat_load_dwordx2 v[50:51], v[17:18]
	;; [unrolled: 1-line block ×4, first 2 shown]
	v_add_f64 v[11:12], v[11:12], 0
	ds_read_b64 v[15:16], v77
	v_add_f64 v[23:24], v[11:12], v[13:14]
	v_add_f64 v[19:20], v[23:24], v[19:20]
	;; [unrolled: 1-line block ×3, first 2 shown]
	s_waitcnt vmcnt(0) lgkmcnt(0)
	v_mul_f64 v[25:26], v[48:49], v[15:16]
	v_mul_f64 v[29:30], v[50:51], v[15:16]
	;; [unrolled: 1-line block ×4, first 2 shown]
	ds_read_b128 v[15:18], v76 offset:128
	ds_read_b128 v[11:14], v76 offset:144
	ds_write2_b64 v78, v[25:26], v[29:30] offset1:67
	ds_write2_b64 v78, v[31:32], v[33:34] offset0:134 offset1:201
	s_waitcnt lgkmcnt(0)
	s_barrier
	ds_read2_b64 v[23:26], v79 offset1:1
	ds_read2_b64 v[19:22], v79 offset0:2 offset1:3
	s_waitcnt lgkmcnt(0)
	s_barrier
	v_add_f64 v[23:24], v[23:24], 0
	flat_load_dwordx2 v[56:57], v[27:28]
	flat_load_dwordx2 v[58:59], v[60:61]
	v_add_co_u32_e64 v27, s[8:9], s34, v38
	v_addc_co_u32_e64 v28, s[8:9], v39, v91, s[8:9]
	v_add_f64 v[23:24], v[23:24], v[25:26]
	v_add_co_u32_e64 v25, s[10:11], s35, v38
	v_addc_co_u32_e64 v26, s[8:9], v39, v92, s[10:11]
	flat_load_dwordx2 v[60:61], v[27:28]
	flat_load_dwordx2 v[62:63], v[25:26]
	v_add_f64 v[19:20], v[23:24], v[19:20]
	ds_read_b64 v[23:24], v77
	v_add_f64 v[109:110], v[19:20], v[21:22]
	s_waitcnt vmcnt(0) lgkmcnt(0)
	v_mul_f64 v[19:20], v[56:57], v[23:24]
	v_mul_f64 v[21:22], v[58:59], v[23:24]
	ds_write2_b64 v78, v[19:20], v[21:22] offset1:67
	v_mul_f64 v[19:20], v[60:61], v[23:24]
	v_mul_f64 v[21:22], v[62:63], v[23:24]
	ds_write2_b64 v78, v[19:20], v[21:22] offset0:134 offset1:201
	ds_read_b128 v[23:26], v76 offset:256
	ds_read_b128 v[19:22], v76 offset:272
	s_waitcnt lgkmcnt(0)
	s_barrier
	ds_read2_b64 v[27:30], v79 offset1:1
	ds_read2_b64 v[99:102], v79 offset0:2 offset1:3
	s_waitcnt lgkmcnt(0)
	s_barrier
	v_add_f64 v[27:28], v[27:28], 0
	v_add_f64 v[111:112], v[27:28], v[29:30]
	v_add_co_u32_e64 v27, s[8:9], s36, v38
	v_addc_co_u32_e64 v28, s[8:9], v39, v93, s[8:9]
	v_add_co_u32_e64 v29, s[8:9], s39, v38
	v_addc_co_u32_e64 v30, s[8:9], v39, v94, s[8:9]
	flat_load_dwordx2 v[64:65], v[27:28]
	flat_load_dwordx2 v[66:67], v[29:30]
	ds_read_b64 v[27:28], v77
	v_add_f64 v[99:100], v[111:112], v[99:100]
	s_waitcnt vmcnt(0) lgkmcnt(0)
	v_mul_f64 v[29:30], v[64:65], v[27:28]
	v_mul_f64 v[31:32], v[66:67], v[27:28]
	ds_write2_b64 v78, v[29:30], v[31:32] offset1:67
	v_add_co_u32_e64 v29, s[8:9], s37, v38
	v_addc_co_u32_e64 v30, s[8:9], v39, v95, s[8:9]
	v_add_co_u32_e64 v31, s[8:9], s38, v38
	v_addc_co_u32_e64 v32, s[8:9], v39, v96, s[8:9]
	flat_load_dwordx2 v[70:71], v[29:30]
	flat_load_dwordx2 v[68:69], v[31:32]
	s_waitcnt vmcnt(0) lgkmcnt(0)
	v_mul_f64 v[29:30], v[70:71], v[27:28]
	v_mul_f64 v[27:28], v[68:69], v[27:28]
	ds_write2_b64 v78, v[29:30], v[27:28] offset0:134 offset1:201
	ds_read_b128 v[31:34], v76 offset:384
	ds_read_b128 v[27:30], v76 offset:400
	s_waitcnt lgkmcnt(0)
	s_barrier
	ds_read2_b64 v[103:106], v79 offset1:1
	s_waitcnt lgkmcnt(0)
	v_add_f64 v[103:104], v[103:104], 0
	v_add_f64 v[103:104], v[103:104], v[105:106]
	;; [unrolled: 1-line block ×3, first 2 shown]
	ds_read2_b64 v[99:102], v79 offset0:2 offset1:3
	s_waitcnt lgkmcnt(0)
	s_barrier
	v_add_f64 v[99:100], v[103:104], v[99:100]
	v_add_f64 v[99:100], v[99:100], v[101:102]
	ds_write2_b64 v97, v[107:108], v[109:110] offset1:16
	ds_write2_b64 v97, v[105:106], v[99:100] offset0:32 offset1:48
	s_waitcnt lgkmcnt(0)
	s_barrier
	s_and_saveexec_b64 s[10:11], vcc
	s_cbranch_execz .LBB174_73
; %bb.77:                               ;   in Loop: Header=BB174_74 Depth=1
	ds_read2_b64 v[99:102], v80 offset1:1
	ds_read2_b64 v[103:106], v80 offset0:2 offset1:3
	s_waitcnt lgkmcnt(1)
	v_add_f64 v[99:100], v[99:100], v[101:102]
	s_waitcnt lgkmcnt(0)
	v_add_f64 v[99:100], v[99:100], v[103:104]
	v_add_f64 v[107:108], v[99:100], v[105:106]
	ds_read2_b64 v[99:102], v80 offset0:4 offset1:5
	ds_read2_b64 v[103:106], v80 offset0:6 offset1:7
	s_waitcnt lgkmcnt(1)
	v_add_f64 v[99:100], v[107:108], v[99:100]
	v_add_f64 v[99:100], v[99:100], v[101:102]
	s_waitcnt lgkmcnt(0)
	v_add_f64 v[99:100], v[99:100], v[103:104]
	v_add_f64 v[107:108], v[99:100], v[105:106]
	ds_read2_b64 v[99:102], v80 offset0:8 offset1:9
	ds_read2_b64 v[103:106], v80 offset0:10 offset1:11
	s_waitcnt lgkmcnt(1)
	v_add_f64 v[99:100], v[107:108], v[99:100]
	v_add_f64 v[99:100], v[99:100], v[101:102]
	s_waitcnt lgkmcnt(0)
	v_add_f64 v[99:100], v[99:100], v[103:104]
	v_add_f64 v[103:104], v[99:100], v[105:106]
	ds_read2_b64 v[99:102], v80 offset0:12 offset1:13
	ds_read_b64 v[105:106], v80 offset:112
	s_waitcnt lgkmcnt(1)
	v_add_f64 v[99:100], v[103:104], v[99:100]
	v_mov_b32_e32 v103, s29
	v_add_f64 v[99:100], v[99:100], v[101:102]
	ds_read_b64 v[101:102], v81
	s_waitcnt lgkmcnt(1)
	v_add_f64 v[99:100], v[99:100], v[105:106]
	s_waitcnt lgkmcnt(0)
	v_add_f64 v[99:100], v[99:100], v[101:102]
	v_lshlrev_b64 v[101:102], 3, v[0:1]
	v_add_co_u32_e64 v101, s[8:9], s28, v101
	v_addc_co_u32_e64 v102, s[8:9], v103, v102, s[8:9]
	global_store_dwordx2 v[101:102], v[99:100], off
	s_branch .LBB174_73
.LBB174_78:
	s_movk_i32 s2, 0x218
	v_mad_u32_u24 v0, v2, s2, v72
	s_nor_b64 s[0:1], s[0:1], s[4:5]
	ds_write_b64 v0, v[36:37]
	s_waitcnt lgkmcnt(0)
	s_barrier
	s_and_saveexec_b64 s[2:3], s[0:1]
	s_cbranch_execz .LBB174_80
; %bb.79:
	ds_read2_b64 v[0:3], v72 offset1:67
	v_ashrrev_i32_e32 v36, 31, v35
	s_waitcnt lgkmcnt(0)
	v_add_f64 v[4:5], v[0:1], v[2:3]
	ds_read2_b64 v[0:3], v72 offset0:134 offset1:201
	s_waitcnt lgkmcnt(0)
	v_add_f64 v[0:1], v[4:5], v[0:1]
	v_mov_b32_e32 v4, s29
	v_add_f64 v[0:1], v[0:1], v[2:3]
	v_lshlrev_b64 v[2:3], 3, v[35:36]
	v_add_co_u32_e32 v2, vcc, s28, v2
	v_addc_co_u32_e32 v3, vcc, v4, v3, vcc
	global_store_dwordx2 v[2:3], v[0:1], off
.LBB174_80:
	s_endpgm
	.section	.rodata,"a",@progbits
	.p2align	6, 0x0
	.amdhsa_kernel _ZL26rocblas_hemvn_kernel_lowerILb0ELi64ELi4ELi33ELi32ELi16EiPKdPKS1_PdEviT6_lT7_lT5_lS6_lS7_lS5_lT8_i
		.amdhsa_group_segment_fixed_size 9600
		.amdhsa_private_segment_fixed_size 0
		.amdhsa_kernarg_size 376
		.amdhsa_user_sgpr_count 6
		.amdhsa_user_sgpr_private_segment_buffer 1
		.amdhsa_user_sgpr_dispatch_ptr 0
		.amdhsa_user_sgpr_queue_ptr 0
		.amdhsa_user_sgpr_kernarg_segment_ptr 1
		.amdhsa_user_sgpr_dispatch_id 0
		.amdhsa_user_sgpr_flat_scratch_init 0
		.amdhsa_user_sgpr_private_segment_size 0
		.amdhsa_uses_dynamic_stack 0
		.amdhsa_system_sgpr_private_segment_wavefront_offset 0
		.amdhsa_system_sgpr_workgroup_id_x 1
		.amdhsa_system_sgpr_workgroup_id_y 0
		.amdhsa_system_sgpr_workgroup_id_z 1
		.amdhsa_system_sgpr_workgroup_info 0
		.amdhsa_system_vgpr_workitem_id 1
		.amdhsa_next_free_vgpr 113
		.amdhsa_next_free_sgpr 93
		.amdhsa_reserve_vcc 1
		.amdhsa_reserve_flat_scratch 0
		.amdhsa_float_round_mode_32 0
		.amdhsa_float_round_mode_16_64 0
		.amdhsa_float_denorm_mode_32 3
		.amdhsa_float_denorm_mode_16_64 3
		.amdhsa_dx10_clamp 1
		.amdhsa_ieee_mode 1
		.amdhsa_fp16_overflow 0
		.amdhsa_exception_fp_ieee_invalid_op 0
		.amdhsa_exception_fp_denorm_src 0
		.amdhsa_exception_fp_ieee_div_zero 0
		.amdhsa_exception_fp_ieee_overflow 0
		.amdhsa_exception_fp_ieee_underflow 0
		.amdhsa_exception_fp_ieee_inexact 0
		.amdhsa_exception_int_div_zero 0
	.end_amdhsa_kernel
	.section	.text._ZL26rocblas_hemvn_kernel_lowerILb0ELi64ELi4ELi33ELi32ELi16EiPKdPKS1_PdEviT6_lT7_lT5_lS6_lS7_lS5_lT8_i,"axG",@progbits,_ZL26rocblas_hemvn_kernel_lowerILb0ELi64ELi4ELi33ELi32ELi16EiPKdPKS1_PdEviT6_lT7_lT5_lS6_lS7_lS5_lT8_i,comdat
.Lfunc_end174:
	.size	_ZL26rocblas_hemvn_kernel_lowerILb0ELi64ELi4ELi33ELi32ELi16EiPKdPKS1_PdEviT6_lT7_lT5_lS6_lS7_lS5_lT8_i, .Lfunc_end174-_ZL26rocblas_hemvn_kernel_lowerILb0ELi64ELi4ELi33ELi32ELi16EiPKdPKS1_PdEviT6_lT7_lT5_lS6_lS7_lS5_lT8_i
                                        ; -- End function
	.set _ZL26rocblas_hemvn_kernel_lowerILb0ELi64ELi4ELi33ELi32ELi16EiPKdPKS1_PdEviT6_lT7_lT5_lS6_lS7_lS5_lT8_i.num_vgpr, 113
	.set _ZL26rocblas_hemvn_kernel_lowerILb0ELi64ELi4ELi33ELi32ELi16EiPKdPKS1_PdEviT6_lT7_lT5_lS6_lS7_lS5_lT8_i.num_agpr, 0
	.set _ZL26rocblas_hemvn_kernel_lowerILb0ELi64ELi4ELi33ELi32ELi16EiPKdPKS1_PdEviT6_lT7_lT5_lS6_lS7_lS5_lT8_i.numbered_sgpr, 46
	.set _ZL26rocblas_hemvn_kernel_lowerILb0ELi64ELi4ELi33ELi32ELi16EiPKdPKS1_PdEviT6_lT7_lT5_lS6_lS7_lS5_lT8_i.num_named_barrier, 0
	.set _ZL26rocblas_hemvn_kernel_lowerILb0ELi64ELi4ELi33ELi32ELi16EiPKdPKS1_PdEviT6_lT7_lT5_lS6_lS7_lS5_lT8_i.private_seg_size, 0
	.set _ZL26rocblas_hemvn_kernel_lowerILb0ELi64ELi4ELi33ELi32ELi16EiPKdPKS1_PdEviT6_lT7_lT5_lS6_lS7_lS5_lT8_i.uses_vcc, 1
	.set _ZL26rocblas_hemvn_kernel_lowerILb0ELi64ELi4ELi33ELi32ELi16EiPKdPKS1_PdEviT6_lT7_lT5_lS6_lS7_lS5_lT8_i.uses_flat_scratch, 0
	.set _ZL26rocblas_hemvn_kernel_lowerILb0ELi64ELi4ELi33ELi32ELi16EiPKdPKS1_PdEviT6_lT7_lT5_lS6_lS7_lS5_lT8_i.has_dyn_sized_stack, 0
	.set _ZL26rocblas_hemvn_kernel_lowerILb0ELi64ELi4ELi33ELi32ELi16EiPKdPKS1_PdEviT6_lT7_lT5_lS6_lS7_lS5_lT8_i.has_recursion, 0
	.set _ZL26rocblas_hemvn_kernel_lowerILb0ELi64ELi4ELi33ELi32ELi16EiPKdPKS1_PdEviT6_lT7_lT5_lS6_lS7_lS5_lT8_i.has_indirect_call, 0
	.section	.AMDGPU.csdata,"",@progbits
; Kernel info:
; codeLenInByte = 6308
; TotalNumSgprs: 50
; NumVgprs: 113
; ScratchSize: 0
; MemoryBound: 0
; FloatMode: 240
; IeeeMode: 1
; LDSByteSize: 9600 bytes/workgroup (compile time only)
; SGPRBlocks: 12
; VGPRBlocks: 28
; NumSGPRsForWavesPerEU: 97
; NumVGPRsForWavesPerEU: 113
; Occupancy: 2
; WaveLimiterHint : 1
; COMPUTE_PGM_RSRC2:SCRATCH_EN: 0
; COMPUTE_PGM_RSRC2:USER_SGPR: 6
; COMPUTE_PGM_RSRC2:TRAP_HANDLER: 0
; COMPUTE_PGM_RSRC2:TGID_X_EN: 1
; COMPUTE_PGM_RSRC2:TGID_Y_EN: 0
; COMPUTE_PGM_RSRC2:TGID_Z_EN: 1
; COMPUTE_PGM_RSRC2:TIDIG_COMP_CNT: 1
	.section	.text._ZL36rocblas_hemvn_kernel_lower_block_sumILi64EiPKdPKPddEviT1_lS5_lT2_lT0_lPT3_i,"axG",@progbits,_ZL36rocblas_hemvn_kernel_lower_block_sumILi64EiPKdPKPddEviT1_lS5_lT2_lT0_lPT3_i,comdat
	.globl	_ZL36rocblas_hemvn_kernel_lower_block_sumILi64EiPKdPKPddEviT1_lS5_lT2_lT0_lPT3_i ; -- Begin function _ZL36rocblas_hemvn_kernel_lower_block_sumILi64EiPKdPKPddEviT1_lS5_lT2_lT0_lPT3_i
	.p2align	8
	.type	_ZL36rocblas_hemvn_kernel_lower_block_sumILi64EiPKdPKPddEviT1_lS5_lT2_lT0_lPT3_i,@function
_ZL36rocblas_hemvn_kernel_lower_block_sumILi64EiPKdPKPddEviT1_lS5_lT2_lT0_lPT3_i: ; @_ZL36rocblas_hemvn_kernel_lower_block_sumILi64EiPKdPKPddEviT1_lS5_lT2_lT0_lPT3_i
; %bb.0:
	s_load_dwordx8 s[16:23], s[4:5], 0x8
	s_waitcnt lgkmcnt(0)
	s_mul_i32 s0, s19, s7
	s_mul_hi_u32 s1, s18, s7
	s_add_i32 s1, s1, s0
	s_mul_i32 s0, s18, s7
	s_lshl_b64 s[0:1], s[0:1], 3
	s_add_u32 s0, s16, s0
	s_addc_u32 s1, s17, s1
	s_load_dwordx2 s[2:3], s[0:1], 0x0
	s_mul_i32 s0, s23, s7
	s_mul_hi_u32 s1, s22, s7
	s_add_i32 s1, s1, s0
	s_mul_i32 s0, s22, s7
	s_lshl_b64 s[0:1], s[0:1], 3
	s_add_u32 s0, s20, s0
	s_addc_u32 s1, s21, s1
	s_load_dwordx2 s[8:9], s[0:1], 0x0
	s_waitcnt lgkmcnt(0)
	v_cmp_eq_f64_e64 s[0:1], s[2:3], 0
	v_cmp_eq_f64_e64 s[10:11], s[8:9], 1.0
	s_and_b64 s[0:1], s[0:1], s[10:11]
	s_and_b64 vcc, exec, s[0:1]
	s_cbranch_vccnz .LBB175_19
; %bb.1:
	s_load_dwordx4 s[16:19], s[4:5], 0x28
	s_mov_b32 s12, s7
	s_mov_b32 s13, 0
	s_lshl_b64 s[0:1], s[12:13], 3
	s_load_dword s20, s[4:5], 0x38
	s_load_dword s14, s[4:5], 0x0
	s_waitcnt lgkmcnt(0)
	s_add_u32 s0, s16, s0
	s_addc_u32 s1, s17, s1
	v_cmp_neq_f64_e64 s[16:17], s[2:3], 0
	s_load_dwordx2 s[0:1], s[0:1], 0x0
	s_lshl_b64 s[18:19], s[18:19], 3
	v_lshl_or_b32 v6, s6, 6, v0
	s_mov_b64 s[10:11], 0
	s_waitcnt lgkmcnt(0)
	s_add_u32 s7, s0, s18
	s_addc_u32 s13, s1, s19
	s_and_b64 vcc, exec, s[16:17]
	v_cmp_gt_i32_e64 s[0:1], s14, v6
	s_cbranch_vccnz .LBB175_6
; %bb.2:
	s_mov_b64 s[16:17], 0
                                        ; implicit-def: $vgpr2_vgpr3
                                        ; implicit-def: $vgpr0_vgpr1
	s_and_saveexec_b64 s[18:19], s[0:1]
	s_cbranch_execz .LBB175_7
; %bb.3:
	v_cmp_eq_f64_e64 s[0:1], s[8:9], 0
	v_mul_lo_u32 v0, s20, v6
	v_mov_b32_e32 v2, 0
	v_mov_b32_e32 v3, 0
	v_ashrrev_i32_e32 v1, 31, v0
	s_and_b64 vcc, exec, s[0:1]
	s_cbranch_vccnz .LBB175_5
; %bb.4:
	v_lshlrev_b64 v[2:3], 3, v[0:1]
	v_mov_b32_e32 v4, s13
	v_add_co_u32_e32 v2, vcc, s7, v2
	v_addc_co_u32_e32 v3, vcc, v4, v3, vcc
	flat_load_dwordx2 v[2:3], v[2:3]
	s_waitcnt vmcnt(0) lgkmcnt(0)
	v_mul_f64 v[2:3], s[8:9], v[2:3]
.LBB175_5:
	s_mov_b64 s[10:11], exec
	s_or_b64 exec, exec, s[18:19]
	s_and_b64 vcc, exec, s[16:17]
	s_cbranch_vccnz .LBB175_8
	s_branch .LBB175_17
.LBB175_6:
                                        ; implicit-def: $vgpr2_vgpr3
                                        ; implicit-def: $vgpr0_vgpr1
	s_cbranch_execnz .LBB175_8
	s_branch .LBB175_17
.LBB175_7:
	s_or_b64 exec, exec, s[18:19]
	s_and_b64 vcc, exec, s[16:17]
	s_cbranch_vccz .LBB175_17
.LBB175_8:
	v_cmp_gt_i32_e32 vcc, s14, v6
                                        ; implicit-def: $vgpr2_vgpr3
                                        ; implicit-def: $vgpr0_vgpr1
	s_and_saveexec_b64 s[0:1], vcc
	s_cbranch_execz .LBB175_16
; %bb.9:
	s_load_dword s16, s[4:5], 0x58
	v_mov_b32_e32 v4, 0
	v_mov_b32_e32 v5, 0
	s_waitcnt lgkmcnt(0)
	s_cmp_ge_i32 s6, s16
	s_cbranch_scc1 .LBB175_12
; %bb.10:
	s_ashr_i32 s15, s14, 31
	s_mul_i32 s17, s14, s6
	s_load_dwordx2 s[4:5], s[4:5], 0x48
	v_add_u32_e32 v0, s17, v6
	s_mul_hi_u32 s17, s14, s12
	s_mul_i32 s18, s15, s12
	s_add_i32 s17, s17, s18
	s_mul_i32 s12, s14, s12
	s_mul_i32 s17, s17, s16
	s_mul_hi_u32 s18, s12, s16
	s_add_i32 s19, s18, s17
	s_mul_i32 s18, s12, s16
	v_ashrrev_i32_e32 v1, 31, v0
	s_lshl_b64 s[18:19], s[18:19], 3
	v_lshlrev_b64 v[0:1], 3, v[0:1]
	s_waitcnt lgkmcnt(0)
	s_add_u32 s4, s4, s18
	s_addc_u32 s5, s5, s19
	v_mov_b32_e32 v2, s5
	v_add_co_u32_e32 v0, vcc, s4, v0
	s_lshl_b64 s[4:5], s[14:15], 3
	v_mov_b32_e32 v4, 0
	v_addc_co_u32_e32 v1, vcc, v2, v1, vcc
	v_mov_b32_e32 v5, 0
	v_mov_b32_e32 v2, s5
.LBB175_11:                             ; =>This Inner Loop Header: Depth=1
	global_load_dwordx2 v[7:8], v[0:1], off
	s_add_i32 s6, s6, 1
	v_add_co_u32_e32 v0, vcc, s4, v0
	s_cmp_ge_i32 s6, s16
	v_addc_co_u32_e32 v1, vcc, v1, v2, vcc
	s_waitcnt vmcnt(0)
	v_add_f64 v[4:5], v[4:5], v[7:8]
	s_cbranch_scc0 .LBB175_11
.LBB175_12:
	v_cmp_eq_f64_e64 s[14:15], s[8:9], 0
	v_mul_lo_u32 v0, s20, v6
	s_mov_b64 s[4:5], 0
	v_ashrrev_i32_e32 v1, 31, v0
	s_and_b64 vcc, exec, s[14:15]
	s_cbranch_vccz .LBB175_20
; %bb.13:
	v_mul_f64 v[2:3], s[2:3], v[4:5]
	s_andn2_b64 vcc, exec, s[4:5]
	s_cbranch_vccnz .LBB175_15
.LBB175_14:
	v_lshlrev_b64 v[2:3], 3, v[0:1]
	v_mov_b32_e32 v6, s13
	v_add_co_u32_e32 v2, vcc, s7, v2
	v_addc_co_u32_e32 v3, vcc, v6, v3, vcc
	flat_load_dwordx2 v[2:3], v[2:3]
	s_waitcnt vmcnt(0) lgkmcnt(0)
	v_mul_f64 v[2:3], s[8:9], v[2:3]
	v_fma_f64 v[2:3], s[2:3], v[4:5], v[2:3]
.LBB175_15:
	s_or_b64 s[10:11], s[10:11], exec
.LBB175_16:
	s_or_b64 exec, exec, s[0:1]
.LBB175_17:
	s_and_saveexec_b64 s[0:1], s[10:11]
	s_cbranch_execz .LBB175_19
; %bb.18:
	v_lshlrev_b64 v[0:1], 3, v[0:1]
	v_mov_b32_e32 v4, s13
	v_add_co_u32_e32 v0, vcc, s7, v0
	v_addc_co_u32_e32 v1, vcc, v4, v1, vcc
	flat_store_dwordx2 v[0:1], v[2:3]
.LBB175_19:
	s_endpgm
.LBB175_20:
                                        ; implicit-def: $vgpr2_vgpr3
	s_branch .LBB175_14
	.section	.rodata,"a",@progbits
	.p2align	6, 0x0
	.amdhsa_kernel _ZL36rocblas_hemvn_kernel_lower_block_sumILi64EiPKdPKPddEviT1_lS5_lT2_lT0_lPT3_i
		.amdhsa_group_segment_fixed_size 0
		.amdhsa_private_segment_fixed_size 0
		.amdhsa_kernarg_size 344
		.amdhsa_user_sgpr_count 6
		.amdhsa_user_sgpr_private_segment_buffer 1
		.amdhsa_user_sgpr_dispatch_ptr 0
		.amdhsa_user_sgpr_queue_ptr 0
		.amdhsa_user_sgpr_kernarg_segment_ptr 1
		.amdhsa_user_sgpr_dispatch_id 0
		.amdhsa_user_sgpr_flat_scratch_init 0
		.amdhsa_user_sgpr_private_segment_size 0
		.amdhsa_uses_dynamic_stack 0
		.amdhsa_system_sgpr_private_segment_wavefront_offset 0
		.amdhsa_system_sgpr_workgroup_id_x 1
		.amdhsa_system_sgpr_workgroup_id_y 0
		.amdhsa_system_sgpr_workgroup_id_z 1
		.amdhsa_system_sgpr_workgroup_info 0
		.amdhsa_system_vgpr_workitem_id 0
		.amdhsa_next_free_vgpr 9
		.amdhsa_next_free_sgpr 24
		.amdhsa_reserve_vcc 1
		.amdhsa_reserve_flat_scratch 0
		.amdhsa_float_round_mode_32 0
		.amdhsa_float_round_mode_16_64 0
		.amdhsa_float_denorm_mode_32 3
		.amdhsa_float_denorm_mode_16_64 3
		.amdhsa_dx10_clamp 1
		.amdhsa_ieee_mode 1
		.amdhsa_fp16_overflow 0
		.amdhsa_exception_fp_ieee_invalid_op 0
		.amdhsa_exception_fp_denorm_src 0
		.amdhsa_exception_fp_ieee_div_zero 0
		.amdhsa_exception_fp_ieee_overflow 0
		.amdhsa_exception_fp_ieee_underflow 0
		.amdhsa_exception_fp_ieee_inexact 0
		.amdhsa_exception_int_div_zero 0
	.end_amdhsa_kernel
	.section	.text._ZL36rocblas_hemvn_kernel_lower_block_sumILi64EiPKdPKPddEviT1_lS5_lT2_lT0_lPT3_i,"axG",@progbits,_ZL36rocblas_hemvn_kernel_lower_block_sumILi64EiPKdPKPddEviT1_lS5_lT2_lT0_lPT3_i,comdat
.Lfunc_end175:
	.size	_ZL36rocblas_hemvn_kernel_lower_block_sumILi64EiPKdPKPddEviT1_lS5_lT2_lT0_lPT3_i, .Lfunc_end175-_ZL36rocblas_hemvn_kernel_lower_block_sumILi64EiPKdPKPddEviT1_lS5_lT2_lT0_lPT3_i
                                        ; -- End function
	.set _ZL36rocblas_hemvn_kernel_lower_block_sumILi64EiPKdPKPddEviT1_lS5_lT2_lT0_lPT3_i.num_vgpr, 9
	.set _ZL36rocblas_hemvn_kernel_lower_block_sumILi64EiPKdPKPddEviT1_lS5_lT2_lT0_lPT3_i.num_agpr, 0
	.set _ZL36rocblas_hemvn_kernel_lower_block_sumILi64EiPKdPKPddEviT1_lS5_lT2_lT0_lPT3_i.numbered_sgpr, 24
	.set _ZL36rocblas_hemvn_kernel_lower_block_sumILi64EiPKdPKPddEviT1_lS5_lT2_lT0_lPT3_i.num_named_barrier, 0
	.set _ZL36rocblas_hemvn_kernel_lower_block_sumILi64EiPKdPKPddEviT1_lS5_lT2_lT0_lPT3_i.private_seg_size, 0
	.set _ZL36rocblas_hemvn_kernel_lower_block_sumILi64EiPKdPKPddEviT1_lS5_lT2_lT0_lPT3_i.uses_vcc, 1
	.set _ZL36rocblas_hemvn_kernel_lower_block_sumILi64EiPKdPKPddEviT1_lS5_lT2_lT0_lPT3_i.uses_flat_scratch, 0
	.set _ZL36rocblas_hemvn_kernel_lower_block_sumILi64EiPKdPKPddEviT1_lS5_lT2_lT0_lPT3_i.has_dyn_sized_stack, 0
	.set _ZL36rocblas_hemvn_kernel_lower_block_sumILi64EiPKdPKPddEviT1_lS5_lT2_lT0_lPT3_i.has_recursion, 0
	.set _ZL36rocblas_hemvn_kernel_lower_block_sumILi64EiPKdPKPddEviT1_lS5_lT2_lT0_lPT3_i.has_indirect_call, 0
	.section	.AMDGPU.csdata,"",@progbits
; Kernel info:
; codeLenInByte = 688
; TotalNumSgprs: 28
; NumVgprs: 9
; ScratchSize: 0
; MemoryBound: 0
; FloatMode: 240
; IeeeMode: 1
; LDSByteSize: 0 bytes/workgroup (compile time only)
; SGPRBlocks: 3
; VGPRBlocks: 2
; NumSGPRsForWavesPerEU: 28
; NumVGPRsForWavesPerEU: 9
; Occupancy: 10
; WaveLimiterHint : 1
; COMPUTE_PGM_RSRC2:SCRATCH_EN: 0
; COMPUTE_PGM_RSRC2:USER_SGPR: 6
; COMPUTE_PGM_RSRC2:TRAP_HANDLER: 0
; COMPUTE_PGM_RSRC2:TGID_X_EN: 1
; COMPUTE_PGM_RSRC2:TGID_Y_EN: 0
; COMPUTE_PGM_RSRC2:TGID_Z_EN: 1
; COMPUTE_PGM_RSRC2:TIDIG_COMP_CNT: 0
	.section	.text._ZL26rocblas_hemvn_kernel_lowerILb0ELi64ELi4ELi33ELi32ELi16EldPKPKdPdEviT6_lT7_lT5_lS6_lS7_lS5_lT8_i,"axG",@progbits,_ZL26rocblas_hemvn_kernel_lowerILb0ELi64ELi4ELi33ELi32ELi16EldPKPKdPdEviT6_lT7_lT5_lS6_lS7_lS5_lT8_i,comdat
	.globl	_ZL26rocblas_hemvn_kernel_lowerILb0ELi64ELi4ELi33ELi32ELi16EldPKPKdPdEviT6_lT7_lT5_lS6_lS7_lS5_lT8_i ; -- Begin function _ZL26rocblas_hemvn_kernel_lowerILb0ELi64ELi4ELi33ELi32ELi16EldPKPKdPdEviT6_lT7_lT5_lS6_lS7_lS5_lT8_i
	.p2align	8
	.type	_ZL26rocblas_hemvn_kernel_lowerILb0ELi64ELi4ELi33ELi32ELi16EldPKPKdPdEviT6_lT7_lT5_lS6_lS7_lS5_lT8_i,@function
_ZL26rocblas_hemvn_kernel_lowerILb0ELi64ELi4ELi33ELi32ELi16EldPKPKdPdEviT6_lT7_lT5_lS6_lS7_lS5_lT8_i: ; @_ZL26rocblas_hemvn_kernel_lowerILb0ELi64ELi4ELi33ELi32ELi16EldPKPKdPdEviT6_lT7_lT5_lS6_lS7_lS5_lT8_i
; %bb.0:
	s_load_dwordx2 s[2:3], s[4:5], 0x84
	s_add_u32 s0, s4, 0x78
	s_mov_b32 s28, s7
	s_addc_u32 s1, s5, 0
	s_waitcnt lgkmcnt(0)
	s_lshr_b32 s7, s2, 16
	s_and_b32 s2, s2, 0xffff
	s_and_b32 s3, s3, 0xffff
	s_mul_i32 s2, s7, s2
	s_mul_i32 s2, s2, s3
	s_cmpk_lg_i32 s2, 0x100
	s_cbranch_scc1 .LBB176_80
; %bb.1:
	s_load_dwordx2 s[2:3], s[4:5], 0x8
	s_load_dwordx2 s[10:11], s[4:5], 0x58
	s_waitcnt lgkmcnt(0)
	v_cmp_eq_f64_e64 s[8:9], s[2:3], 0
	v_cmp_eq_f64_e64 s[2:3], s[10:11], 1.0
	s_and_b64 s[2:3], s[8:9], s[2:3]
	s_and_b64 vcc, exec, s[2:3]
	s_cbranch_vccnz .LBB176_80
; %bb.2:
	s_mov_b64 s[2:3], 0
	s_and_b64 vcc, exec, s[8:9]
	s_cbranch_vccnz .LBB176_4
; %bb.3:
	s_mov_b64 s[2:3], -1
.LBB176_4:
	s_andn2_b64 vcc, exec, s[2:3]
	s_cbranch_vccnz .LBB176_80
; %bb.5:
	s_load_dword s7, s[4:5], 0x0
	s_load_dwordx4 s[8:11], s[4:5], 0x18
	s_load_dwordx2 s[26:27], s[4:5], 0x28
	s_load_dwordx4 s[12:15], s[4:5], 0x38
	s_mov_b32 s29, 0
	s_lshl_b64 s[2:3], s[28:29], 3
	s_waitcnt lgkmcnt(0)
	s_add_u32 s16, s8, s2
	s_addc_u32 s17, s9, s3
	s_add_u32 s2, s12, s2
	s_addc_u32 s3, s13, s3
	s_load_dwordx2 s[12:13], s[2:3], 0x0
	s_load_dword s29, s[0:1], 0x0
	s_load_dwordx2 s[22:23], s[4:5], 0x48
	s_load_dwordx2 s[8:9], s[16:17], 0x0
	s_lshl_b64 s[0:1], s[14:15], 3
	s_waitcnt lgkmcnt(0)
	s_add_u32 s2, s12, s0
	s_addc_u32 s3, s13, s1
	s_lshl_b32 s34, s6, 6
	s_ashr_i32 s33, s7, 31
	s_lshr_b32 s0, s33, 26
	v_add_u32_e32 v34, s34, v0
	s_add_i32 s0, s7, s0
	v_ashrrev_i32_e32 v35, 31, v34
	s_and_b32 s13, s0, 0xffffffc0
	v_mul_lo_u32 v4, s22, v35
	v_mul_lo_u32 v5, s23, v34
	v_mad_u64_u32 v[2:3], s[0:1], s22, v34, 0
	s_add_i32 s12, s29, -1
	s_sub_i32 s0, s7, s13
	v_add3_u32 v3, v3, v4, v5
	v_lshlrev_b64 v[2:3], 3, v[2:3]
	s_cmp_eq_u32 s6, s12
	v_mov_b32_e32 v4, s3
	v_add_co_u32_e32 v18, vcc, s2, v2
	s_cselect_b32 s30, s0, 0
	v_addc_co_u32_e32 v19, vcc, v4, v3, vcc
	v_cmp_ne_u32_e64 s[0:1], 0, v1
	v_cmp_eq_u32_e64 s[2:3], 0, v1
	s_and_saveexec_b64 s[12:13], s[2:3]
	s_cbranch_execz .LBB176_9
; %bb.6:
	s_cmp_eq_u32 s30, 0
	s_cselect_b64 s[14:15], -1, 0
	v_cmp_gt_i32_e32 vcc, s30, v0
	v_mov_b32_e32 v2, 0
	v_mov_b32_e32 v3, 0
	s_or_b64 s[16:17], s[14:15], vcc
	s_and_saveexec_b64 s[14:15], s[16:17]
	s_cbranch_execz .LBB176_8
; %bb.7:
	flat_load_dwordx2 v[2:3], v[18:19]
.LBB176_8:
	s_or_b64 exec, exec, s[14:15]
	v_lshlrev_b32_e32 v4, 3, v0
	s_waitcnt vmcnt(0) lgkmcnt(0)
	ds_write_b64 v4, v[2:3] offset:9088
.LBB176_9:
	s_or_b64 exec, exec, s[12:13]
	v_lshl_add_u32 v24, v1, 6, v0
	v_and_b32_e32 v2, 31, v0
	v_lshrrev_b32_e32 v11, 5, v24
	v_mov_b32_e32 v3, 0
	v_mad_u64_u32 v[3:4], s[12:13], s26, v11, v[2:3]
	s_lshl_b64 s[10:11], s[10:11], 3
	s_add_u32 s10, s8, s10
	s_addc_u32 s11, s9, s11
	v_mad_u64_u32 v[4:5], s[8:9], s27, v11, v[4:5]
	s_ashr_i32 s35, s34, 31
	s_lshl_b64 s[8:9], s[34:35], 3
	s_add_u32 s8, s10, s8
	v_lshlrev_b64 v[20:21], 3, v[3:4]
	s_addc_u32 s9, s11, s9
	v_mov_b32_e32 v3, s9
	v_add_co_u32_e32 v4, vcc, s8, v20
	s_mul_hi_u32 s8, s26, s34
	s_mul_i32 s9, s26, s35
	s_add_i32 s8, s8, s9
	s_mul_i32 s9, s27, s34
	s_add_i32 s9, s8, s9
	s_mul_i32 s8, s26, s34
	v_addc_co_u32_e32 v5, vcc, v3, v21, vcc
	s_lshl_b64 s[36:37], s[8:9], 3
	v_mov_b32_e32 v6, s37
	v_add_co_u32_e32 v3, vcc, s36, v4
	s_cmp_lg_u32 s30, 0
	v_addc_co_u32_e32 v4, vcc, v5, v6, vcc
	s_cselect_b64 s[38:39], -1, 0
	s_cmp_eq_u32 s30, 0
	s_cselect_b64 s[18:19], -1, 0
	s_mov_b64 s[8:9], -1
	s_and_b64 vcc, exec, s[38:39]
	s_cbranch_vccnz .LBB176_11
; %bb.10:
	s_lshl_b64 s[8:9], s[26:27], 6
	v_mov_b32_e32 v10, s9
	v_add_co_u32_e32 v5, vcc, s8, v3
	v_addc_co_u32_e32 v6, vcc, v4, v10, vcc
	v_add_co_u32_e32 v7, vcc, s8, v5
	v_addc_co_u32_e32 v8, vcc, v6, v10, vcc
	;; [unrolled: 2-line block ×3, first 2 shown]
	flat_load_dwordx2 v[12:13], v[3:4]
	flat_load_dwordx2 v[14:15], v[5:6]
	;; [unrolled: 1-line block ×4, first 2 shown]
	v_mul_u32_u24_e32 v5, 0x108, v11
	v_lshl_add_u32 v5, v2, 3, v5
	s_mov_b64 s[8:9], 0
	s_waitcnt vmcnt(0) lgkmcnt(0)
	ds_write_b64 v5, v[12:13]
	ds_write_b64 v5, v[14:15] offset:2112
	ds_write_b64 v5, v[16:17] offset:4224
	;; [unrolled: 1-line block ×3, first 2 shown]
.LBB176_11:
	s_andn2_b64 vcc, exec, s[8:9]
	s_cbranch_vccnz .LBB176_21
; %bb.12:
	v_lshlrev_b32_e32 v12, 3, v2
	v_sub_co_u32_e32 v5, vcc, v3, v12
	s_ashr_i32 s31, s30, 31
	v_subbrev_co_u32_e32 v6, vcc, 0, v4, vcc
	s_lshl_b64 s[10:11], s[30:31], 3
	v_mov_b32_e32 v7, s11
	v_add_co_u32_e32 v5, vcc, s10, v5
	v_addc_co_u32_e32 v6, vcc, v6, v7, vcc
	v_add_co_u32_e32 v5, vcc, -8, v5
	v_addc_co_u32_e32 v6, vcc, -1, v6, vcc
	v_cmp_gt_i32_e32 vcc, s30, v2
	v_mov_b32_e32 v7, 0
	v_mov_b32_e32 v9, 0
	v_cndmask_b32_e32 v6, v6, v4, vcc
	v_cndmask_b32_e32 v5, v5, v3, vcc
	v_mov_b32_e32 v8, 0
	v_mov_b32_e32 v10, 0
	v_cmp_gt_i32_e64 s[8:9], s30, v11
	s_and_saveexec_b64 s[12:13], s[8:9]
	s_cbranch_execz .LBB176_14
; %bb.13:
	flat_load_dwordx2 v[9:10], v[5:6]
.LBB176_14:
	s_or_b64 exec, exec, s[12:13]
	v_lshlrev_b32_e32 v13, 3, v2
	s_movk_i32 s8, 0x108
	v_mad_u32_u24 v15, v11, s8, v13
	s_waitcnt vmcnt(0) lgkmcnt(0)
	ds_write_b64 v15, v[9:10]
	v_add_u32_e32 v9, 8, v11
	v_mul_u32_u24_e32 v14, 0x108, v11
	v_cmp_gt_i32_e64 s[8:9], s30, v9
	s_and_saveexec_b64 s[12:13], s[8:9]
	s_cbranch_execz .LBB176_16
; %bb.15:
	s_lshl_b64 s[8:9], s[26:27], 6
	v_mov_b32_e32 v8, s9
	v_add_co_u32_e64 v7, s[8:9], s8, v5
	v_addc_co_u32_e64 v8, s[8:9], v6, v8, s[8:9]
	flat_load_dwordx2 v[7:8], v[7:8]
.LBB176_16:
	s_or_b64 exec, exec, s[12:13]
	v_add_u32_e32 v13, v14, v13
	s_waitcnt vmcnt(0) lgkmcnt(0)
	ds_write_b64 v13, v[7:8] offset:2112
	v_add_u32_e32 v14, 16, v11
	v_mov_b32_e32 v7, 0
	v_mov_b32_e32 v9, 0
	;; [unrolled: 1-line block ×4, first 2 shown]
	v_cmp_gt_i32_e64 s[8:9], s30, v14
	s_and_saveexec_b64 s[12:13], s[8:9]
	s_cbranch_execz .LBB176_18
; %bb.17:
	s_lshl_b64 s[8:9], s[26:27], 7
	v_mov_b32_e32 v10, s9
	v_add_co_u32_e64 v9, s[8:9], s8, v5
	v_addc_co_u32_e64 v10, s[8:9], v6, v10, s[8:9]
	flat_load_dwordx2 v[9:10], v[9:10]
.LBB176_18:
	s_or_b64 exec, exec, s[12:13]
	s_waitcnt vmcnt(0) lgkmcnt(0)
	ds_write_b64 v13, v[9:10] offset:4224
	v_add_u32_e32 v9, 24, v11
	v_cmp_gt_i32_e64 s[8:9], s30, v9
	s_and_saveexec_b64 s[12:13], s[8:9]
	s_cbranch_execz .LBB176_20
; %bb.19:
	v_mov_b32_e32 v7, 0xc0
	v_mad_u64_u32 v[7:8], s[8:9], s26, v7, v[5:6]
	s_mul_i32 s8, s27, 0xc0
	v_add_u32_e32 v8, s8, v8
	flat_load_dwordx2 v[7:8], v[7:8]
.LBB176_20:
	s_or_b64 exec, exec, s[12:13]
	v_add_co_u32_e64 v5, s[8:9], v5, v12
	v_addc_co_u32_e64 v6, s[8:9], 0, v6, s[8:9]
	s_waitcnt vmcnt(0) lgkmcnt(0)
	ds_write_b64 v13, v[7:8] offset:6336
	v_mov_b32_e32 v7, s11
	v_subrev_co_u32_e64 v5, s[8:9], s10, v5
	v_subb_co_u32_e64 v6, s[8:9], v6, v7, s[8:9]
	v_add_co_u32_e64 v5, s[8:9], 8, v5
	v_addc_co_u32_e64 v6, s[8:9], 0, v6, s[8:9]
	v_cndmask_b32_e32 v4, v6, v4, vcc
	v_cndmask_b32_e32 v3, v5, v3, vcc
.LBB176_21:
	v_lshlrev_b32_e32 v9, 2, v11
	v_lshlrev_b32_e32 v10, 3, v2
	v_lshl_or_b32 v5, v2, 8, v10
	v_cmp_lt_u32_e64 s[8:9], v9, v2
	s_waitcnt lgkmcnt(0)
	s_barrier
	s_and_saveexec_b64 s[10:11], s[8:9]
	s_cbranch_execz .LBB176_23
; %bb.22:
	s_movk_i32 s12, 0x420
	v_mad_u32_u24 v6, v11, s12, v10
	ds_read_b64 v[6:7], v6
	v_lshl_add_u32 v8, v9, 3, v5
	s_waitcnt lgkmcnt(0)
	ds_write_b64 v8, v[6:7]
.LBB176_23:
	s_or_b64 exec, exec, s[10:11]
	v_or_b32_e32 v12, 1, v9
	v_cmp_lt_u32_e64 s[10:11], v12, v2
	s_and_saveexec_b64 s[12:13], s[10:11]
	s_cbranch_execz .LBB176_25
; %bb.24:
	s_movk_i32 s14, 0x108
	v_mad_u32_u24 v6, v12, s14, v10
	ds_read_b64 v[6:7], v6
	v_lshl_add_u32 v8, v9, 3, v5
	s_waitcnt lgkmcnt(0)
	ds_write_b64 v8, v[6:7] offset:8
.LBB176_25:
	s_or_b64 exec, exec, s[12:13]
	v_or_b32_e32 v6, 2, v9
	v_cmp_lt_u32_e64 s[12:13], v6, v2
	s_and_saveexec_b64 s[14:15], s[12:13]
	s_cbranch_execz .LBB176_27
; %bb.26:
	s_movk_i32 s16, 0x108
	v_mad_u32_u24 v6, v6, s16, v10
	ds_read_b64 v[6:7], v6
	v_lshl_add_u32 v8, v9, 3, v5
	s_waitcnt lgkmcnt(0)
	ds_write_b64 v8, v[6:7] offset:16
.LBB176_27:
	s_or_b64 exec, exec, s[14:15]
	v_or_b32_e32 v7, 3, v9
	v_cmp_lt_u32_e64 s[14:15], v7, v2
	v_cmp_ge_u32_e32 vcc, v7, v2
                                        ; implicit-def: $vgpr6
	s_and_saveexec_b64 s[16:17], vcc
	s_xor_b64 s[16:17], exec, s[16:17]
; %bb.28:
	v_mul_u32_u24_e32 v6, 0x108, v7
                                        ; implicit-def: $vgpr5
                                        ; implicit-def: $vgpr7
; %bb.29:
	s_andn2_saveexec_b64 s[16:17], s[16:17]
	s_cbranch_execz .LBB176_31
; %bb.30:
	s_movk_i32 s20, 0x108
	v_mad_u32_u24 v6, v7, s20, v10
	ds_read_b64 v[13:14], v6
	v_lshl_add_u32 v5, v9, 3, v5
	v_mul_u32_u24_e32 v6, 0x108, v7
	s_waitcnt lgkmcnt(0)
	ds_write_b64 v5, v[13:14] offset:24
.LBB176_31:
	s_or_b64 exec, exec, s[16:17]
	s_movk_i32 s16, 0x420
	v_mad_u32_u24 v5, v11, s16, v10
	s_waitcnt lgkmcnt(0)
	s_barrier
	v_lshlrev_b32_e32 v14, 3, v9
	ds_read_b64 v[7:8], v5
	ds_read_b128 v[25:28], v14 offset:9088
	s_movk_i32 s16, 0x108
	v_mad_u32_u24 v5, v12, s16, v10
	ds_read2_b64 v[29:32], v5 offset1:33
	v_add_u32_e32 v13, v10, v6
	s_waitcnt lgkmcnt(1)
	v_fma_f64 v[7:8], v[7:8], v[25:26], 0
	v_mov_b32_e32 v36, 0
	v_mov_b32_e32 v37, 0
	v_cmp_gt_u32_e64 s[20:21], 32, v24
	ds_read_b64 v[5:6], v13
	s_waitcnt lgkmcnt(1)
	v_fma_f64 v[7:8], v[29:30], v[27:28], v[7:8]
	ds_read_b128 v[25:28], v14 offset:9104
	s_waitcnt lgkmcnt(0)
	s_barrier
	v_fma_f64 v[7:8], v[31:32], v[25:26], v[7:8]
	v_fma_f64 v[5:6], v[5:6], v[27:28], v[7:8]
	v_mul_u32_u24_e32 v7, 33, v2
	v_lshlrev_b32_e32 v25, 3, v7
	v_lshl_add_u32 v26, v11, 3, v25
	ds_write_b64 v26, v[5:6]
	s_waitcnt lgkmcnt(0)
	s_barrier
	s_and_saveexec_b64 s[16:17], s[20:21]
	s_cbranch_execz .LBB176_33
; %bb.32:
	ds_read2_b64 v[5:8], v25 offset1:1
	ds_read2_b64 v[27:30], v25 offset0:2 offset1:3
	s_waitcnt lgkmcnt(1)
	v_add_f64 v[5:6], v[5:6], v[7:8]
	s_waitcnt lgkmcnt(0)
	v_add_f64 v[5:6], v[5:6], v[27:28]
	v_add_f64 v[15:16], v[5:6], v[29:30]
	ds_read2_b64 v[5:8], v25 offset0:4 offset1:5
	ds_read2_b64 v[27:30], v25 offset0:6 offset1:7
	s_waitcnt lgkmcnt(1)
	v_add_f64 v[5:6], v[15:16], v[5:6]
	v_add_f64 v[5:6], v[5:6], v[7:8]
	s_waitcnt lgkmcnt(0)
	v_add_f64 v[5:6], v[5:6], v[27:28]
	v_add_f64 v[36:37], v[5:6], v[29:30]
.LBB176_33:
	s_or_b64 exec, exec, s[16:17]
	s_lshl_b64 s[24:25], s[26:27], 8
	v_mov_b32_e32 v5, s25
	v_add_co_u32_e32 v3, vcc, s24, v3
	v_addc_co_u32_e32 v4, vcc, v4, v5, vcc
	v_add_co_u32_e32 v15, vcc, 0x100, v3
	v_addc_co_u32_e32 v16, vcc, 0, v4, vcc
	v_cndmask_b32_e64 v5, 0, 1, s[18:19]
	v_cmp_ne_u32_e64 s[16:17], 1, v5
	s_andn2_b64 vcc, exec, s[18:19]
	s_mov_b64 s[18:19], -1
	s_barrier
	s_cbranch_vccnz .LBB176_35
; %bb.34:
	s_lshl_b64 s[18:19], s[26:27], 6
	v_mov_b32_e32 v17, s19
	v_add_co_u32_e32 v5, vcc, s18, v3
	v_addc_co_u32_e32 v6, vcc, v4, v17, vcc
	v_add_co_u32_e32 v7, vcc, s18, v5
	v_addc_co_u32_e32 v8, vcc, v6, v17, vcc
	;; [unrolled: 2-line block ×3, first 2 shown]
	flat_load_dwordx2 v[27:28], v[3:4] offset:256
	flat_load_dwordx2 v[29:30], v[5:6] offset:256
	;; [unrolled: 1-line block ×4, first 2 shown]
	s_movk_i32 s18, 0x108
	v_mad_u32_u24 v5, v11, s18, v10
	s_mov_b64 s[18:19], 0
	s_waitcnt vmcnt(0) lgkmcnt(0)
	ds_write_b64 v5, v[27:28]
	ds_write_b64 v5, v[29:30] offset:2112
	ds_write_b64 v5, v[31:32] offset:4224
	;; [unrolled: 1-line block ×3, first 2 shown]
.LBB176_35:
	s_andn2_b64 vcc, exec, s[18:19]
	s_cbranch_vccnz .LBB176_45
; %bb.36:
	v_lshlrev_b32_e32 v17, 3, v2
	v_sub_co_u32_e32 v3, vcc, v3, v17
	s_ashr_i32 s31, s30, 31
	v_subbrev_co_u32_e32 v4, vcc, 0, v4, vcc
	s_lshl_b64 s[40:41], s[30:31], 3
	v_mov_b32_e32 v6, s41
	v_add_co_u32_e32 v3, vcc, s40, v3
	v_addc_co_u32_e32 v4, vcc, v4, v6, vcc
	v_or_b32_e32 v5, 32, v2
	v_add_co_u32_e32 v3, vcc, -8, v3
	v_addc_co_u32_e32 v4, vcc, -1, v4, vcc
	v_cmp_gt_i32_e64 s[18:19], s30, v5
	s_sub_i32 s31, s30, 32
	v_mov_b32_e32 v5, 0
	v_mov_b32_e32 v7, 0
	v_cndmask_b32_e64 v4, v4, v16, s[18:19]
	v_cndmask_b32_e64 v3, v3, v15, s[18:19]
	v_mov_b32_e32 v6, 0
	v_mov_b32_e32 v8, 0
	v_cmp_gt_i32_e32 vcc, s31, v11
	s_and_saveexec_b64 s[42:43], vcc
	s_cbranch_execz .LBB176_38
; %bb.37:
	flat_load_dwordx2 v[7:8], v[3:4]
.LBB176_38:
	s_or_b64 exec, exec, s[42:43]
	s_movk_i32 s42, 0x108
	v_mad_u32_u24 v23, v11, s42, v10
	s_waitcnt vmcnt(0) lgkmcnt(0)
	ds_write_b64 v23, v[7:8]
	v_add_u32_e32 v7, 8, v11
	v_mul_u32_u24_e32 v22, 0x108, v11
	v_cmp_gt_i32_e32 vcc, s31, v7
	s_and_saveexec_b64 s[42:43], vcc
	s_cbranch_execz .LBB176_40
; %bb.39:
	s_lshl_b64 s[44:45], s[26:27], 6
	v_mov_b32_e32 v6, s45
	v_add_co_u32_e32 v5, vcc, s44, v3
	v_addc_co_u32_e32 v6, vcc, v4, v6, vcc
	flat_load_dwordx2 v[5:6], v[5:6]
.LBB176_40:
	s_or_b64 exec, exec, s[42:43]
	v_add_u32_e32 v22, v22, v10
	s_waitcnt vmcnt(0) lgkmcnt(0)
	ds_write_b64 v22, v[5:6] offset:2112
	v_add_u32_e32 v23, 16, v11
	v_mov_b32_e32 v5, 0
	v_mov_b32_e32 v7, 0
	;; [unrolled: 1-line block ×4, first 2 shown]
	v_cmp_gt_i32_e32 vcc, s31, v23
	s_and_saveexec_b64 s[42:43], vcc
	s_cbranch_execz .LBB176_42
; %bb.41:
	s_lshl_b64 s[44:45], s[26:27], 7
	v_mov_b32_e32 v8, s45
	v_add_co_u32_e32 v7, vcc, s44, v3
	v_addc_co_u32_e32 v8, vcc, v4, v8, vcc
	flat_load_dwordx2 v[7:8], v[7:8]
.LBB176_42:
	s_or_b64 exec, exec, s[42:43]
	s_waitcnt vmcnt(0) lgkmcnt(0)
	ds_write_b64 v22, v[7:8] offset:4224
	v_add_u32_e32 v7, 24, v11
	v_cmp_gt_i32_e32 vcc, s31, v7
	s_and_saveexec_b64 s[42:43], vcc
	s_cbranch_execz .LBB176_44
; %bb.43:
	v_mov_b32_e32 v5, 0xc0
	v_mad_u64_u32 v[5:6], s[44:45], s26, v5, v[3:4]
	s_mul_i32 s31, s27, 0xc0
	v_add_u32_e32 v6, s31, v6
	flat_load_dwordx2 v[5:6], v[5:6]
.LBB176_44:
	s_or_b64 exec, exec, s[42:43]
	v_add_co_u32_e32 v3, vcc, v3, v17
	v_addc_co_u32_e32 v4, vcc, 0, v4, vcc
	s_waitcnt vmcnt(0) lgkmcnt(0)
	ds_write_b64 v22, v[5:6] offset:6336
	v_mov_b32_e32 v5, s41
	v_subrev_co_u32_e32 v3, vcc, s40, v3
	v_subb_co_u32_e32 v4, vcc, v4, v5, vcc
	v_add_co_u32_e32 v3, vcc, 0x108, v3
	v_addc_co_u32_e32 v4, vcc, 0, v4, vcc
	v_cndmask_b32_e64 v16, v4, v16, s[18:19]
	v_cndmask_b32_e64 v15, v3, v15, s[18:19]
.LBB176_45:
	v_mul_u32_u24_e32 v4, 0x420, v11
	v_add_u32_e32 v14, 0x2380, v14
	v_mul_u32_u24_e32 v3, 0x108, v12
	s_lshl_b64 s[18:19], s[26:27], 5
	v_add_u32_e32 v4, v10, v4
	s_waitcnt lgkmcnt(0)
	s_barrier
	s_and_saveexec_b64 s[40:41], s[8:9]
	s_cbranch_execnz .LBB176_54
; %bb.46:
	s_or_b64 exec, exec, s[40:41]
	v_add_u32_e32 v3, v10, v3
	s_and_saveexec_b64 s[8:9], s[10:11]
	s_cbranch_execnz .LBB176_55
.LBB176_47:
	s_or_b64 exec, exec, s[8:9]
	s_and_saveexec_b64 s[8:9], s[12:13]
	s_cbranch_execnz .LBB176_56
.LBB176_48:
	s_or_b64 exec, exec, s[8:9]
	s_and_saveexec_b64 s[8:9], s[14:15]
	s_cbranch_execz .LBB176_50
.LBB176_49:
	ds_read_b64 v[5:6], v13
	v_lshl_add_u32 v7, v9, 3, v25
	s_waitcnt lgkmcnt(0)
	ds_write_b64 v7, v[5:6] offset:24
.LBB176_50:
	s_or_b64 exec, exec, s[8:9]
	s_waitcnt lgkmcnt(0)
	s_barrier
	ds_read_b64 v[22:23], v4
	ds_read_b128 v[4:7], v14 offset:256
	ds_read_b128 v[27:30], v14 offset:272
	ds_read_b64 v[12:13], v13
	ds_read2_b64 v[38:41], v3 offset1:33
	v_cmp_eq_u32_e64 s[8:9], 1, v11
	s_waitcnt lgkmcnt(3)
	v_fma_f64 v[4:5], v[22:23], v[4:5], 0
	s_waitcnt lgkmcnt(0)
	s_barrier
	v_fma_f64 v[3:4], v[38:39], v[6:7], v[4:5]
	v_fma_f64 v[3:4], v[40:41], v[27:28], v[3:4]
	;; [unrolled: 1-line block ×3, first 2 shown]
	ds_write_b64 v26, v[3:4]
	s_waitcnt lgkmcnt(0)
	s_barrier
	s_and_saveexec_b64 s[10:11], s[8:9]
	s_cbranch_execz .LBB176_52
; %bb.51:
	ds_read2_b64 v[3:6], v25 offset1:1
	ds_read2_b64 v[27:30], v25 offset0:2 offset1:3
	s_waitcnt lgkmcnt(1)
	v_add_f64 v[3:4], v[3:4], v[5:6]
	s_waitcnt lgkmcnt(0)
	v_add_f64 v[3:4], v[3:4], v[27:28]
	v_add_f64 v[7:8], v[3:4], v[29:30]
	ds_read2_b64 v[3:6], v25 offset0:4 offset1:5
	ds_read2_b64 v[27:30], v25 offset0:6 offset1:7
	s_waitcnt lgkmcnt(1)
	v_add_f64 v[3:4], v[7:8], v[3:4]
	v_add_f64 v[3:4], v[3:4], v[5:6]
	s_waitcnt lgkmcnt(0)
	v_add_f64 v[3:4], v[3:4], v[27:28]
	v_add_f64 v[36:37], v[3:4], v[29:30]
.LBB176_52:
	s_or_b64 exec, exec, s[10:11]
	s_lshl_b64 s[10:11], s[18:19], 3
	v_mov_b32_e32 v3, s11
	v_subrev_co_u32_e64 v22, s[10:11], s10, v15
	s_and_b64 vcc, exec, s[16:17]
	v_subb_co_u32_e64 v23, s[10:11], v16, v3, s[10:11]
	s_barrier
	s_cbranch_vccnz .LBB176_57
; %bb.53:
	s_lshl_b64 s[10:11], s[26:27], 6
	v_mov_b32_e32 v8, s11
	v_add_co_u32_e32 v3, vcc, s10, v22
	v_addc_co_u32_e32 v4, vcc, v23, v8, vcc
	v_add_co_u32_e32 v5, vcc, s10, v3
	v_addc_co_u32_e32 v6, vcc, v4, v8, vcc
	;; [unrolled: 2-line block ×3, first 2 shown]
	flat_load_dwordx2 v[27:28], v[22:23]
	flat_load_dwordx2 v[29:30], v[3:4]
	;; [unrolled: 1-line block ×4, first 2 shown]
	s_movk_i32 s10, 0x108
	v_mov_b32_e32 v3, 0x840
	v_mov_b32_e32 v4, 0x1080
	;; [unrolled: 1-line block ×3, first 2 shown]
	v_mul_u32_u24_e32 v13, 0x108, v11
	v_add_u32_e32 v12, 8, v11
	v_add_u32_e32 v15, 16, v11
	;; [unrolled: 1-line block ×3, first 2 shown]
	v_mad_u32_u24 v6, v11, s10, v10
	v_mad_u32_u24 v16, v11, s10, v3
	;; [unrolled: 1-line block ×4, first 2 shown]
	v_add_u32_e32 v3, v10, v16
	v_add_u32_e32 v4, v10, v17
	;; [unrolled: 1-line block ×3, first 2 shown]
	s_waitcnt vmcnt(0) lgkmcnt(0)
	ds_write_b64 v6, v[27:28]
	ds_write_b64 v3, v[29:30]
	ds_write_b64 v4, v[31:32]
	ds_write_b64 v5, v[38:39]
	s_cbranch_execz .LBB176_58
	s_branch .LBB176_67
.LBB176_54:
	ds_read_b64 v[5:6], v4
	v_lshl_add_u32 v7, v9, 3, v25
	s_waitcnt lgkmcnt(0)
	ds_write_b64 v7, v[5:6]
	s_or_b64 exec, exec, s[40:41]
	v_add_u32_e32 v3, v10, v3
	s_and_saveexec_b64 s[8:9], s[10:11]
	s_cbranch_execz .LBB176_47
.LBB176_55:
	ds_read_b64 v[5:6], v3
	v_lshl_add_u32 v7, v9, 3, v25
	s_waitcnt lgkmcnt(0)
	ds_write_b64 v7, v[5:6] offset:8
	s_or_b64 exec, exec, s[8:9]
	s_and_saveexec_b64 s[8:9], s[12:13]
	s_cbranch_execz .LBB176_48
.LBB176_56:
	ds_read_b64 v[5:6], v3 offset:264
	v_lshl_add_u32 v7, v9, 3, v25
	s_waitcnt lgkmcnt(0)
	ds_write_b64 v7, v[5:6] offset:16
	s_or_b64 exec, exec, s[8:9]
	s_and_saveexec_b64 s[8:9], s[14:15]
	s_cbranch_execnz .LBB176_49
	s_branch .LBB176_50
.LBB176_57:
                                        ; implicit-def: $vgpr13
                                        ; implicit-def: $vgpr12
                                        ; implicit-def: $vgpr16
                                        ; implicit-def: $vgpr15
                                        ; implicit-def: $vgpr17
                                        ; implicit-def: $vgpr7
                                        ; implicit-def: $vgpr8
.LBB176_58:
	v_or_b32_e32 v3, 32, v2
	v_lshlrev_b32_e32 v4, 3, v3
	v_sub_co_u32_e32 v4, vcc, v22, v4
	s_ashr_i32 s31, s30, 31
	v_subbrev_co_u32_e32 v5, vcc, 0, v23, vcc
	s_lshl_b64 s[12:13], s[30:31], 3
	v_mov_b32_e32 v6, s13
	v_add_co_u32_e32 v4, vcc, s12, v4
	v_addc_co_u32_e32 v5, vcc, v5, v6, vcc
	v_add_co_u32_e32 v6, vcc, -8, v4
	v_cmp_gt_i32_e64 s[10:11], s30, v3
	v_addc_co_u32_e32 v4, vcc, -1, v5, vcc
	v_cndmask_b32_e64 v3, v6, v22, s[10:11]
	v_mov_b32_e32 v5, 0
	v_mov_b32_e32 v7, 0
	v_cndmask_b32_e64 v4, v4, v23, s[10:11]
	v_mov_b32_e32 v6, 0
	v_mov_b32_e32 v8, 0
	v_cmp_gt_i32_e32 vcc, s30, v11
	s_and_saveexec_b64 s[14:15], vcc
	s_cbranch_execz .LBB176_60
; %bb.59:
	flat_load_dwordx2 v[7:8], v[3:4]
.LBB176_60:
	s_or_b64 exec, exec, s[14:15]
	s_movk_i32 s14, 0x108
	v_mad_u32_u24 v12, v11, s14, v10
	s_waitcnt vmcnt(0) lgkmcnt(0)
	ds_write_b64 v12, v[7:8]
	v_add_u32_e32 v12, 8, v11
	v_mul_u32_u24_e32 v13, 0x108, v11
	v_cmp_gt_i32_e32 vcc, s30, v12
	s_and_saveexec_b64 s[14:15], vcc
	s_cbranch_execz .LBB176_62
; %bb.61:
	s_lshl_b64 s[16:17], s[26:27], 6
	v_mov_b32_e32 v6, s17
	v_add_co_u32_e32 v5, vcc, s16, v3
	v_addc_co_u32_e32 v6, vcc, v4, v6, vcc
	flat_load_dwordx2 v[5:6], v[5:6]
.LBB176_62:
	s_or_b64 exec, exec, s[14:15]
	v_add_u32_e32 v16, 0x840, v13
	v_add_u32_e32 v7, v10, v16
	s_waitcnt vmcnt(0) lgkmcnt(0)
	ds_write_b64 v7, v[5:6]
	v_add_u32_e32 v15, 16, v11
	v_mov_b32_e32 v5, 0
	v_mov_b32_e32 v7, 0
	;; [unrolled: 1-line block ×4, first 2 shown]
	v_cmp_gt_i32_e32 vcc, s30, v15
	s_and_saveexec_b64 s[14:15], vcc
	s_cbranch_execz .LBB176_64
; %bb.63:
	s_lshl_b64 s[16:17], s[26:27], 7
	v_mov_b32_e32 v8, s17
	v_add_co_u32_e32 v7, vcc, s16, v3
	v_addc_co_u32_e32 v8, vcc, v4, v8, vcc
	flat_load_dwordx2 v[7:8], v[7:8]
.LBB176_64:
	s_or_b64 exec, exec, s[14:15]
	v_add_u32_e32 v17, 0x840, v16
	v_add_u32_e32 v27, v10, v17
	s_waitcnt vmcnt(0) lgkmcnt(0)
	ds_write_b64 v27, v[7:8]
	v_add_u32_e32 v7, 24, v11
	v_cmp_gt_i32_e32 vcc, s30, v7
	s_and_saveexec_b64 s[14:15], vcc
	s_cbranch_execz .LBB176_66
; %bb.65:
	v_mov_b32_e32 v5, 0xc0
	v_mad_u64_u32 v[5:6], s[16:17], s26, v5, v[3:4]
	s_mul_i32 s16, s27, 0xc0
	v_add_u32_e32 v6, s16, v6
	flat_load_dwordx2 v[5:6], v[5:6]
.LBB176_66:
	s_or_b64 exec, exec, s[14:15]
	v_lshlrev_b32_e32 v2, 3, v2
	v_add_co_u32_e32 v2, vcc, v3, v2
	v_addc_co_u32_e32 v3, vcc, 0, v4, vcc
	v_mov_b32_e32 v4, s13
	v_subrev_co_u32_e32 v2, vcc, s12, v2
	v_subb_co_u32_e32 v3, vcc, v3, v4, vcc
	v_add_co_u32_e32 v2, vcc, 0x108, v2
	v_add_u32_e32 v8, 0x840, v17
	v_addc_co_u32_e32 v3, vcc, 0, v3, vcc
	v_add_u32_e32 v27, v10, v8
	v_cndmask_b32_e64 v23, v3, v23, s[10:11]
	v_cndmask_b32_e64 v22, v2, v22, s[10:11]
	s_waitcnt vmcnt(0) lgkmcnt(0)
	ds_write_b64 v27, v[5:6]
.LBB176_67:
	v_add_u32_e32 v2, v10, v13
	v_lshlrev_b32_e32 v4, 3, v11
	s_waitcnt lgkmcnt(0)
	s_barrier
	ds_read_b64 v[2:3], v2
	ds_read_b64 v[4:5], v4 offset:9088
	v_add_u32_e32 v6, v10, v16
	v_lshlrev_b32_e32 v13, 3, v12
	ds_read_b64 v[11:12], v6
	ds_read_b64 v[27:28], v13 offset:9088
	v_lshlrev_b32_e32 v6, 3, v15
	s_waitcnt lgkmcnt(2)
	v_fma_f64 v[2:3], v[2:3], v[4:5], 0
	v_add_u32_e32 v4, v10, v17
	s_waitcnt lgkmcnt(0)
	v_fma_f64 v[2:3], v[11:12], v[27:28], v[2:3]
	ds_read_b64 v[4:5], v4
	ds_read_b64 v[11:12], v6 offset:9088
	v_add_u32_e32 v6, v10, v8
	v_lshlrev_b32_e32 v8, 3, v7
	ds_read_b64 v[6:7], v6
	ds_read_b64 v[15:16], v8 offset:9088
	v_lshl_add_u32 v8, v9, 3, v25
	s_waitcnt lgkmcnt(2)
	v_fma_f64 v[2:3], v[4:5], v[11:12], v[2:3]
	s_waitcnt lgkmcnt(0)
	v_fma_f64 v[27:28], v[6:7], v[15:16], v[2:3]
	ds_read_b128 v[10:13], v14 offset:256
	ds_read_b128 v[2:5], v14 offset:272
	ds_read2_b64 v[14:17], v8 offset1:1
	ds_read2_b64 v[6:9], v8 offset0:2 offset1:3
	s_waitcnt lgkmcnt(0)
	s_barrier
	ds_write_b64 v26, v[27:28]
	s_waitcnt lgkmcnt(0)
	s_barrier
	s_and_saveexec_b64 s[10:11], s[8:9]
	s_cbranch_execz .LBB176_69
; %bb.68:
	ds_read2_b64 v[27:30], v25 offset1:1
	ds_read2_b64 v[38:41], v25 offset0:2 offset1:3
	s_waitcnt lgkmcnt(1)
	v_add_f64 v[27:28], v[36:37], v[27:28]
	v_add_f64 v[27:28], v[27:28], v[29:30]
	s_waitcnt lgkmcnt(0)
	v_add_f64 v[27:28], v[27:28], v[38:39]
	v_add_f64 v[31:32], v[27:28], v[40:41]
	ds_read2_b64 v[27:30], v25 offset0:4 offset1:5
	ds_read2_b64 v[36:39], v25 offset0:6 offset1:7
	s_waitcnt lgkmcnt(1)
	v_add_f64 v[27:28], v[31:32], v[27:28]
	v_add_f64 v[27:28], v[27:28], v[29:30]
	s_waitcnt lgkmcnt(0)
	v_add_f64 v[27:28], v[27:28], v[36:37]
	v_add_f64 v[36:37], v[27:28], v[38:39]
.LBB176_69:
	s_or_b64 exec, exec, s[10:11]
	v_fma_f64 v[10:11], v[14:15], v[10:11], 0
	s_barrier
	v_fma_f64 v[10:11], v[16:17], v[12:13], v[10:11]
	v_fma_f64 v[2:3], v[6:7], v[2:3], v[10:11]
	;; [unrolled: 1-line block ×3, first 2 shown]
	ds_write_b64 v26, v[2:3]
	s_waitcnt lgkmcnt(0)
	s_barrier
	s_and_saveexec_b64 s[8:9], s[20:21]
	s_cbranch_execz .LBB176_71
; %bb.70:
	ds_read2_b64 v[2:5], v25 offset1:1
	ds_read2_b64 v[6:9], v25 offset0:2 offset1:3
	s_waitcnt lgkmcnt(1)
	v_add_f64 v[2:3], v[36:37], v[2:3]
	v_add_f64 v[2:3], v[2:3], v[4:5]
	s_waitcnt lgkmcnt(0)
	v_add_f64 v[2:3], v[2:3], v[6:7]
	v_add_f64 v[10:11], v[2:3], v[8:9]
	ds_read2_b64 v[2:5], v25 offset0:4 offset1:5
	ds_read2_b64 v[6:9], v25 offset0:6 offset1:7
	s_waitcnt lgkmcnt(1)
	v_add_f64 v[2:3], v[10:11], v[2:3]
	v_add_f64 v[2:3], v[2:3], v[4:5]
	s_waitcnt lgkmcnt(0)
	v_add_f64 v[2:3], v[2:3], v[6:7]
	v_add_f64 v[36:37], v[2:3], v[8:9]
.LBB176_71:
	s_or_b64 exec, exec, s[8:9]
	s_load_dwordx2 s[4:5], s[4:5], 0x68
	s_mul_hi_u32 s8, s7, s28
	s_mul_i32 s33, s33, s28
	s_add_i32 s8, s8, s33
	s_mul_i32 s10, s7, s28
	s_mul_i32 s8, s8, s29
	s_mul_hi_u32 s9, s10, s29
	s_add_i32 s9, s9, s8
	s_mul_i32 s8, s10, s29
	s_lshl_b64 s[8:9], s[8:9], 3
	s_waitcnt lgkmcnt(0)
	s_add_u32 s8, s4, s8
	s_mul_i32 s4, s7, s6
	s_addc_u32 s9, s5, s9
	s_ashr_i32 s5, s4, 31
	s_lshl_b64 s[4:5], s[4:5], 3
	s_add_u32 s7, s8, s4
	v_cmp_le_i32_e32 vcc, s30, v0
	s_addc_u32 s33, s9, s5
	s_and_b64 vcc, s[38:39], vcc
	s_cmp_lt_i32 s6, 1
	v_lshlrev_b32_e32 v74, 3, v0
	s_barrier
	s_cbranch_scc1 .LBB176_78
; %bb.72:
	s_mul_i32 s4, s22, s35
	s_mul_hi_u32 s5, s22, s34
	s_add_i32 s4, s5, s4
	s_mul_i32 s5, s23, s34
	s_add_i32 s5, s4, s5
	s_mul_i32 s4, s22, s34
	s_lshl_b64 s[4:5], s[4:5], 3
	v_mov_b32_e32 v2, s5
	v_subrev_co_u32_e64 v75, s[4:5], s4, v18
	v_subb_co_u32_e64 v76, s[4:5], v19, v2, s[4:5]
	v_mov_b32_e32 v2, s37
	v_subrev_co_u32_e64 v4, s[4:5], s36, v22
	v_lshlrev_b32_e32 v8, 2, v1
	v_subb_co_u32_e64 v7, s[4:5], v23, v2, s[4:5]
	v_mad_u64_u32 v[2:3], s[4:5], s26, v8, 0
	s_movk_i32 s8, 0xff00
	v_add_co_u32_e64 v9, s[4:5], s8, v4
	v_addc_co_u32_e64 v7, s[4:5], -1, v7, s[4:5]
	v_mad_u64_u32 v[3:4], s[4:5], s27, v8, v[3:4]
	v_sub_co_u32_e64 v4, s[4:5], v9, v20
	v_lshlrev_b64 v[2:3], 3, v[2:3]
	v_subb_co_u32_e64 v7, s[4:5], v7, v21, s[4:5]
	v_add_co_u32_e64 v2, s[4:5], v4, v2
	v_addc_co_u32_e64 v3, s[4:5], v7, v3, s[4:5]
	s_ashr_i32 s31, s30, 31
	s_lshl_b64 s[4:5], s[30:31], 3
	v_mov_b32_e32 v4, s5
	v_add_co_u32_e64 v7, s[4:5], s4, v2
	v_addc_co_u32_e64 v4, s[4:5], v3, v4, s[4:5]
	v_add_co_u32_e64 v7, s[4:5], -8, v7
	v_addc_co_u32_e64 v4, s[4:5], -1, v4, s[4:5]
	v_add_co_u32_e64 v2, s[4:5], v2, v74
	v_addc_co_u32_e64 v3, s[4:5], 0, v3, s[4:5]
	v_cndmask_b32_e32 v41, v3, v4, vcc
	v_and_b32_e32 v3, 48, v0
	v_lshrrev_b32_e32 v5, 4, v24
	v_and_b32_e32 v6, 15, v0
	v_cndmask_b32_e32 v40, v2, v7, vcc
	v_mov_b32_e32 v2, 0x2180
	s_movk_i32 s8, 0x218
	v_lshlrev_b32_e32 v3, 3, v3
	v_lshl_add_u32 v78, v1, 5, v2
	v_lshlrev_b32_e32 v2, 5, v5
	v_mad_u32_u24 v82, v6, s8, v3
	v_or_b32_e32 v3, 0x78, v74
	v_mad_u32_u24 v81, v6, s8, v2
	v_mad_u32_u24 v83, v6, s8, v3
	s_mul_i32 s8, s27, 24
	s_mul_hi_u32 s9, s26, 24
	s_add_i32 s8, s9, s8
	s_mul_i32 s9, s27, 0x90
	s_mul_hi_u32 s10, s26, 0x90
	s_add_i32 s9, s10, s9
	s_mul_i32 s10, s27, 0x98
	s_mul_hi_u32 s11, s26, 0x98
	s_add_i32 s10, s11, s10
	s_mul_i32 s11, s27, 0x110
	s_mul_hi_u32 s12, s26, 0x110
	s_add_i32 s11, s12, s11
	s_mul_i32 s12, s27, 0x118
	s_mul_hi_u32 s13, s26, 0x118
	s_add_i32 s12, s13, s12
	s_mul_i32 s13, s27, 0x180
	s_mul_hi_u32 s14, s26, 0x180
	s_add_i32 s13, s14, s13
	s_mul_i32 s14, s27, 0x190
	s_mul_hi_u32 s15, s26, 0x190
	s_mul_i32 s40, s27, 0x188
	s_mul_hi_u32 s41, s26, 0x188
	s_lshl_b64 s[16:17], s[26:27], 3
	s_lshl_b64 s[18:19], s[26:27], 4
	;; [unrolled: 1-line block ×4, first 2 shown]
	s_add_i32 s14, s15, s14
	s_mul_i32 s15, s27, 0x198
	s_mul_hi_u32 s39, s26, 0x198
	s_add_i32 s42, s41, s40
	s_mul_i32 s41, s27, 0x108
	s_mul_hi_u32 s43, s26, 0x108
	s_mulk_i32 s27, 0x88
	s_mul_hi_u32 s44, s26, 0x88
	s_movk_i32 s4, 0x860
	v_mul_i32_i24_e32 v2, 0xffffffe8, v5
	s_add_i32 s15, s39, s15
	s_add_i32 s43, s43, s41
	;; [unrolled: 1-line block ×3, first 2 shown]
	v_mov_b32_e32 v39, 0
	v_add_u32_e32 v77, 0x2180, v74
	v_add_u32_e32 v79, 0x2380, v74
	v_mad_u32_u24 v80, v1, s4, v74
	v_cmp_gt_u32_e64 s[4:5], 64, v24
	s_mul_i32 s30, s26, 24
	s_mul_i32 s31, s26, 0x90
	;; [unrolled: 1-line block ×10, first 2 shown]
	s_mulk_i32 s26, 0x88
	s_mov_b32 s27, 0
	v_mov_b32_e32 v84, s17
	v_mov_b32_e32 v85, s19
	;; [unrolled: 1-line block ×15, first 2 shown]
	v_add_u32_e32 v99, v81, v2
	v_mov_b32_e32 v100, s21
	s_branch .LBB176_74
.LBB176_73:                             ;   in Loop: Header=BB176_74 Depth=1
	s_or_b64 exec, exec, s[10:11]
	v_fma_f64 v[6:7], v[42:43], v[6:7], v[36:37]
	s_add_i32 s27, s27, 64
	s_add_i32 s6, s6, -1
	v_add_co_u32_e64 v40, s[8:9], s20, v40
	s_cmp_eq_u32 s6, 0
	v_addc_co_u32_e64 v41, s[8:9], v41, v100, s[8:9]
	v_fma_f64 v[6:7], v[44:45], v[8:9], v[6:7]
	s_waitcnt vmcnt(0)
	s_barrier
	v_fma_f64 v[2:3], v[46:47], v[2:3], v[6:7]
	v_fma_f64 v[2:3], v[48:49], v[4:5], v[2:3]
	v_fma_f64 v[2:3], v[50:51], v[14:15], v[2:3]
	v_fma_f64 v[2:3], v[52:53], v[16:17], v[2:3]
	v_fma_f64 v[2:3], v[54:55], v[10:11], v[2:3]
	v_fma_f64 v[2:3], v[56:57], v[12:13], v[2:3]
	v_fma_f64 v[2:3], v[58:59], v[22:23], v[2:3]
	v_fma_f64 v[2:3], v[60:61], v[24:25], v[2:3]
	v_fma_f64 v[2:3], v[62:63], v[18:19], v[2:3]
	v_fma_f64 v[2:3], v[64:65], v[20:21], v[2:3]
	v_fma_f64 v[2:3], v[66:67], v[30:31], v[2:3]
	v_fma_f64 v[2:3], v[68:69], v[32:33], v[2:3]
	v_fma_f64 v[2:3], v[72:73], v[26:27], v[2:3]
	v_fma_f64 v[36:37], v[70:71], v[28:29], v[2:3]
	s_cbranch_scc1 .LBB176_78
.LBB176_74:                             ; =>This Inner Loop Header: Depth=1
	s_and_saveexec_b64 s[10:11], s[2:3]
	s_cbranch_execz .LBB176_76
; %bb.75:                               ;   in Loop: Header=BB176_74 Depth=1
	s_mul_i32 s8, s23, s27
	s_mul_hi_u32 s9, s22, s27
	s_add_i32 s9, s9, s8
	s_mul_i32 s8, s22, s27
	s_lshl_b64 s[8:9], s[8:9], 3
	v_mov_b32_e32 v3, s9
	v_add_co_u32_e64 v2, s[8:9], s8, v75
	v_addc_co_u32_e64 v3, s[8:9], v76, v3, s[8:9]
	flat_load_dwordx2 v[2:3], v[2:3]
	s_waitcnt vmcnt(0) lgkmcnt(0)
	ds_write_b64 v77, v[2:3]
.LBB176_76:                             ;   in Loop: Header=BB176_74 Depth=1
	s_or_b64 exec, exec, s[10:11]
	v_add_co_u32_e64 v2, s[8:9], s16, v40
	v_addc_co_u32_e64 v3, s[8:9], v41, v84, s[8:9]
	s_waitcnt lgkmcnt(0)
	s_barrier
	flat_load_dwordx2 v[42:43], v[40:41]
	flat_load_dwordx2 v[44:45], v[2:3]
	v_add_co_u32_e64 v2, s[8:9], s18, v40
	v_addc_co_u32_e64 v3, s[8:9], v41, v85, s[8:9]
	v_add_co_u32_e64 v4, s[8:9], s30, v40
	v_addc_co_u32_e64 v5, s[8:9], v41, v86, s[8:9]
	flat_load_dwordx2 v[46:47], v[2:3]
	flat_load_dwordx2 v[48:49], v[4:5]
	ds_read_b64 v[10:11], v79
	ds_read_b128 v[6:9], v78
	ds_read_b128 v[2:5], v78 offset:16
	v_add_co_u32_e64 v14, s[8:9], s28, v40
	v_add_co_u32_e64 v16, s[10:11], s26, v40
	;; [unrolled: 1-line block ×4, first 2 shown]
	v_addc_co_u32_e64 v15, s[8:9], v41, v87, s[8:9]
	v_addc_co_u32_e64 v17, s[8:9], v41, v88, s[10:11]
	v_addc_co_u32_e64 v23, s[8:9], v41, v89, s[12:13]
	v_addc_co_u32_e64 v25, s[8:9], v41, v90, s[14:15]
	v_add_co_u32_e64 v26, s[8:9], s24, v40
	v_add_co_u32_e64 v62, s[10:11], s41, v40
	v_addc_co_u32_e64 v27, s[8:9], v41, v91, s[8:9]
	v_addc_co_u32_e64 v63, s[8:9], v41, v92, s[10:11]
	s_waitcnt vmcnt(0) lgkmcnt(0)
	v_mul_f64 v[12:13], v[42:43], v[10:11]
	v_mul_f64 v[18:19], v[44:45], v[10:11]
	;; [unrolled: 1-line block ×4, first 2 shown]
	ds_write2_b64 v80, v[12:13], v[18:19] offset1:67
	ds_write2_b64 v80, v[20:21], v[10:11] offset0:134 offset1:201
	s_waitcnt lgkmcnt(0)
	s_barrier
	ds_read2_b64 v[10:13], v81 offset1:1
	ds_read2_b64 v[18:21], v81 offset0:2 offset1:3
	s_waitcnt lgkmcnt(0)
	s_barrier
	flat_load_dwordx2 v[50:51], v[14:15]
	flat_load_dwordx2 v[52:53], v[16:17]
	;; [unrolled: 1-line block ×4, first 2 shown]
	v_add_f64 v[10:11], v[10:11], 0
	ds_read_b64 v[14:15], v79
	v_add_f64 v[22:23], v[10:11], v[12:13]
	v_add_f64 v[18:19], v[22:23], v[18:19]
	;; [unrolled: 1-line block ×3, first 2 shown]
	s_waitcnt vmcnt(0) lgkmcnt(0)
	v_mul_f64 v[24:25], v[50:51], v[14:15]
	v_mul_f64 v[28:29], v[52:53], v[14:15]
	v_mul_f64 v[30:31], v[54:55], v[14:15]
	v_mul_f64 v[32:33], v[56:57], v[14:15]
	ds_read_b128 v[14:17], v78 offset:128
	ds_read_b128 v[10:13], v78 offset:144
	ds_write2_b64 v80, v[24:25], v[28:29] offset1:67
	ds_write2_b64 v80, v[30:31], v[32:33] offset0:134 offset1:201
	s_waitcnt lgkmcnt(0)
	s_barrier
	ds_read2_b64 v[22:25], v81 offset1:1
	ds_read2_b64 v[18:21], v81 offset0:2 offset1:3
	s_waitcnt lgkmcnt(0)
	s_barrier
	v_add_f64 v[22:23], v[22:23], 0
	flat_load_dwordx2 v[58:59], v[26:27]
	flat_load_dwordx2 v[60:61], v[62:63]
	v_add_co_u32_e64 v26, s[8:9], s35, v40
	v_addc_co_u32_e64 v27, s[8:9], v41, v93, s[8:9]
	v_add_f64 v[22:23], v[22:23], v[24:25]
	v_add_co_u32_e64 v24, s[10:11], s36, v40
	v_addc_co_u32_e64 v25, s[8:9], v41, v94, s[10:11]
	flat_load_dwordx2 v[62:63], v[26:27]
	flat_load_dwordx2 v[64:65], v[24:25]
	v_add_f64 v[18:19], v[22:23], v[18:19]
	ds_read_b64 v[22:23], v79
	v_add_f64 v[111:112], v[18:19], v[20:21]
	s_waitcnt vmcnt(0) lgkmcnt(0)
	v_mul_f64 v[18:19], v[58:59], v[22:23]
	v_mul_f64 v[20:21], v[60:61], v[22:23]
	ds_write2_b64 v80, v[18:19], v[20:21] offset1:67
	v_mul_f64 v[18:19], v[62:63], v[22:23]
	v_mul_f64 v[20:21], v[64:65], v[22:23]
	ds_write2_b64 v80, v[18:19], v[20:21] offset0:134 offset1:201
	ds_read_b128 v[22:25], v78 offset:256
	ds_read_b128 v[18:21], v78 offset:272
	s_waitcnt lgkmcnt(0)
	s_barrier
	ds_read2_b64 v[26:29], v81 offset1:1
	ds_read2_b64 v[101:104], v81 offset0:2 offset1:3
	s_waitcnt lgkmcnt(0)
	s_barrier
	v_add_f64 v[26:27], v[26:27], 0
	v_add_f64 v[113:114], v[26:27], v[28:29]
	v_add_co_u32_e64 v26, s[8:9], s37, v40
	v_addc_co_u32_e64 v27, s[8:9], v41, v95, s[8:9]
	v_add_co_u32_e64 v28, s[8:9], s40, v40
	v_addc_co_u32_e64 v29, s[8:9], v41, v96, s[8:9]
	flat_load_dwordx2 v[66:67], v[26:27]
	flat_load_dwordx2 v[68:69], v[28:29]
	ds_read_b64 v[26:27], v79
	v_add_f64 v[101:102], v[113:114], v[101:102]
	s_waitcnt vmcnt(0) lgkmcnt(0)
	v_mul_f64 v[28:29], v[66:67], v[26:27]
	v_mul_f64 v[30:31], v[68:69], v[26:27]
	ds_write2_b64 v80, v[28:29], v[30:31] offset1:67
	v_add_co_u32_e64 v28, s[8:9], s38, v40
	v_addc_co_u32_e64 v29, s[8:9], v41, v97, s[8:9]
	v_add_co_u32_e64 v30, s[8:9], s39, v40
	v_addc_co_u32_e64 v31, s[8:9], v41, v98, s[8:9]
	flat_load_dwordx2 v[72:73], v[28:29]
	flat_load_dwordx2 v[70:71], v[30:31]
	s_waitcnt vmcnt(0) lgkmcnt(0)
	v_mul_f64 v[28:29], v[72:73], v[26:27]
	v_mul_f64 v[26:27], v[70:71], v[26:27]
	ds_write2_b64 v80, v[28:29], v[26:27] offset0:134 offset1:201
	ds_read_b128 v[30:33], v78 offset:384
	ds_read_b128 v[26:29], v78 offset:400
	s_waitcnt lgkmcnt(0)
	s_barrier
	ds_read2_b64 v[105:108], v81 offset1:1
	s_waitcnt lgkmcnt(0)
	v_add_f64 v[105:106], v[105:106], 0
	v_add_f64 v[105:106], v[105:106], v[107:108]
	;; [unrolled: 1-line block ×3, first 2 shown]
	ds_read2_b64 v[101:104], v81 offset0:2 offset1:3
	s_waitcnt lgkmcnt(0)
	s_barrier
	v_add_f64 v[101:102], v[105:106], v[101:102]
	v_add_f64 v[101:102], v[101:102], v[103:104]
	ds_write2_b64 v99, v[109:110], v[111:112] offset1:16
	ds_write2_b64 v99, v[107:108], v[101:102] offset0:32 offset1:48
	s_waitcnt lgkmcnt(0)
	s_barrier
	s_and_saveexec_b64 s[10:11], s[4:5]
	s_cbranch_execz .LBB176_73
; %bb.77:                               ;   in Loop: Header=BB176_74 Depth=1
	ds_read2_b64 v[101:104], v82 offset1:1
	ds_read2_b64 v[105:108], v82 offset0:2 offset1:3
	v_add_u32_e32 v38, s27, v0
	s_waitcnt lgkmcnt(1)
	v_add_f64 v[101:102], v[101:102], v[103:104]
	s_waitcnt lgkmcnt(0)
	v_add_f64 v[101:102], v[101:102], v[105:106]
	v_add_f64 v[109:110], v[101:102], v[107:108]
	ds_read2_b64 v[101:104], v82 offset0:4 offset1:5
	ds_read2_b64 v[105:108], v82 offset0:6 offset1:7
	s_waitcnt lgkmcnt(1)
	v_add_f64 v[101:102], v[109:110], v[101:102]
	v_add_f64 v[101:102], v[101:102], v[103:104]
	s_waitcnt lgkmcnt(0)
	v_add_f64 v[101:102], v[101:102], v[105:106]
	v_add_f64 v[109:110], v[101:102], v[107:108]
	ds_read2_b64 v[101:104], v82 offset0:8 offset1:9
	ds_read2_b64 v[105:108], v82 offset0:10 offset1:11
	s_waitcnt lgkmcnt(1)
	v_add_f64 v[101:102], v[109:110], v[101:102]
	v_add_f64 v[101:102], v[101:102], v[103:104]
	s_waitcnt lgkmcnt(0)
	v_add_f64 v[101:102], v[101:102], v[105:106]
	v_add_f64 v[105:106], v[101:102], v[107:108]
	ds_read2_b64 v[101:104], v82 offset0:12 offset1:13
	ds_read_b64 v[107:108], v82 offset:112
	s_waitcnt lgkmcnt(1)
	v_add_f64 v[101:102], v[105:106], v[101:102]
	v_add_f64 v[101:102], v[101:102], v[103:104]
	ds_read_b64 v[103:104], v83
	s_waitcnt lgkmcnt(1)
	v_add_f64 v[101:102], v[101:102], v[107:108]
	s_waitcnt lgkmcnt(0)
	v_add_f64 v[101:102], v[101:102], v[103:104]
	v_lshlrev_b64 v[103:104], 3, v[38:39]
	v_mov_b32_e32 v38, s33
	v_add_co_u32_e64 v103, s[8:9], s7, v103
	v_addc_co_u32_e64 v104, s[8:9], v38, v104, s[8:9]
	global_store_dwordx2 v[103:104], v[101:102], off
	s_branch .LBB176_73
.LBB176_78:
	s_movk_i32 s2, 0x218
	v_mad_u32_u24 v0, v1, s2, v74
	s_nor_b64 s[0:1], s[0:1], vcc
	ds_write_b64 v0, v[36:37]
	s_waitcnt lgkmcnt(0)
	s_barrier
	s_and_saveexec_b64 s[2:3], s[0:1]
	s_cbranch_execz .LBB176_80
; %bb.79:
	ds_read2_b64 v[0:3], v74 offset1:67
	s_waitcnt lgkmcnt(0)
	v_add_f64 v[4:5], v[0:1], v[2:3]
	ds_read2_b64 v[0:3], v74 offset0:134 offset1:201
	s_waitcnt lgkmcnt(0)
	v_add_f64 v[0:1], v[4:5], v[0:1]
	v_mov_b32_e32 v4, s33
	v_add_f64 v[0:1], v[0:1], v[2:3]
	v_lshlrev_b64 v[2:3], 3, v[34:35]
	v_add_co_u32_e32 v2, vcc, s7, v2
	v_addc_co_u32_e32 v3, vcc, v4, v3, vcc
	global_store_dwordx2 v[2:3], v[0:1], off
.LBB176_80:
	s_endpgm
	.section	.rodata,"a",@progbits
	.p2align	6, 0x0
	.amdhsa_kernel _ZL26rocblas_hemvn_kernel_lowerILb0ELi64ELi4ELi33ELi32ELi16EldPKPKdPdEviT6_lT7_lT5_lS6_lS7_lS5_lT8_i
		.amdhsa_group_segment_fixed_size 9600
		.amdhsa_private_segment_fixed_size 0
		.amdhsa_kernarg_size 376
		.amdhsa_user_sgpr_count 6
		.amdhsa_user_sgpr_private_segment_buffer 1
		.amdhsa_user_sgpr_dispatch_ptr 0
		.amdhsa_user_sgpr_queue_ptr 0
		.amdhsa_user_sgpr_kernarg_segment_ptr 1
		.amdhsa_user_sgpr_dispatch_id 0
		.amdhsa_user_sgpr_flat_scratch_init 0
		.amdhsa_user_sgpr_private_segment_size 0
		.amdhsa_uses_dynamic_stack 0
		.amdhsa_system_sgpr_private_segment_wavefront_offset 0
		.amdhsa_system_sgpr_workgroup_id_x 1
		.amdhsa_system_sgpr_workgroup_id_y 0
		.amdhsa_system_sgpr_workgroup_id_z 1
		.amdhsa_system_sgpr_workgroup_info 0
		.amdhsa_system_vgpr_workitem_id 1
		.amdhsa_next_free_vgpr 115
		.amdhsa_next_free_sgpr 93
		.amdhsa_reserve_vcc 1
		.amdhsa_reserve_flat_scratch 0
		.amdhsa_float_round_mode_32 0
		.amdhsa_float_round_mode_16_64 0
		.amdhsa_float_denorm_mode_32 3
		.amdhsa_float_denorm_mode_16_64 3
		.amdhsa_dx10_clamp 1
		.amdhsa_ieee_mode 1
		.amdhsa_fp16_overflow 0
		.amdhsa_exception_fp_ieee_invalid_op 0
		.amdhsa_exception_fp_denorm_src 0
		.amdhsa_exception_fp_ieee_div_zero 0
		.amdhsa_exception_fp_ieee_overflow 0
		.amdhsa_exception_fp_ieee_underflow 0
		.amdhsa_exception_fp_ieee_inexact 0
		.amdhsa_exception_int_div_zero 0
	.end_amdhsa_kernel
	.section	.text._ZL26rocblas_hemvn_kernel_lowerILb0ELi64ELi4ELi33ELi32ELi16EldPKPKdPdEviT6_lT7_lT5_lS6_lS7_lS5_lT8_i,"axG",@progbits,_ZL26rocblas_hemvn_kernel_lowerILb0ELi64ELi4ELi33ELi32ELi16EldPKPKdPdEviT6_lT7_lT5_lS6_lS7_lS5_lT8_i,comdat
.Lfunc_end176:
	.size	_ZL26rocblas_hemvn_kernel_lowerILb0ELi64ELi4ELi33ELi32ELi16EldPKPKdPdEviT6_lT7_lT5_lS6_lS7_lS5_lT8_i, .Lfunc_end176-_ZL26rocblas_hemvn_kernel_lowerILb0ELi64ELi4ELi33ELi32ELi16EldPKPKdPdEviT6_lT7_lT5_lS6_lS7_lS5_lT8_i
                                        ; -- End function
	.set _ZL26rocblas_hemvn_kernel_lowerILb0ELi64ELi4ELi33ELi32ELi16EldPKPKdPdEviT6_lT7_lT5_lS6_lS7_lS5_lT8_i.num_vgpr, 115
	.set _ZL26rocblas_hemvn_kernel_lowerILb0ELi64ELi4ELi33ELi32ELi16EldPKPKdPdEviT6_lT7_lT5_lS6_lS7_lS5_lT8_i.num_agpr, 0
	.set _ZL26rocblas_hemvn_kernel_lowerILb0ELi64ELi4ELi33ELi32ELi16EldPKPKdPdEviT6_lT7_lT5_lS6_lS7_lS5_lT8_i.numbered_sgpr, 46
	.set _ZL26rocblas_hemvn_kernel_lowerILb0ELi64ELi4ELi33ELi32ELi16EldPKPKdPdEviT6_lT7_lT5_lS6_lS7_lS5_lT8_i.num_named_barrier, 0
	.set _ZL26rocblas_hemvn_kernel_lowerILb0ELi64ELi4ELi33ELi32ELi16EldPKPKdPdEviT6_lT7_lT5_lS6_lS7_lS5_lT8_i.private_seg_size, 0
	.set _ZL26rocblas_hemvn_kernel_lowerILb0ELi64ELi4ELi33ELi32ELi16EldPKPKdPdEviT6_lT7_lT5_lS6_lS7_lS5_lT8_i.uses_vcc, 1
	.set _ZL26rocblas_hemvn_kernel_lowerILb0ELi64ELi4ELi33ELi32ELi16EldPKPKdPdEviT6_lT7_lT5_lS6_lS7_lS5_lT8_i.uses_flat_scratch, 0
	.set _ZL26rocblas_hemvn_kernel_lowerILb0ELi64ELi4ELi33ELi32ELi16EldPKPKdPdEviT6_lT7_lT5_lS6_lS7_lS5_lT8_i.has_dyn_sized_stack, 0
	.set _ZL26rocblas_hemvn_kernel_lowerILb0ELi64ELi4ELi33ELi32ELi16EldPKPKdPdEviT6_lT7_lT5_lS6_lS7_lS5_lT8_i.has_recursion, 0
	.set _ZL26rocblas_hemvn_kernel_lowerILb0ELi64ELi4ELi33ELi32ELi16EldPKPKdPdEviT6_lT7_lT5_lS6_lS7_lS5_lT8_i.has_indirect_call, 0
	.section	.AMDGPU.csdata,"",@progbits
; Kernel info:
; codeLenInByte = 6388
; TotalNumSgprs: 50
; NumVgprs: 115
; ScratchSize: 0
; MemoryBound: 0
; FloatMode: 240
; IeeeMode: 1
; LDSByteSize: 9600 bytes/workgroup (compile time only)
; SGPRBlocks: 12
; VGPRBlocks: 28
; NumSGPRsForWavesPerEU: 97
; NumVGPRsForWavesPerEU: 115
; Occupancy: 2
; WaveLimiterHint : 1
; COMPUTE_PGM_RSRC2:SCRATCH_EN: 0
; COMPUTE_PGM_RSRC2:USER_SGPR: 6
; COMPUTE_PGM_RSRC2:TRAP_HANDLER: 0
; COMPUTE_PGM_RSRC2:TGID_X_EN: 1
; COMPUTE_PGM_RSRC2:TGID_Y_EN: 0
; COMPUTE_PGM_RSRC2:TGID_Z_EN: 1
; COMPUTE_PGM_RSRC2:TIDIG_COMP_CNT: 1
	.section	.text._ZL36rocblas_hemvn_kernel_lower_block_sumILi64EldPKPddEviT1_lS3_lT2_lT0_lPT3_i,"axG",@progbits,_ZL36rocblas_hemvn_kernel_lower_block_sumILi64EldPKPddEviT1_lS3_lT2_lT0_lPT3_i,comdat
	.globl	_ZL36rocblas_hemvn_kernel_lower_block_sumILi64EldPKPddEviT1_lS3_lT2_lT0_lPT3_i ; -- Begin function _ZL36rocblas_hemvn_kernel_lower_block_sumILi64EldPKPddEviT1_lS3_lT2_lT0_lPT3_i
	.p2align	8
	.type	_ZL36rocblas_hemvn_kernel_lower_block_sumILi64EldPKPddEviT1_lS3_lT2_lT0_lPT3_i,@function
_ZL36rocblas_hemvn_kernel_lower_block_sumILi64EldPKPddEviT1_lS3_lT2_lT0_lPT3_i: ; @_ZL36rocblas_hemvn_kernel_lower_block_sumILi64EldPKPddEviT1_lS3_lT2_lT0_lPT3_i
; %bb.0:
	s_load_dwordx2 s[8:9], s[4:5], 0x8
	s_load_dwordx2 s[10:11], s[4:5], 0x18
	s_waitcnt lgkmcnt(0)
	v_cmp_eq_f64_e64 s[0:1], s[8:9], 0
	v_cmp_eq_f64_e64 s[2:3], s[10:11], 1.0
	s_and_b64 s[0:1], s[0:1], s[2:3]
	s_and_b64 vcc, exec, s[0:1]
	s_cbranch_vccnz .LBB177_19
; %bb.1:
	s_load_dwordx2 s[12:13], s[4:5], 0x28
	s_load_dword s14, s[4:5], 0x0
	s_load_dwordx4 s[0:3], s[4:5], 0x30
	s_mov_b32 s16, s7
	s_mov_b32 s17, 0
	s_lshl_b64 s[18:19], s[16:17], 3
	s_waitcnt lgkmcnt(0)
	s_add_u32 s12, s12, s18
	s_addc_u32 s13, s13, s19
	v_cmp_neq_f64_e64 s[18:19], s[8:9], 0
	s_load_dwordx2 s[20:21], s[12:13], 0x0
	s_lshl_b64 s[0:1], s[0:1], 3
	v_lshl_or_b32 v6, s6, 6, v0
	s_mov_b64 s[12:13], 0
	s_waitcnt lgkmcnt(0)
	s_add_u32 s7, s20, s0
	s_addc_u32 s17, s21, s1
	s_and_b64 vcc, exec, s[18:19]
	v_cmp_gt_i32_e64 s[0:1], s14, v6
	s_cbranch_vccnz .LBB177_6
; %bb.2:
	s_mov_b64 s[18:19], 0
                                        ; implicit-def: $vgpr2_vgpr3
                                        ; implicit-def: $vgpr0_vgpr1
	s_and_saveexec_b64 s[20:21], s[0:1]
	s_cbranch_execz .LBB177_7
; %bb.3:
	v_cmp_eq_f64_e64 s[0:1], s[10:11], 0
	v_ashrrev_i32_e32 v0, 31, v6
	v_mul_lo_u32 v4, s3, v6
	v_mul_lo_u32 v5, s2, v0
	v_mad_u64_u32 v[0:1], s[12:13], s2, v6, 0
	v_mov_b32_e32 v2, 0
	v_mov_b32_e32 v3, 0
	v_add3_u32 v1, v1, v5, v4
	s_and_b64 vcc, exec, s[0:1]
	s_cbranch_vccnz .LBB177_5
; %bb.4:
	v_lshlrev_b64 v[2:3], 3, v[0:1]
	v_mov_b32_e32 v4, s17
	v_add_co_u32_e32 v2, vcc, s7, v2
	v_addc_co_u32_e32 v3, vcc, v4, v3, vcc
	flat_load_dwordx2 v[2:3], v[2:3]
	s_waitcnt vmcnt(0) lgkmcnt(0)
	v_mul_f64 v[2:3], s[10:11], v[2:3]
.LBB177_5:
	s_mov_b64 s[12:13], exec
	s_or_b64 exec, exec, s[20:21]
	s_and_b64 vcc, exec, s[18:19]
	s_cbranch_vccnz .LBB177_8
	s_branch .LBB177_17
.LBB177_6:
                                        ; implicit-def: $vgpr2_vgpr3
                                        ; implicit-def: $vgpr0_vgpr1
	s_cbranch_execnz .LBB177_8
	s_branch .LBB177_17
.LBB177_7:
	s_or_b64 exec, exec, s[20:21]
	s_and_b64 vcc, exec, s[18:19]
	s_cbranch_vccz .LBB177_17
.LBB177_8:
	v_cmp_gt_i32_e32 vcc, s14, v6
                                        ; implicit-def: $vgpr2_vgpr3
                                        ; implicit-def: $vgpr0_vgpr1
	s_and_saveexec_b64 s[0:1], vcc
	s_cbranch_execz .LBB177_16
; %bb.9:
	s_load_dword s18, s[4:5], 0x58
	v_mov_b32_e32 v4, 0
	v_mov_b32_e32 v5, 0
	s_waitcnt lgkmcnt(0)
	s_cmp_ge_i32 s6, s18
	s_cbranch_scc1 .LBB177_12
; %bb.10:
	s_ashr_i32 s15, s14, 31
	s_mul_i32 s19, s14, s6
	s_load_dwordx2 s[4:5], s[4:5], 0x48
	v_add_u32_e32 v0, s19, v6
	s_mul_hi_u32 s19, s14, s16
	s_mul_i32 s20, s15, s16
	s_add_i32 s19, s19, s20
	s_mul_i32 s16, s14, s16
	s_mul_i32 s19, s19, s18
	s_mul_hi_u32 s20, s16, s18
	s_add_i32 s21, s20, s19
	s_mul_i32 s20, s16, s18
	v_ashrrev_i32_e32 v1, 31, v0
	s_lshl_b64 s[20:21], s[20:21], 3
	v_lshlrev_b64 v[0:1], 3, v[0:1]
	s_waitcnt lgkmcnt(0)
	s_add_u32 s4, s4, s20
	s_addc_u32 s5, s5, s21
	v_mov_b32_e32 v2, s5
	v_add_co_u32_e32 v0, vcc, s4, v0
	s_lshl_b64 s[4:5], s[14:15], 3
	v_mov_b32_e32 v4, 0
	v_addc_co_u32_e32 v1, vcc, v2, v1, vcc
	v_mov_b32_e32 v5, 0
	v_mov_b32_e32 v2, s5
.LBB177_11:                             ; =>This Inner Loop Header: Depth=1
	global_load_dwordx2 v[7:8], v[0:1], off
	s_add_i32 s6, s6, 1
	v_add_co_u32_e32 v0, vcc, s4, v0
	s_cmp_ge_i32 s6, s18
	v_addc_co_u32_e32 v1, vcc, v1, v2, vcc
	s_waitcnt vmcnt(0)
	v_add_f64 v[4:5], v[4:5], v[7:8]
	s_cbranch_scc0 .LBB177_11
.LBB177_12:
	v_cmp_eq_f64_e64 s[14:15], s[10:11], 0
	v_ashrrev_i32_e32 v0, 31, v6
	v_mul_lo_u32 v7, s3, v6
	v_mul_lo_u32 v8, s2, v0
	s_mov_b64 s[4:5], 0
	s_and_b64 vcc, exec, s[14:15]
	s_cbranch_vccz .LBB177_20
; %bb.13:
	v_mad_u64_u32 v[0:1], s[14:15], s2, v6, 0
	v_mul_f64 v[2:3], s[8:9], v[4:5]
	v_add3_u32 v1, v1, v8, v7
	s_andn2_b64 vcc, exec, s[4:5]
	s_cbranch_vccnz .LBB177_15
.LBB177_14:
	v_mad_u64_u32 v[0:1], s[2:3], s2, v6, 0
	v_mov_b32_e32 v6, s17
	v_add3_u32 v1, v1, v8, v7
	v_lshlrev_b64 v[2:3], 3, v[0:1]
	v_add_co_u32_e32 v2, vcc, s7, v2
	v_addc_co_u32_e32 v3, vcc, v6, v3, vcc
	flat_load_dwordx2 v[2:3], v[2:3]
	s_waitcnt vmcnt(0) lgkmcnt(0)
	v_mul_f64 v[2:3], s[10:11], v[2:3]
	v_fma_f64 v[2:3], s[8:9], v[4:5], v[2:3]
.LBB177_15:
	s_or_b64 s[12:13], s[12:13], exec
.LBB177_16:
	s_or_b64 exec, exec, s[0:1]
.LBB177_17:
	s_and_saveexec_b64 s[0:1], s[12:13]
	s_cbranch_execz .LBB177_19
; %bb.18:
	v_lshlrev_b64 v[0:1], 3, v[0:1]
	v_mov_b32_e32 v4, s17
	v_add_co_u32_e32 v0, vcc, s7, v0
	v_addc_co_u32_e32 v1, vcc, v4, v1, vcc
	flat_store_dwordx2 v[0:1], v[2:3]
.LBB177_19:
	s_endpgm
.LBB177_20:
                                        ; implicit-def: $vgpr2_vgpr3
                                        ; implicit-def: $vgpr0_vgpr1
	s_branch .LBB177_14
	.section	.rodata,"a",@progbits
	.p2align	6, 0x0
	.amdhsa_kernel _ZL36rocblas_hemvn_kernel_lower_block_sumILi64EldPKPddEviT1_lS3_lT2_lT0_lPT3_i
		.amdhsa_group_segment_fixed_size 0
		.amdhsa_private_segment_fixed_size 0
		.amdhsa_kernarg_size 344
		.amdhsa_user_sgpr_count 6
		.amdhsa_user_sgpr_private_segment_buffer 1
		.amdhsa_user_sgpr_dispatch_ptr 0
		.amdhsa_user_sgpr_queue_ptr 0
		.amdhsa_user_sgpr_kernarg_segment_ptr 1
		.amdhsa_user_sgpr_dispatch_id 0
		.amdhsa_user_sgpr_flat_scratch_init 0
		.amdhsa_user_sgpr_private_segment_size 0
		.amdhsa_uses_dynamic_stack 0
		.amdhsa_system_sgpr_private_segment_wavefront_offset 0
		.amdhsa_system_sgpr_workgroup_id_x 1
		.amdhsa_system_sgpr_workgroup_id_y 0
		.amdhsa_system_sgpr_workgroup_id_z 1
		.amdhsa_system_sgpr_workgroup_info 0
		.amdhsa_system_vgpr_workitem_id 0
		.amdhsa_next_free_vgpr 9
		.amdhsa_next_free_sgpr 22
		.amdhsa_reserve_vcc 1
		.amdhsa_reserve_flat_scratch 0
		.amdhsa_float_round_mode_32 0
		.amdhsa_float_round_mode_16_64 0
		.amdhsa_float_denorm_mode_32 3
		.amdhsa_float_denorm_mode_16_64 3
		.amdhsa_dx10_clamp 1
		.amdhsa_ieee_mode 1
		.amdhsa_fp16_overflow 0
		.amdhsa_exception_fp_ieee_invalid_op 0
		.amdhsa_exception_fp_denorm_src 0
		.amdhsa_exception_fp_ieee_div_zero 0
		.amdhsa_exception_fp_ieee_overflow 0
		.amdhsa_exception_fp_ieee_underflow 0
		.amdhsa_exception_fp_ieee_inexact 0
		.amdhsa_exception_int_div_zero 0
	.end_amdhsa_kernel
	.section	.text._ZL36rocblas_hemvn_kernel_lower_block_sumILi64EldPKPddEviT1_lS3_lT2_lT0_lPT3_i,"axG",@progbits,_ZL36rocblas_hemvn_kernel_lower_block_sumILi64EldPKPddEviT1_lS3_lT2_lT0_lPT3_i,comdat
.Lfunc_end177:
	.size	_ZL36rocblas_hemvn_kernel_lower_block_sumILi64EldPKPddEviT1_lS3_lT2_lT0_lPT3_i, .Lfunc_end177-_ZL36rocblas_hemvn_kernel_lower_block_sumILi64EldPKPddEviT1_lS3_lT2_lT0_lPT3_i
                                        ; -- End function
	.set _ZL36rocblas_hemvn_kernel_lower_block_sumILi64EldPKPddEviT1_lS3_lT2_lT0_lPT3_i.num_vgpr, 9
	.set _ZL36rocblas_hemvn_kernel_lower_block_sumILi64EldPKPddEviT1_lS3_lT2_lT0_lPT3_i.num_agpr, 0
	.set _ZL36rocblas_hemvn_kernel_lower_block_sumILi64EldPKPddEviT1_lS3_lT2_lT0_lPT3_i.numbered_sgpr, 22
	.set _ZL36rocblas_hemvn_kernel_lower_block_sumILi64EldPKPddEviT1_lS3_lT2_lT0_lPT3_i.num_named_barrier, 0
	.set _ZL36rocblas_hemvn_kernel_lower_block_sumILi64EldPKPddEviT1_lS3_lT2_lT0_lPT3_i.private_seg_size, 0
	.set _ZL36rocblas_hemvn_kernel_lower_block_sumILi64EldPKPddEviT1_lS3_lT2_lT0_lPT3_i.uses_vcc, 1
	.set _ZL36rocblas_hemvn_kernel_lower_block_sumILi64EldPKPddEviT1_lS3_lT2_lT0_lPT3_i.uses_flat_scratch, 0
	.set _ZL36rocblas_hemvn_kernel_lower_block_sumILi64EldPKPddEviT1_lS3_lT2_lT0_lPT3_i.has_dyn_sized_stack, 0
	.set _ZL36rocblas_hemvn_kernel_lower_block_sumILi64EldPKPddEviT1_lS3_lT2_lT0_lPT3_i.has_recursion, 0
	.set _ZL36rocblas_hemvn_kernel_lower_block_sumILi64EldPKPddEviT1_lS3_lT2_lT0_lPT3_i.has_indirect_call, 0
	.section	.AMDGPU.csdata,"",@progbits
; Kernel info:
; codeLenInByte = 684
; TotalNumSgprs: 26
; NumVgprs: 9
; ScratchSize: 0
; MemoryBound: 0
; FloatMode: 240
; IeeeMode: 1
; LDSByteSize: 0 bytes/workgroup (compile time only)
; SGPRBlocks: 3
; VGPRBlocks: 2
; NumSGPRsForWavesPerEU: 26
; NumVGPRsForWavesPerEU: 9
; Occupancy: 10
; WaveLimiterHint : 1
; COMPUTE_PGM_RSRC2:SCRATCH_EN: 0
; COMPUTE_PGM_RSRC2:USER_SGPR: 6
; COMPUTE_PGM_RSRC2:TRAP_HANDLER: 0
; COMPUTE_PGM_RSRC2:TGID_X_EN: 1
; COMPUTE_PGM_RSRC2:TGID_Y_EN: 0
; COMPUTE_PGM_RSRC2:TGID_Z_EN: 1
; COMPUTE_PGM_RSRC2:TIDIG_COMP_CNT: 0
	.section	.text._ZL26rocblas_hemvn_kernel_lowerILb0ELi64ELi4ELi33ELi32ELi16EidPKPKdPdEviT6_lT7_lT5_lS6_lS7_lS5_lT8_i,"axG",@progbits,_ZL26rocblas_hemvn_kernel_lowerILb0ELi64ELi4ELi33ELi32ELi16EidPKPKdPdEviT6_lT7_lT5_lS6_lS7_lS5_lT8_i,comdat
	.globl	_ZL26rocblas_hemvn_kernel_lowerILb0ELi64ELi4ELi33ELi32ELi16EidPKPKdPdEviT6_lT7_lT5_lS6_lS7_lS5_lT8_i ; -- Begin function _ZL26rocblas_hemvn_kernel_lowerILb0ELi64ELi4ELi33ELi32ELi16EidPKPKdPdEviT6_lT7_lT5_lS6_lS7_lS5_lT8_i
	.p2align	8
	.type	_ZL26rocblas_hemvn_kernel_lowerILb0ELi64ELi4ELi33ELi32ELi16EidPKPKdPdEviT6_lT7_lT5_lS6_lS7_lS5_lT8_i,@function
_ZL26rocblas_hemvn_kernel_lowerILb0ELi64ELi4ELi33ELi32ELi16EidPKPKdPdEviT6_lT7_lT5_lS6_lS7_lS5_lT8_i: ; @_ZL26rocblas_hemvn_kernel_lowerILb0ELi64ELi4ELi33ELi32ELi16EidPKPKdPdEviT6_lT7_lT5_lS6_lS7_lS5_lT8_i
; %bb.0:
	s_load_dwordx2 s[2:3], s[4:5], 0x84
	s_add_u32 s0, s4, 0x78
	s_mov_b32 s22, s7
	s_addc_u32 s1, s5, 0
	s_waitcnt lgkmcnt(0)
	s_lshr_b32 s7, s2, 16
	s_and_b32 s2, s2, 0xffff
	s_and_b32 s3, s3, 0xffff
	s_mul_i32 s2, s7, s2
	s_mul_i32 s2, s2, s3
	s_cmpk_lg_i32 s2, 0x100
	s_cbranch_scc1 .LBB178_80
; %bb.1:
	s_load_dwordx2 s[2:3], s[4:5], 0x8
	s_load_dwordx2 s[10:11], s[4:5], 0x58
	s_waitcnt lgkmcnt(0)
	v_cmp_eq_f64_e64 s[8:9], s[2:3], 0
	v_cmp_eq_f64_e64 s[2:3], s[10:11], 1.0
	s_and_b64 s[2:3], s[8:9], s[2:3]
	s_and_b64 vcc, exec, s[2:3]
	s_cbranch_vccnz .LBB178_80
; %bb.2:
	v_mov_b32_e32 v2, v1
	s_mov_b64 s[2:3], 0
	s_and_b64 vcc, exec, s[8:9]
	s_cbranch_vccnz .LBB178_4
; %bb.3:
	s_mov_b64 s[2:3], -1
.LBB178_4:
	s_andn2_b64 vcc, exec, s[2:3]
	s_cbranch_vccnz .LBB178_80
; %bb.5:
	s_load_dwordx4 s[8:11], s[4:5], 0x18
	s_load_dwordx4 s[12:15], s[4:5], 0x38
	s_load_dword s7, s[4:5], 0x48
	s_mov_b32 s23, 0
	s_lshl_b64 s[2:3], s[22:23], 3
	s_waitcnt lgkmcnt(0)
	s_add_u32 s16, s8, s2
	s_addc_u32 s17, s9, s3
	s_add_u32 s2, s12, s2
	s_addc_u32 s3, s13, s3
	s_load_dwordx2 s[12:13], s[2:3], 0x0
	s_load_dword s23, s[4:5], 0x0
	s_load_dword s33, s[0:1], 0x0
	s_load_dwordx2 s[8:9], s[16:17], 0x0
	s_lshl_b64 s[0:1], s[14:15], 3
	s_waitcnt lgkmcnt(0)
	s_add_u32 s0, s12, s0
	s_addc_u32 s1, s13, s1
	s_lshl_b32 s28, s6, 6
	v_add_u32_e32 v35, s28, v0
	v_mul_lo_u32 v3, s7, v35
	s_ashr_i32 s42, s23, 31
	s_lshr_b32 s3, s42, 26
	s_add_i32 s3, s23, s3
	v_ashrrev_i32_e32 v4, 31, v3
	s_andn2_b32 s3, s3, 63
	v_lshlrev_b64 v[3:4], 3, v[3:4]
	s_add_i32 s2, s33, -1
	s_sub_i32 s3, s23, s3
	s_cmp_eq_u32 s6, s2
	v_mov_b32_e32 v1, s1
	v_add_co_u32_e32 v19, vcc, s0, v3
	s_cselect_b32 s26, s3, 0
	v_addc_co_u32_e32 v20, vcc, v1, v4, vcc
	v_cmp_ne_u32_e64 s[0:1], 0, v2
	v_cmp_eq_u32_e64 s[2:3], 0, v2
	s_and_saveexec_b64 s[12:13], s[2:3]
	s_cbranch_execz .LBB178_9
; %bb.6:
	s_cmp_eq_u32 s26, 0
	s_cselect_b64 s[14:15], -1, 0
	v_cmp_gt_i32_e32 vcc, s26, v0
	v_mov_b32_e32 v3, 0
	v_mov_b32_e32 v4, 0
	s_or_b64 s[16:17], s[14:15], vcc
	s_and_saveexec_b64 s[14:15], s[16:17]
	s_cbranch_execz .LBB178_8
; %bb.7:
	flat_load_dwordx2 v[3:4], v[19:20]
.LBB178_8:
	s_or_b64 exec, exec, s[14:15]
	v_lshlrev_b32_e32 v1, 3, v0
	s_waitcnt vmcnt(0) lgkmcnt(0)
	ds_write_b64 v1, v[3:4] offset:9088
.LBB178_9:
	s_or_b64 exec, exec, s[12:13]
	s_load_dword s24, s[4:5], 0x28
	s_lshl_b64 s[10:11], s[10:11], 3
	v_lshl_add_u32 v25, v2, 6, v0
	s_add_u32 s10, s8, s10
	v_and_b32_e32 v1, 31, v0
	v_lshrrev_b32_e32 v11, 5, v25
	s_addc_u32 s11, s9, s11
	s_waitcnt lgkmcnt(0)
	v_mad_u64_u32 v[3:4], s[8:9], s24, v11, v[1:2]
	s_ashr_i32 s29, s28, 31
	s_lshl_b64 s[8:9], s[28:29], 3
	v_ashrrev_i32_e32 v4, 31, v3
	v_lshlrev_b64 v[21:22], 3, v[3:4]
	s_add_u32 s8, s10, s8
	s_addc_u32 s9, s11, s9
	v_add_co_u32_e32 v4, vcc, s8, v21
	s_mul_i32 s8, s24, s28
	v_mov_b32_e32 v3, s9
	s_ashr_i32 s9, s8, 31
	v_addc_co_u32_e32 v5, vcc, v3, v22, vcc
	s_lshl_b64 s[30:31], s[8:9], 3
	v_mov_b32_e32 v6, s31
	v_add_co_u32_e32 v3, vcc, s30, v4
	s_cmp_lg_u32 s26, 0
	v_addc_co_u32_e32 v4, vcc, v5, v6, vcc
	s_cselect_b64 s[34:35], -1, 0
	s_cmp_eq_u32 s26, 0
	s_cselect_b64 s[18:19], -1, 0
	s_mov_b64 s[8:9], -1
	s_and_b64 vcc, exec, s[34:35]
	s_cbranch_vccnz .LBB178_11
; %bb.10:
	s_lshl_b32 s8, s24, 3
	s_ashr_i32 s9, s8, 31
	s_lshl_b64 s[8:9], s[8:9], 3
	v_mov_b32_e32 v6, s9
	v_add_co_u32_e32 v5, vcc, s8, v3
	s_ashr_i32 s25, s24, 31
	v_addc_co_u32_e32 v6, vcc, v4, v6, vcc
	s_lshl_b64 s[8:9], s[24:25], 6
	v_mov_b32_e32 v10, s9
	v_add_co_u32_e32 v7, vcc, s8, v5
	v_addc_co_u32_e32 v8, vcc, v6, v10, vcc
	v_add_co_u32_e32 v9, vcc, s8, v7
	v_addc_co_u32_e32 v10, vcc, v8, v10, vcc
	flat_load_dwordx2 v[12:13], v[3:4]
	flat_load_dwordx2 v[14:15], v[5:6]
	;; [unrolled: 1-line block ×4, first 2 shown]
	v_mul_u32_u24_e32 v5, 0x108, v11
	v_lshl_add_u32 v5, v1, 3, v5
	s_mov_b64 s[8:9], 0
	s_waitcnt vmcnt(0) lgkmcnt(0)
	ds_write_b64 v5, v[12:13]
	ds_write_b64 v5, v[14:15] offset:2112
	ds_write_b64 v5, v[16:17] offset:4224
	;; [unrolled: 1-line block ×3, first 2 shown]
.LBB178_11:
	s_andn2_b64 vcc, exec, s[8:9]
	v_lshlrev_b32_e32 v12, 3, v1
	s_cbranch_vccnz .LBB178_21
; %bb.12:
	v_sub_co_u32_e32 v5, vcc, v3, v12
	s_ashr_i32 s27, s26, 31
	v_subbrev_co_u32_e32 v6, vcc, 0, v4, vcc
	s_lshl_b64 s[10:11], s[26:27], 3
	v_mov_b32_e32 v7, s11
	v_add_co_u32_e32 v5, vcc, s10, v5
	v_addc_co_u32_e32 v6, vcc, v6, v7, vcc
	v_add_co_u32_e32 v5, vcc, -8, v5
	v_addc_co_u32_e32 v6, vcc, -1, v6, vcc
	v_cmp_gt_i32_e32 vcc, s26, v1
	v_mov_b32_e32 v7, 0
	v_mov_b32_e32 v9, 0
	v_cndmask_b32_e32 v6, v6, v4, vcc
	v_cndmask_b32_e32 v5, v5, v3, vcc
	v_mov_b32_e32 v8, 0
	v_mov_b32_e32 v10, 0
	v_cmp_gt_i32_e64 s[8:9], s26, v11
	s_and_saveexec_b64 s[12:13], s[8:9]
	s_cbranch_execz .LBB178_14
; %bb.13:
	flat_load_dwordx2 v[9:10], v[5:6]
.LBB178_14:
	s_or_b64 exec, exec, s[12:13]
	s_movk_i32 s8, 0x108
	v_mad_u32_u24 v14, v11, s8, v12
	s_waitcnt vmcnt(0) lgkmcnt(0)
	ds_write_b64 v14, v[9:10]
	v_add_u32_e32 v9, 8, v11
	v_mul_u32_u24_e32 v13, 0x108, v11
	v_cmp_gt_i32_e64 s[8:9], s26, v9
	s_and_saveexec_b64 s[12:13], s[8:9]
	s_cbranch_execz .LBB178_16
; %bb.15:
	s_lshl_b32 s8, s24, 3
	s_ashr_i32 s9, s8, 31
	s_lshl_b64 s[8:9], s[8:9], 3
	v_mov_b32_e32 v8, s9
	v_add_co_u32_e64 v7, s[8:9], s8, v5
	v_addc_co_u32_e64 v8, s[8:9], v6, v8, s[8:9]
	flat_load_dwordx2 v[7:8], v[7:8]
.LBB178_16:
	s_or_b64 exec, exec, s[12:13]
	v_add_u32_e32 v13, v13, v12
	s_waitcnt vmcnt(0) lgkmcnt(0)
	ds_write_b64 v13, v[7:8] offset:2112
	v_add_u32_e32 v14, 16, v11
	v_mov_b32_e32 v7, 0
	v_mov_b32_e32 v9, 0
	;; [unrolled: 1-line block ×4, first 2 shown]
	v_cmp_gt_i32_e64 s[8:9], s26, v14
	s_and_saveexec_b64 s[12:13], s[8:9]
	s_cbranch_execz .LBB178_18
; %bb.17:
	s_lshl_b32 s8, s24, 4
	s_ashr_i32 s9, s8, 31
	s_lshl_b64 s[8:9], s[8:9], 3
	v_mov_b32_e32 v10, s9
	v_add_co_u32_e64 v9, s[8:9], s8, v5
	v_addc_co_u32_e64 v10, s[8:9], v6, v10, s[8:9]
	flat_load_dwordx2 v[9:10], v[9:10]
.LBB178_18:
	s_or_b64 exec, exec, s[12:13]
	s_waitcnt vmcnt(0) lgkmcnt(0)
	ds_write_b64 v13, v[9:10] offset:4224
	v_add_u32_e32 v9, 24, v11
	v_cmp_gt_i32_e64 s[8:9], s26, v9
	s_and_saveexec_b64 s[12:13], s[8:9]
	s_cbranch_execz .LBB178_20
; %bb.19:
	s_mul_i32 s8, s24, 24
	s_ashr_i32 s9, s8, 31
	s_lshl_b64 s[8:9], s[8:9], 3
	v_mov_b32_e32 v8, s9
	v_add_co_u32_e64 v7, s[8:9], s8, v5
	v_addc_co_u32_e64 v8, s[8:9], v6, v8, s[8:9]
	flat_load_dwordx2 v[7:8], v[7:8]
.LBB178_20:
	s_or_b64 exec, exec, s[12:13]
	v_add_co_u32_e64 v5, s[8:9], v5, v12
	v_addc_co_u32_e64 v6, s[8:9], 0, v6, s[8:9]
	s_waitcnt vmcnt(0) lgkmcnt(0)
	ds_write_b64 v13, v[7:8] offset:6336
	v_mov_b32_e32 v7, s11
	v_subrev_co_u32_e64 v5, s[8:9], s10, v5
	v_subb_co_u32_e64 v6, s[8:9], v6, v7, s[8:9]
	v_add_co_u32_e64 v5, s[8:9], 8, v5
	v_addc_co_u32_e64 v6, s[8:9], 0, v6, s[8:9]
	v_cndmask_b32_e32 v4, v6, v4, vcc
	v_cndmask_b32_e32 v3, v5, v3, vcc
.LBB178_21:
	v_lshlrev_b32_e32 v9, 2, v11
	v_lshl_or_b32 v5, v1, 8, v12
	v_cmp_lt_u32_e64 s[8:9], v9, v1
	s_waitcnt lgkmcnt(0)
	s_barrier
	s_and_saveexec_b64 s[10:11], s[8:9]
	s_cbranch_execz .LBB178_23
; %bb.22:
	s_movk_i32 s12, 0x420
	v_mad_u32_u24 v6, v11, s12, v12
	ds_read_b64 v[6:7], v6
	v_lshl_add_u32 v8, v9, 3, v5
	s_waitcnt lgkmcnt(0)
	ds_write_b64 v8, v[6:7]
.LBB178_23:
	s_or_b64 exec, exec, s[10:11]
	v_or_b32_e32 v13, 1, v9
	v_cmp_lt_u32_e64 s[10:11], v13, v1
	s_and_saveexec_b64 s[12:13], s[10:11]
	s_cbranch_execz .LBB178_25
; %bb.24:
	s_movk_i32 s14, 0x108
	v_mad_u32_u24 v6, v13, s14, v12
	ds_read_b64 v[6:7], v6
	v_lshl_add_u32 v8, v9, 3, v5
	s_waitcnt lgkmcnt(0)
	ds_write_b64 v8, v[6:7] offset:8
.LBB178_25:
	s_or_b64 exec, exec, s[12:13]
	v_or_b32_e32 v6, 2, v9
	v_cmp_lt_u32_e64 s[12:13], v6, v1
	s_and_saveexec_b64 s[14:15], s[12:13]
	s_cbranch_execz .LBB178_27
; %bb.26:
	s_movk_i32 s16, 0x108
	v_mad_u32_u24 v6, v6, s16, v12
	ds_read_b64 v[6:7], v6
	v_lshl_add_u32 v8, v9, 3, v5
	s_waitcnt lgkmcnt(0)
	ds_write_b64 v8, v[6:7] offset:16
.LBB178_27:
	s_or_b64 exec, exec, s[14:15]
	v_or_b32_e32 v7, 3, v9
	v_cmp_lt_u32_e64 s[14:15], v7, v1
	v_cmp_ge_u32_e32 vcc, v7, v1
                                        ; implicit-def: $vgpr6
	s_and_saveexec_b64 s[16:17], vcc
	s_xor_b64 s[16:17], exec, s[16:17]
; %bb.28:
	v_mul_u32_u24_e32 v6, 0x108, v7
                                        ; implicit-def: $vgpr5
                                        ; implicit-def: $vgpr7
; %bb.29:
	s_andn2_saveexec_b64 s[16:17], s[16:17]
	s_cbranch_execz .LBB178_31
; %bb.30:
	s_movk_i32 s20, 0x108
	v_mad_u32_u24 v6, v7, s20, v12
	ds_read_b64 v[14:15], v6
	v_lshl_add_u32 v5, v9, 3, v5
	v_mul_u32_u24_e32 v6, 0x108, v7
	s_waitcnt lgkmcnt(0)
	ds_write_b64 v5, v[14:15] offset:24
.LBB178_31:
	s_or_b64 exec, exec, s[16:17]
	s_movk_i32 s16, 0x420
	v_mad_u32_u24 v5, v11, s16, v12
	s_waitcnt lgkmcnt(0)
	s_barrier
	v_lshlrev_b32_e32 v10, 3, v9
	ds_read_b64 v[7:8], v5
	ds_read_b128 v[14:17], v10 offset:9088
	s_movk_i32 s16, 0x108
	v_mad_u32_u24 v5, v13, s16, v12
	ds_read2_b64 v[26:29], v5 offset1:33
	v_mov_b32_e32 v36, 0
	s_waitcnt lgkmcnt(1)
	v_fma_f64 v[7:8], v[7:8], v[14:15], 0
	v_add_u32_e32 v14, v12, v6
	v_mov_b32_e32 v37, 0
	v_cmp_gt_u32_e64 s[20:21], 32, v25
	ds_read_b64 v[5:6], v14
	s_waitcnt lgkmcnt(1)
	v_fma_f64 v[7:8], v[26:27], v[16:17], v[7:8]
	ds_read_b128 v[15:18], v10 offset:9104
	s_waitcnt lgkmcnt(0)
	s_barrier
	v_fma_f64 v[7:8], v[28:29], v[15:16], v[7:8]
	v_fma_f64 v[5:6], v[5:6], v[17:18], v[7:8]
	v_mul_u32_u24_e32 v7, 33, v1
	v_lshlrev_b32_e32 v26, 3, v7
	v_lshl_add_u32 v27, v11, 3, v26
	ds_write_b64 v27, v[5:6]
	s_waitcnt lgkmcnt(0)
	s_barrier
	s_and_saveexec_b64 s[16:17], s[20:21]
	s_cbranch_execz .LBB178_33
; %bb.32:
	ds_read2_b64 v[5:8], v26 offset1:1
	ds_read2_b64 v[15:18], v26 offset0:2 offset1:3
	s_waitcnt lgkmcnt(1)
	v_add_f64 v[5:6], v[5:6], v[7:8]
	s_waitcnt lgkmcnt(0)
	v_add_f64 v[5:6], v[5:6], v[15:16]
	v_add_f64 v[23:24], v[5:6], v[17:18]
	ds_read2_b64 v[5:8], v26 offset0:4 offset1:5
	ds_read2_b64 v[15:18], v26 offset0:6 offset1:7
	s_waitcnt lgkmcnt(1)
	v_add_f64 v[5:6], v[23:24], v[5:6]
	v_add_f64 v[5:6], v[5:6], v[7:8]
	s_waitcnt lgkmcnt(0)
	v_add_f64 v[5:6], v[5:6], v[15:16]
	v_add_f64 v[36:37], v[5:6], v[17:18]
.LBB178_33:
	s_or_b64 exec, exec, s[16:17]
	s_lshl_b32 s16, s24, 5
	s_ashr_i32 s17, s16, 31
	s_lshl_b64 s[36:37], s[16:17], 3
	v_mov_b32_e32 v5, s37
	v_add_co_u32_e32 v3, vcc, s36, v3
	v_addc_co_u32_e32 v4, vcc, v4, v5, vcc
	v_add_co_u32_e32 v15, vcc, 0x100, v3
	v_addc_co_u32_e32 v16, vcc, 0, v4, vcc
	v_cndmask_b32_e64 v5, 0, 1, s[18:19]
	v_cmp_ne_u32_e64 s[16:17], 1, v5
	s_andn2_b64 vcc, exec, s[18:19]
	s_mov_b64 s[18:19], -1
	s_barrier
	s_cbranch_vccnz .LBB178_35
; %bb.34:
	s_lshl_b32 s18, s24, 3
	s_ashr_i32 s19, s18, 31
	s_lshl_b64 s[18:19], s[18:19], 3
	v_mov_b32_e32 v6, s19
	v_add_co_u32_e32 v5, vcc, s18, v3
	s_ashr_i32 s25, s24, 31
	v_addc_co_u32_e32 v6, vcc, v4, v6, vcc
	s_lshl_b64 s[18:19], s[24:25], 6
	v_mov_b32_e32 v18, s19
	v_add_co_u32_e32 v7, vcc, s18, v5
	v_addc_co_u32_e32 v8, vcc, v6, v18, vcc
	v_add_co_u32_e32 v17, vcc, s18, v7
	v_addc_co_u32_e32 v18, vcc, v8, v18, vcc
	flat_load_dwordx2 v[23:24], v[3:4] offset:256
	flat_load_dwordx2 v[28:29], v[5:6] offset:256
	;; [unrolled: 1-line block ×4, first 2 shown]
	s_movk_i32 s18, 0x108
	v_mad_u32_u24 v5, v11, s18, v12
	s_mov_b64 s[18:19], 0
	s_waitcnt vmcnt(0) lgkmcnt(0)
	ds_write_b64 v5, v[23:24]
	ds_write_b64 v5, v[28:29] offset:2112
	ds_write_b64 v5, v[30:31] offset:4224
	;; [unrolled: 1-line block ×3, first 2 shown]
.LBB178_35:
	s_andn2_b64 vcc, exec, s[18:19]
	s_cbranch_vccnz .LBB178_45
; %bb.36:
	v_sub_co_u32_e32 v3, vcc, v3, v12
	s_ashr_i32 s27, s26, 31
	v_subbrev_co_u32_e32 v4, vcc, 0, v4, vcc
	s_lshl_b64 s[38:39], s[26:27], 3
	v_mov_b32_e32 v6, s39
	v_add_co_u32_e32 v3, vcc, s38, v3
	v_addc_co_u32_e32 v4, vcc, v4, v6, vcc
	v_or_b32_e32 v5, 32, v1
	v_add_co_u32_e32 v3, vcc, -8, v3
	v_addc_co_u32_e32 v4, vcc, -1, v4, vcc
	v_cmp_gt_i32_e64 s[18:19], s26, v5
	s_sub_i32 s25, s26, 32
	v_mov_b32_e32 v5, 0
	v_mov_b32_e32 v7, 0
	v_cndmask_b32_e64 v4, v4, v16, s[18:19]
	v_cndmask_b32_e64 v3, v3, v15, s[18:19]
	v_mov_b32_e32 v6, 0
	v_mov_b32_e32 v8, 0
	v_cmp_gt_i32_e32 vcc, s25, v11
	s_and_saveexec_b64 s[40:41], vcc
	s_cbranch_execz .LBB178_38
; %bb.37:
	flat_load_dwordx2 v[7:8], v[3:4]
.LBB178_38:
	s_or_b64 exec, exec, s[40:41]
	s_movk_i32 s27, 0x108
	v_mad_u32_u24 v18, v11, s27, v12
	s_waitcnt vmcnt(0) lgkmcnt(0)
	ds_write_b64 v18, v[7:8]
	v_add_u32_e32 v7, 8, v11
	v_mul_u32_u24_e32 v17, 0x108, v11
	v_cmp_gt_i32_e32 vcc, s25, v7
	s_and_saveexec_b64 s[40:41], vcc
	s_cbranch_execz .LBB178_40
; %bb.39:
	s_lshl_b32 s44, s24, 3
	s_ashr_i32 s45, s44, 31
	s_lshl_b64 s[44:45], s[44:45], 3
	v_mov_b32_e32 v6, s45
	v_add_co_u32_e32 v5, vcc, s44, v3
	v_addc_co_u32_e32 v6, vcc, v4, v6, vcc
	flat_load_dwordx2 v[5:6], v[5:6]
.LBB178_40:
	s_or_b64 exec, exec, s[40:41]
	v_add_u32_e32 v17, v17, v12
	s_waitcnt vmcnt(0) lgkmcnt(0)
	ds_write_b64 v17, v[5:6] offset:2112
	v_add_u32_e32 v18, 16, v11
	v_mov_b32_e32 v5, 0
	v_mov_b32_e32 v7, 0
	;; [unrolled: 1-line block ×4, first 2 shown]
	v_cmp_gt_i32_e32 vcc, s25, v18
	s_and_saveexec_b64 s[40:41], vcc
	s_cbranch_execz .LBB178_42
; %bb.41:
	s_lshl_b32 s44, s24, 4
	s_ashr_i32 s45, s44, 31
	s_lshl_b64 s[44:45], s[44:45], 3
	v_mov_b32_e32 v8, s45
	v_add_co_u32_e32 v7, vcc, s44, v3
	v_addc_co_u32_e32 v8, vcc, v4, v8, vcc
	flat_load_dwordx2 v[7:8], v[7:8]
.LBB178_42:
	s_or_b64 exec, exec, s[40:41]
	s_waitcnt vmcnt(0) lgkmcnt(0)
	ds_write_b64 v17, v[7:8] offset:4224
	v_add_u32_e32 v7, 24, v11
	v_cmp_gt_i32_e32 vcc, s25, v7
	s_and_saveexec_b64 s[40:41], vcc
	s_cbranch_execz .LBB178_44
; %bb.43:
	s_mul_i32 s44, s24, 24
	s_ashr_i32 s45, s44, 31
	s_lshl_b64 s[44:45], s[44:45], 3
	v_mov_b32_e32 v6, s45
	v_add_co_u32_e32 v5, vcc, s44, v3
	v_addc_co_u32_e32 v6, vcc, v4, v6, vcc
	flat_load_dwordx2 v[5:6], v[5:6]
.LBB178_44:
	s_or_b64 exec, exec, s[40:41]
	v_add_co_u32_e32 v3, vcc, v3, v12
	v_addc_co_u32_e32 v4, vcc, 0, v4, vcc
	s_waitcnt vmcnt(0) lgkmcnt(0)
	ds_write_b64 v17, v[5:6] offset:6336
	v_mov_b32_e32 v5, s39
	v_subrev_co_u32_e32 v3, vcc, s38, v3
	v_subb_co_u32_e32 v4, vcc, v4, v5, vcc
	v_add_co_u32_e32 v3, vcc, 0x108, v3
	v_addc_co_u32_e32 v4, vcc, 0, v4, vcc
	v_cndmask_b32_e64 v16, v4, v16, s[18:19]
	v_cndmask_b32_e64 v15, v3, v15, s[18:19]
.LBB178_45:
	v_mul_u32_u24_e32 v4, 0x420, v11
	v_add_u32_e32 v10, 0x2380, v10
	v_mul_u32_u24_e32 v3, 0x108, v13
	v_add_u32_e32 v4, v12, v4
	s_waitcnt lgkmcnt(0)
	s_barrier
	s_and_saveexec_b64 s[18:19], s[8:9]
	s_cbranch_execnz .LBB178_54
; %bb.46:
	s_or_b64 exec, exec, s[18:19]
	v_add_u32_e32 v3, v12, v3
	s_and_saveexec_b64 s[8:9], s[10:11]
	s_cbranch_execnz .LBB178_55
.LBB178_47:
	s_or_b64 exec, exec, s[8:9]
	s_and_saveexec_b64 s[8:9], s[12:13]
	s_cbranch_execnz .LBB178_56
.LBB178_48:
	s_or_b64 exec, exec, s[8:9]
	s_and_saveexec_b64 s[8:9], s[14:15]
	s_cbranch_execz .LBB178_50
.LBB178_49:
	ds_read_b64 v[5:6], v14
	v_lshl_add_u32 v7, v9, 3, v26
	s_waitcnt lgkmcnt(0)
	ds_write_b64 v7, v[5:6] offset:24
.LBB178_50:
	s_or_b64 exec, exec, s[8:9]
	s_waitcnt lgkmcnt(0)
	s_barrier
	ds_read_b64 v[17:18], v4
	ds_read_b128 v[4:7], v10 offset:256
	ds_read_b128 v[28:31], v10 offset:272
	ds_read_b64 v[13:14], v14
	ds_read2_b64 v[38:41], v3 offset1:33
	v_cmp_eq_u32_e64 s[8:9], 1, v11
	s_waitcnt lgkmcnt(3)
	v_fma_f64 v[4:5], v[17:18], v[4:5], 0
	s_waitcnt lgkmcnt(0)
	s_barrier
	v_fma_f64 v[3:4], v[38:39], v[6:7], v[4:5]
	v_fma_f64 v[3:4], v[40:41], v[28:29], v[3:4]
	;; [unrolled: 1-line block ×3, first 2 shown]
	ds_write_b64 v27, v[3:4]
	s_waitcnt lgkmcnt(0)
	s_barrier
	s_and_saveexec_b64 s[10:11], s[8:9]
	s_cbranch_execz .LBB178_52
; %bb.51:
	ds_read2_b64 v[3:6], v26 offset1:1
	ds_read2_b64 v[28:31], v26 offset0:2 offset1:3
	s_waitcnt lgkmcnt(1)
	v_add_f64 v[3:4], v[3:4], v[5:6]
	s_waitcnt lgkmcnt(0)
	v_add_f64 v[3:4], v[3:4], v[28:29]
	v_add_f64 v[7:8], v[3:4], v[30:31]
	ds_read2_b64 v[3:6], v26 offset0:4 offset1:5
	ds_read2_b64 v[28:31], v26 offset0:6 offset1:7
	s_waitcnt lgkmcnt(1)
	v_add_f64 v[3:4], v[7:8], v[3:4]
	v_add_f64 v[3:4], v[3:4], v[5:6]
	s_waitcnt lgkmcnt(0)
	v_add_f64 v[3:4], v[3:4], v[28:29]
	v_add_f64 v[36:37], v[3:4], v[30:31]
.LBB178_52:
	s_or_b64 exec, exec, s[10:11]
	v_mov_b32_e32 v3, s37
	v_subrev_co_u32_e64 v23, s[10:11], s36, v15
	s_and_b64 vcc, exec, s[16:17]
	v_subb_co_u32_e64 v24, s[10:11], v16, v3, s[10:11]
	s_barrier
	s_cbranch_vccnz .LBB178_57
; %bb.53:
	s_lshl_b32 s10, s24, 3
	s_ashr_i32 s11, s10, 31
	s_lshl_b64 s[10:11], s[10:11], 3
	v_mov_b32_e32 v4, s11
	v_add_co_u32_e32 v3, vcc, s10, v23
	s_ashr_i32 s25, s24, 31
	v_addc_co_u32_e32 v4, vcc, v24, v4, vcc
	s_lshl_b64 s[10:11], s[24:25], 6
	v_mov_b32_e32 v8, s11
	v_add_co_u32_e32 v5, vcc, s10, v3
	v_addc_co_u32_e32 v6, vcc, v4, v8, vcc
	v_add_co_u32_e32 v7, vcc, s10, v5
	v_addc_co_u32_e32 v8, vcc, v6, v8, vcc
	flat_load_dwordx2 v[28:29], v[23:24]
	flat_load_dwordx2 v[30:31], v[3:4]
	;; [unrolled: 1-line block ×4, first 2 shown]
	s_movk_i32 s10, 0x108
	v_mov_b32_e32 v3, 0x840
	v_mov_b32_e32 v4, 0x1080
	;; [unrolled: 1-line block ×3, first 2 shown]
	v_mul_u32_u24_e32 v14, 0x108, v11
	v_add_u32_e32 v13, 8, v11
	v_add_u32_e32 v15, 16, v11
	v_add_u32_e32 v7, 24, v11
	v_mad_u32_u24 v6, v11, s10, v12
	v_mad_u32_u24 v16, v11, s10, v3
	;; [unrolled: 1-line block ×4, first 2 shown]
	v_add_u32_e32 v3, v12, v16
	v_add_u32_e32 v4, v12, v17
	;; [unrolled: 1-line block ×3, first 2 shown]
	s_waitcnt vmcnt(0) lgkmcnt(0)
	ds_write_b64 v6, v[28:29]
	ds_write_b64 v3, v[30:31]
	ds_write_b64 v4, v[32:33]
	ds_write_b64 v5, v[38:39]
	s_cbranch_execz .LBB178_58
	s_branch .LBB178_67
.LBB178_54:
	ds_read_b64 v[5:6], v4
	v_lshl_add_u32 v7, v9, 3, v26
	s_waitcnt lgkmcnt(0)
	ds_write_b64 v7, v[5:6]
	s_or_b64 exec, exec, s[18:19]
	v_add_u32_e32 v3, v12, v3
	s_and_saveexec_b64 s[8:9], s[10:11]
	s_cbranch_execz .LBB178_47
.LBB178_55:
	ds_read_b64 v[5:6], v3
	v_lshl_add_u32 v7, v9, 3, v26
	s_waitcnt lgkmcnt(0)
	ds_write_b64 v7, v[5:6] offset:8
	s_or_b64 exec, exec, s[8:9]
	s_and_saveexec_b64 s[8:9], s[12:13]
	s_cbranch_execz .LBB178_48
.LBB178_56:
	ds_read_b64 v[5:6], v3 offset:264
	v_lshl_add_u32 v7, v9, 3, v26
	s_waitcnt lgkmcnt(0)
	ds_write_b64 v7, v[5:6] offset:16
	s_or_b64 exec, exec, s[8:9]
	s_and_saveexec_b64 s[8:9], s[14:15]
	s_cbranch_execnz .LBB178_49
	s_branch .LBB178_50
.LBB178_57:
                                        ; implicit-def: $vgpr14
                                        ; implicit-def: $vgpr13
                                        ; implicit-def: $vgpr16
                                        ; implicit-def: $vgpr15
                                        ; implicit-def: $vgpr17
                                        ; implicit-def: $vgpr7
                                        ; implicit-def: $vgpr8
.LBB178_58:
	v_or_b32_e32 v1, 32, v1
	v_lshlrev_b32_e32 v3, 3, v1
	v_sub_co_u32_e32 v3, vcc, v23, v3
	s_ashr_i32 s27, s26, 31
	v_subbrev_co_u32_e32 v4, vcc, 0, v24, vcc
	s_lshl_b64 s[12:13], s[26:27], 3
	v_mov_b32_e32 v5, s13
	v_add_co_u32_e32 v3, vcc, s12, v3
	v_addc_co_u32_e32 v4, vcc, v4, v5, vcc
	v_add_co_u32_e32 v3, vcc, -8, v3
	v_addc_co_u32_e32 v4, vcc, -1, v4, vcc
	v_cmp_gt_i32_e64 s[10:11], s26, v1
	v_mov_b32_e32 v5, 0
	v_mov_b32_e32 v7, 0
	v_cndmask_b32_e64 v4, v4, v24, s[10:11]
	v_cndmask_b32_e64 v3, v3, v23, s[10:11]
	v_mov_b32_e32 v6, 0
	v_mov_b32_e32 v8, 0
	v_cmp_gt_i32_e32 vcc, s26, v11
	s_and_saveexec_b64 s[14:15], vcc
	s_cbranch_execz .LBB178_60
; %bb.59:
	flat_load_dwordx2 v[7:8], v[3:4]
.LBB178_60:
	s_or_b64 exec, exec, s[14:15]
	s_movk_i32 s14, 0x108
	v_add_u32_e32 v13, 8, v11
	v_mul_u32_u24_e32 v14, 0x108, v11
	v_mad_u32_u24 v1, v11, s14, v12
	v_cmp_gt_i32_e32 vcc, s26, v13
	s_waitcnt vmcnt(0) lgkmcnt(0)
	ds_write_b64 v1, v[7:8]
	s_and_saveexec_b64 s[14:15], vcc
	s_cbranch_execz .LBB178_62
; %bb.61:
	s_lshl_b32 s16, s24, 3
	s_ashr_i32 s17, s16, 31
	s_lshl_b64 s[16:17], s[16:17], 3
	v_mov_b32_e32 v1, s17
	v_add_co_u32_e32 v5, vcc, s16, v3
	v_addc_co_u32_e32 v6, vcc, v4, v1, vcc
	flat_load_dwordx2 v[5:6], v[5:6]
.LBB178_62:
	s_or_b64 exec, exec, s[14:15]
	v_add_u32_e32 v16, 0x840, v14
	v_add_u32_e32 v1, v12, v16
	s_waitcnt vmcnt(0) lgkmcnt(0)
	ds_write_b64 v1, v[5:6]
	v_add_u32_e32 v15, 16, v11
	v_mov_b32_e32 v5, 0
	v_mov_b32_e32 v7, 0
	v_mov_b32_e32 v6, 0
	v_mov_b32_e32 v8, 0
	v_cmp_gt_i32_e32 vcc, s26, v15
	s_and_saveexec_b64 s[14:15], vcc
	s_cbranch_execz .LBB178_64
; %bb.63:
	s_lshl_b32 s16, s24, 4
	s_ashr_i32 s17, s16, 31
	s_lshl_b64 s[16:17], s[16:17], 3
	v_mov_b32_e32 v1, s17
	v_add_co_u32_e32 v7, vcc, s16, v3
	v_addc_co_u32_e32 v8, vcc, v4, v1, vcc
	flat_load_dwordx2 v[7:8], v[7:8]
.LBB178_64:
	s_or_b64 exec, exec, s[14:15]
	v_add_u32_e32 v17, 0x840, v16
	v_add_u32_e32 v1, v12, v17
	s_waitcnt vmcnt(0) lgkmcnt(0)
	ds_write_b64 v1, v[7:8]
	v_add_u32_e32 v7, 24, v11
	v_cmp_gt_i32_e32 vcc, s26, v7
	s_and_saveexec_b64 s[14:15], vcc
	s_cbranch_execz .LBB178_66
; %bb.65:
	s_mul_i32 s16, s24, 24
	s_ashr_i32 s17, s16, 31
	s_lshl_b64 s[16:17], s[16:17], 3
	v_mov_b32_e32 v1, s17
	v_add_co_u32_e32 v5, vcc, s16, v3
	v_addc_co_u32_e32 v6, vcc, v4, v1, vcc
	flat_load_dwordx2 v[5:6], v[5:6]
.LBB178_66:
	s_or_b64 exec, exec, s[14:15]
	v_add_u32_e32 v8, 0x840, v17
	v_add_u32_e32 v1, v12, v8
	s_waitcnt vmcnt(0) lgkmcnt(0)
	ds_write_b64 v1, v[5:6]
	v_add_co_u32_e32 v1, vcc, v3, v12
	v_addc_co_u32_e32 v3, vcc, 0, v4, vcc
	v_mov_b32_e32 v4, s13
	v_subrev_co_u32_e32 v1, vcc, s12, v1
	v_subb_co_u32_e32 v3, vcc, v3, v4, vcc
	v_add_co_u32_e32 v1, vcc, 0x108, v1
	v_addc_co_u32_e32 v3, vcc, 0, v3, vcc
	v_cndmask_b32_e64 v24, v3, v24, s[10:11]
	v_cndmask_b32_e64 v23, v1, v23, s[10:11]
.LBB178_67:
	v_add_u32_e32 v1, v12, v14
	v_lshlrev_b32_e32 v5, 3, v11
	s_waitcnt lgkmcnt(0)
	s_barrier
	ds_read_b64 v[3:4], v1
	ds_read_b64 v[5:6], v5 offset:9088
	v_add_u32_e32 v1, v12, v16
	v_lshlrev_b32_e32 v11, 3, v13
	ds_read_b64 v[13:14], v1
	ds_read_b64 v[28:29], v11 offset:9088
	v_add_u32_e32 v1, v12, v17
	s_waitcnt lgkmcnt(2)
	v_fma_f64 v[3:4], v[3:4], v[5:6], 0
	v_lshlrev_b32_e32 v11, 3, v15
	s_waitcnt lgkmcnt(0)
	v_fma_f64 v[3:4], v[13:14], v[28:29], v[3:4]
	ds_read_b64 v[5:6], v1
	ds_read_b64 v[13:14], v11 offset:9088
	v_add_u32_e32 v1, v12, v8
	v_lshlrev_b32_e32 v11, 3, v7
	ds_read_b64 v[7:8], v1
	ds_read_b64 v[11:12], v11 offset:9088
	v_lshl_add_u32 v1, v9, 3, v26
	s_waitcnt lgkmcnt(2)
	v_fma_f64 v[3:4], v[5:6], v[13:14], v[3:4]
	s_waitcnt lgkmcnt(0)
	v_fma_f64 v[28:29], v[7:8], v[11:12], v[3:4]
	ds_read_b128 v[11:14], v10 offset:256
	ds_read_b128 v[3:6], v10 offset:272
	ds_read2_b64 v[15:18], v1 offset1:1
	ds_read2_b64 v[7:10], v1 offset0:2 offset1:3
	s_waitcnt lgkmcnt(0)
	s_barrier
	ds_write_b64 v27, v[28:29]
	s_waitcnt lgkmcnt(0)
	s_barrier
	s_and_saveexec_b64 s[10:11], s[8:9]
	s_cbranch_execz .LBB178_69
; %bb.68:
	ds_read2_b64 v[28:31], v26 offset1:1
	ds_read2_b64 v[38:41], v26 offset0:2 offset1:3
	s_waitcnt lgkmcnt(1)
	v_add_f64 v[28:29], v[36:37], v[28:29]
	v_add_f64 v[28:29], v[28:29], v[30:31]
	s_waitcnt lgkmcnt(0)
	v_add_f64 v[28:29], v[28:29], v[38:39]
	v_add_f64 v[32:33], v[28:29], v[40:41]
	ds_read2_b64 v[28:31], v26 offset0:4 offset1:5
	ds_read2_b64 v[36:39], v26 offset0:6 offset1:7
	s_waitcnt lgkmcnt(1)
	v_add_f64 v[28:29], v[32:33], v[28:29]
	v_add_f64 v[28:29], v[28:29], v[30:31]
	s_waitcnt lgkmcnt(0)
	v_add_f64 v[28:29], v[28:29], v[36:37]
	v_add_f64 v[36:37], v[28:29], v[38:39]
.LBB178_69:
	s_or_b64 exec, exec, s[10:11]
	v_fma_f64 v[11:12], v[15:16], v[11:12], 0
	s_barrier
	v_fma_f64 v[11:12], v[17:18], v[13:14], v[11:12]
	v_fma_f64 v[3:4], v[7:8], v[3:4], v[11:12]
	;; [unrolled: 1-line block ×3, first 2 shown]
	ds_write_b64 v27, v[3:4]
	s_waitcnt lgkmcnt(0)
	s_barrier
	s_and_saveexec_b64 s[8:9], s[20:21]
	s_cbranch_execz .LBB178_71
; %bb.70:
	ds_read2_b64 v[3:6], v26 offset1:1
	ds_read2_b64 v[7:10], v26 offset0:2 offset1:3
	s_waitcnt lgkmcnt(1)
	v_add_f64 v[3:4], v[36:37], v[3:4]
	v_add_f64 v[3:4], v[3:4], v[5:6]
	s_waitcnt lgkmcnt(0)
	v_add_f64 v[3:4], v[3:4], v[7:8]
	v_add_f64 v[11:12], v[3:4], v[9:10]
	ds_read2_b64 v[3:6], v26 offset0:4 offset1:5
	ds_read2_b64 v[7:10], v26 offset0:6 offset1:7
	s_waitcnt lgkmcnt(1)
	v_add_f64 v[3:4], v[11:12], v[3:4]
	v_add_f64 v[3:4], v[3:4], v[5:6]
	s_waitcnt lgkmcnt(0)
	v_add_f64 v[3:4], v[3:4], v[7:8]
	v_add_f64 v[36:37], v[3:4], v[9:10]
.LBB178_71:
	s_or_b64 exec, exec, s[8:9]
	s_load_dwordx2 s[4:5], s[4:5], 0x68
	s_mul_hi_u32 s8, s23, s22
	s_mul_i32 s42, s42, s22
	s_add_i32 s8, s8, s42
	s_mul_i32 s10, s23, s22
	s_mul_i32 s8, s8, s33
	s_mul_hi_u32 s9, s10, s33
	s_add_i32 s9, s9, s8
	s_mul_i32 s8, s10, s33
	s_lshl_b64 s[8:9], s[8:9], 3
	s_waitcnt lgkmcnt(0)
	s_add_u32 s8, s4, s8
	s_mul_i32 s4, s23, s6
	s_addc_u32 s9, s5, s9
	s_ashr_i32 s5, s4, 31
	s_lshl_b64 s[4:5], s[4:5], 3
	s_add_u32 s29, s8, s4
	v_cmp_le_i32_e32 vcc, s26, v0
	s_addc_u32 s33, s9, s5
	s_and_b64 s[4:5], s[34:35], vcc
	s_cmp_lt_i32 s6, 1
	v_lshlrev_b32_e32 v72, 3, v0
	s_barrier
	s_cbranch_scc1 .LBB178_78
; %bb.72:
	s_mul_i32 s8, s7, s28
	s_ashr_i32 s9, s8, 31
	s_lshl_b64 s[8:9], s[8:9], 3
	v_mov_b32_e32 v1, s9
	v_subrev_co_u32_e32 v73, vcc, s8, v19
	v_subb_co_u32_e32 v74, vcc, v20, v1, vcc
	v_mov_b32_e32 v1, s31
	v_subrev_co_u32_e32 v3, vcc, s30, v23
	v_mul_lo_u32 v4, v2, s24
	v_subb_co_u32_e32 v1, vcc, v24, v1, vcc
	v_add_co_u32_e32 v3, vcc, 0xffffff00, v3
	v_addc_co_u32_e32 v1, vcc, -1, v1, vcc
	v_sub_co_u32_e32 v7, vcc, v3, v21
	v_lshl_add_u32 v3, v4, 2, v0
	v_ashrrev_i32_e32 v4, 31, v3
	v_lshlrev_b64 v[3:4], 3, v[3:4]
	v_subb_co_u32_e32 v1, vcc, v1, v22, vcc
	v_add_co_u32_e32 v3, vcc, v7, v3
	v_addc_co_u32_e32 v4, vcc, v1, v4, vcc
	v_sub_co_u32_e32 v7, vcc, v3, v72
	s_ashr_i32 s27, s26, 31
	v_subbrev_co_u32_e32 v8, vcc, 0, v4, vcc
	s_lshl_b64 s[8:9], s[26:27], 3
	v_mov_b32_e32 v9, s9
	v_add_co_u32_e32 v7, vcc, s8, v7
	v_addc_co_u32_e32 v8, vcc, v8, v9, vcc
	v_add_co_u32_e32 v7, vcc, -8, v7
	v_addc_co_u32_e32 v8, vcc, -1, v8, vcc
	v_cndmask_b32_e64 v39, v4, v8, s[4:5]
	s_movk_i32 s8, 0x860
	v_and_b32_e32 v4, 48, v0
	v_lshrrev_b32_e32 v5, 4, v25
	v_and_b32_e32 v6, 15, v0
	v_cndmask_b32_e64 v38, v3, v7, s[4:5]
	v_mov_b32_e32 v3, 0x2180
	v_mad_u32_u24 v78, v2, s8, v72
	s_movk_i32 s8, 0x218
	v_lshlrev_b32_e32 v4, 3, v4
	v_lshl_add_u32 v76, v2, 5, v3
	v_lshlrev_b32_e32 v3, 5, v5
	v_mad_u32_u24 v80, v6, s8, v4
	v_or_b32_e32 v4, 0x78, v72
	s_ashr_i32 s25, s24, 31
	v_mad_u32_u24 v79, v6, s8, v3
	v_mul_i32_i24_e32 v3, 0xffffffe8, v5
	v_mad_u32_u24 v81, v6, s8, v4
	s_lshl_b64 s[16:17], s[24:25], 3
	s_lshl_b64 s[18:19], s[24:25], 4
	;; [unrolled: 1-line block ×3, first 2 shown]
	s_mul_hi_i32 s8, s24, 24
	s_lshl_b64 s[22:23], s[24:25], 7
	s_mul_hi_i32 s9, s24, 0x90
	s_mul_hi_i32 s10, s24, 0x98
	s_lshl_b64 s[26:27], s[24:25], 8
	s_mul_hi_i32 s11, s24, 0x110
	s_mul_hi_i32 s12, s24, 0x118
	s_mul_hi_i32 s13, s24, 0x180
	s_mul_hi_i32 s14, s24, 0x190
	s_mul_hi_i32 s15, s24, 0x198
	s_mul_hi_i32 s25, s24, 0x188
	s_mul_hi_i32 s42, s24, 0x108
	s_mul_hi_i32 s43, s24, 0x88
	v_mov_b32_e32 v1, 0
	s_lshl_b32 s7, s7, 6
	v_add_u32_e32 v75, 0x2180, v72
	v_add_u32_e32 v77, 0x2380, v72
	v_cmp_gt_u32_e32 vcc, 64, v25
	s_mul_i32 s28, s24, 24
	s_mul_i32 s30, s24, 0x90
	s_mul_i32 s31, s24, 0x98
	s_mul_i32 s34, s24, 0x110
	s_mul_i32 s35, s24, 0x118
	s_mul_i32 s36, s24, 0x180
	s_mul_i32 s37, s24, 0x190
	s_mul_i32 s38, s24, 0x198
	s_mul_i32 s39, s24, 0x188
	s_mul_i32 s40, s24, 0x108
	s_mul_i32 s41, s24, 0x88
	s_mov_b32 s24, 0
	v_mov_b32_e32 v82, s17
	v_mov_b32_e32 v83, s19
	;; [unrolled: 1-line block ×15, first 2 shown]
	v_add_u32_e32 v97, v79, v3
	v_mov_b32_e32 v98, s21
	s_branch .LBB178_74
.LBB178_73:                             ;   in Loop: Header=BB178_74 Depth=1
	s_or_b64 exec, exec, s[10:11]
	v_fma_f64 v[7:8], v[40:41], v[7:8], v[36:37]
	v_add_co_u32_e64 v38, s[8:9], s20, v38
	s_add_i32 s6, s6, -1
	s_add_i32 s24, s24, s7
	v_addc_co_u32_e64 v39, s[8:9], v39, v98, s[8:9]
	s_cmp_eq_u32 s6, 0
	v_fma_f64 v[7:8], v[42:43], v[9:10], v[7:8]
	v_add_u32_e32 v0, 64, v0
	s_waitcnt vmcnt(0)
	s_barrier
	v_fma_f64 v[3:4], v[44:45], v[3:4], v[7:8]
	v_fma_f64 v[3:4], v[46:47], v[5:6], v[3:4]
	v_fma_f64 v[3:4], v[48:49], v[15:16], v[3:4]
	v_fma_f64 v[3:4], v[50:51], v[17:18], v[3:4]
	v_fma_f64 v[3:4], v[52:53], v[11:12], v[3:4]
	v_fma_f64 v[3:4], v[54:55], v[13:14], v[3:4]
	v_fma_f64 v[3:4], v[56:57], v[23:24], v[3:4]
	v_fma_f64 v[3:4], v[58:59], v[25:26], v[3:4]
	v_fma_f64 v[3:4], v[60:61], v[19:20], v[3:4]
	v_fma_f64 v[3:4], v[62:63], v[21:22], v[3:4]
	v_fma_f64 v[3:4], v[64:65], v[31:32], v[3:4]
	v_fma_f64 v[3:4], v[66:67], v[33:34], v[3:4]
	v_fma_f64 v[3:4], v[70:71], v[27:28], v[3:4]
	v_fma_f64 v[36:37], v[68:69], v[29:30], v[3:4]
	s_cbranch_scc1 .LBB178_78
.LBB178_74:                             ; =>This Inner Loop Header: Depth=1
	s_and_saveexec_b64 s[10:11], s[2:3]
	s_cbranch_execz .LBB178_76
; %bb.75:                               ;   in Loop: Header=BB178_74 Depth=1
	s_ashr_i32 s25, s24, 31
	s_lshl_b64 s[8:9], s[24:25], 3
	v_mov_b32_e32 v4, s9
	v_add_co_u32_e64 v3, s[8:9], s8, v73
	v_addc_co_u32_e64 v4, s[8:9], v74, v4, s[8:9]
	flat_load_dwordx2 v[3:4], v[3:4]
	s_waitcnt vmcnt(0) lgkmcnt(0)
	ds_write_b64 v75, v[3:4]
.LBB178_76:                             ;   in Loop: Header=BB178_74 Depth=1
	s_or_b64 exec, exec, s[10:11]
	v_add_co_u32_e64 v3, s[8:9], s16, v38
	v_addc_co_u32_e64 v4, s[8:9], v39, v82, s[8:9]
	s_waitcnt lgkmcnt(0)
	s_barrier
	flat_load_dwordx2 v[40:41], v[38:39]
	flat_load_dwordx2 v[42:43], v[3:4]
	v_add_co_u32_e64 v3, s[8:9], s18, v38
	v_addc_co_u32_e64 v4, s[8:9], v39, v83, s[8:9]
	v_add_co_u32_e64 v5, s[8:9], s28, v38
	v_addc_co_u32_e64 v6, s[8:9], v39, v84, s[8:9]
	flat_load_dwordx2 v[44:45], v[3:4]
	flat_load_dwordx2 v[46:47], v[5:6]
	ds_read_b64 v[11:12], v77
	ds_read_b128 v[7:10], v76
	ds_read_b128 v[3:6], v76 offset:16
	v_add_co_u32_e64 v15, s[8:9], s22, v38
	v_add_co_u32_e64 v17, s[10:11], s41, v38
	;; [unrolled: 1-line block ×4, first 2 shown]
	v_addc_co_u32_e64 v16, s[8:9], v39, v85, s[8:9]
	v_addc_co_u32_e64 v18, s[8:9], v39, v86, s[10:11]
	;; [unrolled: 1-line block ×4, first 2 shown]
	v_add_co_u32_e64 v27, s[8:9], s26, v38
	v_add_co_u32_e64 v60, s[10:11], s40, v38
	v_addc_co_u32_e64 v28, s[8:9], v39, v89, s[8:9]
	v_addc_co_u32_e64 v61, s[8:9], v39, v90, s[10:11]
	s_waitcnt vmcnt(0) lgkmcnt(0)
	v_mul_f64 v[13:14], v[40:41], v[11:12]
	v_mul_f64 v[19:20], v[42:43], v[11:12]
	;; [unrolled: 1-line block ×4, first 2 shown]
	ds_write2_b64 v78, v[13:14], v[19:20] offset1:67
	ds_write2_b64 v78, v[21:22], v[11:12] offset0:134 offset1:201
	s_waitcnt lgkmcnt(0)
	s_barrier
	ds_read2_b64 v[11:14], v79 offset1:1
	ds_read2_b64 v[19:22], v79 offset0:2 offset1:3
	s_waitcnt lgkmcnt(0)
	s_barrier
	flat_load_dwordx2 v[48:49], v[15:16]
	flat_load_dwordx2 v[50:51], v[17:18]
	;; [unrolled: 1-line block ×4, first 2 shown]
	v_add_f64 v[11:12], v[11:12], 0
	ds_read_b64 v[15:16], v77
	v_add_f64 v[23:24], v[11:12], v[13:14]
	v_add_f64 v[19:20], v[23:24], v[19:20]
	;; [unrolled: 1-line block ×3, first 2 shown]
	s_waitcnt vmcnt(0) lgkmcnt(0)
	v_mul_f64 v[25:26], v[48:49], v[15:16]
	v_mul_f64 v[29:30], v[50:51], v[15:16]
	;; [unrolled: 1-line block ×4, first 2 shown]
	ds_read_b128 v[15:18], v76 offset:128
	ds_read_b128 v[11:14], v76 offset:144
	ds_write2_b64 v78, v[25:26], v[29:30] offset1:67
	ds_write2_b64 v78, v[31:32], v[33:34] offset0:134 offset1:201
	s_waitcnt lgkmcnt(0)
	s_barrier
	ds_read2_b64 v[23:26], v79 offset1:1
	ds_read2_b64 v[19:22], v79 offset0:2 offset1:3
	s_waitcnt lgkmcnt(0)
	s_barrier
	v_add_f64 v[23:24], v[23:24], 0
	flat_load_dwordx2 v[56:57], v[27:28]
	flat_load_dwordx2 v[58:59], v[60:61]
	v_add_co_u32_e64 v27, s[8:9], s34, v38
	v_addc_co_u32_e64 v28, s[8:9], v39, v91, s[8:9]
	v_add_f64 v[23:24], v[23:24], v[25:26]
	v_add_co_u32_e64 v25, s[10:11], s35, v38
	v_addc_co_u32_e64 v26, s[8:9], v39, v92, s[10:11]
	flat_load_dwordx2 v[60:61], v[27:28]
	flat_load_dwordx2 v[62:63], v[25:26]
	v_add_f64 v[19:20], v[23:24], v[19:20]
	ds_read_b64 v[23:24], v77
	v_add_f64 v[109:110], v[19:20], v[21:22]
	s_waitcnt vmcnt(0) lgkmcnt(0)
	v_mul_f64 v[19:20], v[56:57], v[23:24]
	v_mul_f64 v[21:22], v[58:59], v[23:24]
	ds_write2_b64 v78, v[19:20], v[21:22] offset1:67
	v_mul_f64 v[19:20], v[60:61], v[23:24]
	v_mul_f64 v[21:22], v[62:63], v[23:24]
	ds_write2_b64 v78, v[19:20], v[21:22] offset0:134 offset1:201
	ds_read_b128 v[23:26], v76 offset:256
	ds_read_b128 v[19:22], v76 offset:272
	s_waitcnt lgkmcnt(0)
	s_barrier
	ds_read2_b64 v[27:30], v79 offset1:1
	ds_read2_b64 v[99:102], v79 offset0:2 offset1:3
	s_waitcnt lgkmcnt(0)
	s_barrier
	v_add_f64 v[27:28], v[27:28], 0
	v_add_f64 v[111:112], v[27:28], v[29:30]
	v_add_co_u32_e64 v27, s[8:9], s36, v38
	v_addc_co_u32_e64 v28, s[8:9], v39, v93, s[8:9]
	v_add_co_u32_e64 v29, s[8:9], s39, v38
	v_addc_co_u32_e64 v30, s[8:9], v39, v94, s[8:9]
	flat_load_dwordx2 v[64:65], v[27:28]
	flat_load_dwordx2 v[66:67], v[29:30]
	ds_read_b64 v[27:28], v77
	v_add_f64 v[99:100], v[111:112], v[99:100]
	s_waitcnt vmcnt(0) lgkmcnt(0)
	v_mul_f64 v[29:30], v[64:65], v[27:28]
	v_mul_f64 v[31:32], v[66:67], v[27:28]
	ds_write2_b64 v78, v[29:30], v[31:32] offset1:67
	v_add_co_u32_e64 v29, s[8:9], s37, v38
	v_addc_co_u32_e64 v30, s[8:9], v39, v95, s[8:9]
	v_add_co_u32_e64 v31, s[8:9], s38, v38
	v_addc_co_u32_e64 v32, s[8:9], v39, v96, s[8:9]
	flat_load_dwordx2 v[70:71], v[29:30]
	flat_load_dwordx2 v[68:69], v[31:32]
	s_waitcnt vmcnt(0) lgkmcnt(0)
	v_mul_f64 v[29:30], v[70:71], v[27:28]
	v_mul_f64 v[27:28], v[68:69], v[27:28]
	ds_write2_b64 v78, v[29:30], v[27:28] offset0:134 offset1:201
	ds_read_b128 v[31:34], v76 offset:384
	ds_read_b128 v[27:30], v76 offset:400
	s_waitcnt lgkmcnt(0)
	s_barrier
	ds_read2_b64 v[103:106], v79 offset1:1
	s_waitcnt lgkmcnt(0)
	v_add_f64 v[103:104], v[103:104], 0
	v_add_f64 v[103:104], v[103:104], v[105:106]
	;; [unrolled: 1-line block ×3, first 2 shown]
	ds_read2_b64 v[99:102], v79 offset0:2 offset1:3
	s_waitcnt lgkmcnt(0)
	s_barrier
	v_add_f64 v[99:100], v[103:104], v[99:100]
	v_add_f64 v[99:100], v[99:100], v[101:102]
	ds_write2_b64 v97, v[107:108], v[109:110] offset1:16
	ds_write2_b64 v97, v[105:106], v[99:100] offset0:32 offset1:48
	s_waitcnt lgkmcnt(0)
	s_barrier
	s_and_saveexec_b64 s[10:11], vcc
	s_cbranch_execz .LBB178_73
; %bb.77:                               ;   in Loop: Header=BB178_74 Depth=1
	ds_read2_b64 v[99:102], v80 offset1:1
	ds_read2_b64 v[103:106], v80 offset0:2 offset1:3
	s_waitcnt lgkmcnt(1)
	v_add_f64 v[99:100], v[99:100], v[101:102]
	s_waitcnt lgkmcnt(0)
	v_add_f64 v[99:100], v[99:100], v[103:104]
	v_add_f64 v[107:108], v[99:100], v[105:106]
	ds_read2_b64 v[99:102], v80 offset0:4 offset1:5
	ds_read2_b64 v[103:106], v80 offset0:6 offset1:7
	s_waitcnt lgkmcnt(1)
	v_add_f64 v[99:100], v[107:108], v[99:100]
	v_add_f64 v[99:100], v[99:100], v[101:102]
	s_waitcnt lgkmcnt(0)
	v_add_f64 v[99:100], v[99:100], v[103:104]
	v_add_f64 v[107:108], v[99:100], v[105:106]
	ds_read2_b64 v[99:102], v80 offset0:8 offset1:9
	ds_read2_b64 v[103:106], v80 offset0:10 offset1:11
	s_waitcnt lgkmcnt(1)
	v_add_f64 v[99:100], v[107:108], v[99:100]
	v_add_f64 v[99:100], v[99:100], v[101:102]
	s_waitcnt lgkmcnt(0)
	v_add_f64 v[99:100], v[99:100], v[103:104]
	v_add_f64 v[103:104], v[99:100], v[105:106]
	ds_read2_b64 v[99:102], v80 offset0:12 offset1:13
	ds_read_b64 v[105:106], v80 offset:112
	s_waitcnt lgkmcnt(1)
	v_add_f64 v[99:100], v[103:104], v[99:100]
	v_mov_b32_e32 v103, s33
	v_add_f64 v[99:100], v[99:100], v[101:102]
	ds_read_b64 v[101:102], v81
	s_waitcnt lgkmcnt(1)
	v_add_f64 v[99:100], v[99:100], v[105:106]
	s_waitcnt lgkmcnt(0)
	v_add_f64 v[99:100], v[99:100], v[101:102]
	v_lshlrev_b64 v[101:102], 3, v[0:1]
	v_add_co_u32_e64 v101, s[8:9], s29, v101
	v_addc_co_u32_e64 v102, s[8:9], v103, v102, s[8:9]
	global_store_dwordx2 v[101:102], v[99:100], off
	s_branch .LBB178_73
.LBB178_78:
	s_movk_i32 s2, 0x218
	v_mad_u32_u24 v0, v2, s2, v72
	s_nor_b64 s[0:1], s[0:1], s[4:5]
	ds_write_b64 v0, v[36:37]
	s_waitcnt lgkmcnt(0)
	s_barrier
	s_and_saveexec_b64 s[2:3], s[0:1]
	s_cbranch_execz .LBB178_80
; %bb.79:
	ds_read2_b64 v[0:3], v72 offset1:67
	v_ashrrev_i32_e32 v36, 31, v35
	s_waitcnt lgkmcnt(0)
	v_add_f64 v[4:5], v[0:1], v[2:3]
	ds_read2_b64 v[0:3], v72 offset0:134 offset1:201
	s_waitcnt lgkmcnt(0)
	v_add_f64 v[0:1], v[4:5], v[0:1]
	v_mov_b32_e32 v4, s33
	v_add_f64 v[0:1], v[0:1], v[2:3]
	v_lshlrev_b64 v[2:3], 3, v[35:36]
	v_add_co_u32_e32 v2, vcc, s29, v2
	v_addc_co_u32_e32 v3, vcc, v4, v3, vcc
	global_store_dwordx2 v[2:3], v[0:1], off
.LBB178_80:
	s_endpgm
	.section	.rodata,"a",@progbits
	.p2align	6, 0x0
	.amdhsa_kernel _ZL26rocblas_hemvn_kernel_lowerILb0ELi64ELi4ELi33ELi32ELi16EidPKPKdPdEviT6_lT7_lT5_lS6_lS7_lS5_lT8_i
		.amdhsa_group_segment_fixed_size 9600
		.amdhsa_private_segment_fixed_size 0
		.amdhsa_kernarg_size 376
		.amdhsa_user_sgpr_count 6
		.amdhsa_user_sgpr_private_segment_buffer 1
		.amdhsa_user_sgpr_dispatch_ptr 0
		.amdhsa_user_sgpr_queue_ptr 0
		.amdhsa_user_sgpr_kernarg_segment_ptr 1
		.amdhsa_user_sgpr_dispatch_id 0
		.amdhsa_user_sgpr_flat_scratch_init 0
		.amdhsa_user_sgpr_private_segment_size 0
		.amdhsa_uses_dynamic_stack 0
		.amdhsa_system_sgpr_private_segment_wavefront_offset 0
		.amdhsa_system_sgpr_workgroup_id_x 1
		.amdhsa_system_sgpr_workgroup_id_y 0
		.amdhsa_system_sgpr_workgroup_id_z 1
		.amdhsa_system_sgpr_workgroup_info 0
		.amdhsa_system_vgpr_workitem_id 1
		.amdhsa_next_free_vgpr 113
		.amdhsa_next_free_sgpr 93
		.amdhsa_reserve_vcc 1
		.amdhsa_reserve_flat_scratch 0
		.amdhsa_float_round_mode_32 0
		.amdhsa_float_round_mode_16_64 0
		.amdhsa_float_denorm_mode_32 3
		.amdhsa_float_denorm_mode_16_64 3
		.amdhsa_dx10_clamp 1
		.amdhsa_ieee_mode 1
		.amdhsa_fp16_overflow 0
		.amdhsa_exception_fp_ieee_invalid_op 0
		.amdhsa_exception_fp_denorm_src 0
		.amdhsa_exception_fp_ieee_div_zero 0
		.amdhsa_exception_fp_ieee_overflow 0
		.amdhsa_exception_fp_ieee_underflow 0
		.amdhsa_exception_fp_ieee_inexact 0
		.amdhsa_exception_int_div_zero 0
	.end_amdhsa_kernel
	.section	.text._ZL26rocblas_hemvn_kernel_lowerILb0ELi64ELi4ELi33ELi32ELi16EidPKPKdPdEviT6_lT7_lT5_lS6_lS7_lS5_lT8_i,"axG",@progbits,_ZL26rocblas_hemvn_kernel_lowerILb0ELi64ELi4ELi33ELi32ELi16EidPKPKdPdEviT6_lT7_lT5_lS6_lS7_lS5_lT8_i,comdat
.Lfunc_end178:
	.size	_ZL26rocblas_hemvn_kernel_lowerILb0ELi64ELi4ELi33ELi32ELi16EidPKPKdPdEviT6_lT7_lT5_lS6_lS7_lS5_lT8_i, .Lfunc_end178-_ZL26rocblas_hemvn_kernel_lowerILb0ELi64ELi4ELi33ELi32ELi16EidPKPKdPdEviT6_lT7_lT5_lS6_lS7_lS5_lT8_i
                                        ; -- End function
	.set _ZL26rocblas_hemvn_kernel_lowerILb0ELi64ELi4ELi33ELi32ELi16EidPKPKdPdEviT6_lT7_lT5_lS6_lS7_lS5_lT8_i.num_vgpr, 113
	.set _ZL26rocblas_hemvn_kernel_lowerILb0ELi64ELi4ELi33ELi32ELi16EidPKPKdPdEviT6_lT7_lT5_lS6_lS7_lS5_lT8_i.num_agpr, 0
	.set _ZL26rocblas_hemvn_kernel_lowerILb0ELi64ELi4ELi33ELi32ELi16EidPKPKdPdEviT6_lT7_lT5_lS6_lS7_lS5_lT8_i.numbered_sgpr, 46
	.set _ZL26rocblas_hemvn_kernel_lowerILb0ELi64ELi4ELi33ELi32ELi16EidPKPKdPdEviT6_lT7_lT5_lS6_lS7_lS5_lT8_i.num_named_barrier, 0
	.set _ZL26rocblas_hemvn_kernel_lowerILb0ELi64ELi4ELi33ELi32ELi16EidPKPKdPdEviT6_lT7_lT5_lS6_lS7_lS5_lT8_i.private_seg_size, 0
	.set _ZL26rocblas_hemvn_kernel_lowerILb0ELi64ELi4ELi33ELi32ELi16EidPKPKdPdEviT6_lT7_lT5_lS6_lS7_lS5_lT8_i.uses_vcc, 1
	.set _ZL26rocblas_hemvn_kernel_lowerILb0ELi64ELi4ELi33ELi32ELi16EidPKPKdPdEviT6_lT7_lT5_lS6_lS7_lS5_lT8_i.uses_flat_scratch, 0
	.set _ZL26rocblas_hemvn_kernel_lowerILb0ELi64ELi4ELi33ELi32ELi16EidPKPKdPdEviT6_lT7_lT5_lS6_lS7_lS5_lT8_i.has_dyn_sized_stack, 0
	.set _ZL26rocblas_hemvn_kernel_lowerILb0ELi64ELi4ELi33ELi32ELi16EidPKPKdPdEviT6_lT7_lT5_lS6_lS7_lS5_lT8_i.has_recursion, 0
	.set _ZL26rocblas_hemvn_kernel_lowerILb0ELi64ELi4ELi33ELi32ELi16EidPKPKdPdEviT6_lT7_lT5_lS6_lS7_lS5_lT8_i.has_indirect_call, 0
	.section	.AMDGPU.csdata,"",@progbits
; Kernel info:
; codeLenInByte = 6240
; TotalNumSgprs: 50
; NumVgprs: 113
; ScratchSize: 0
; MemoryBound: 0
; FloatMode: 240
; IeeeMode: 1
; LDSByteSize: 9600 bytes/workgroup (compile time only)
; SGPRBlocks: 12
; VGPRBlocks: 28
; NumSGPRsForWavesPerEU: 97
; NumVGPRsForWavesPerEU: 113
; Occupancy: 2
; WaveLimiterHint : 1
; COMPUTE_PGM_RSRC2:SCRATCH_EN: 0
; COMPUTE_PGM_RSRC2:USER_SGPR: 6
; COMPUTE_PGM_RSRC2:TRAP_HANDLER: 0
; COMPUTE_PGM_RSRC2:TGID_X_EN: 1
; COMPUTE_PGM_RSRC2:TGID_Y_EN: 0
; COMPUTE_PGM_RSRC2:TGID_Z_EN: 1
; COMPUTE_PGM_RSRC2:TIDIG_COMP_CNT: 1
	.section	.text._ZL36rocblas_hemvn_kernel_lower_block_sumILi64EidPKPddEviT1_lS3_lT2_lT0_lPT3_i,"axG",@progbits,_ZL36rocblas_hemvn_kernel_lower_block_sumILi64EidPKPddEviT1_lS3_lT2_lT0_lPT3_i,comdat
	.globl	_ZL36rocblas_hemvn_kernel_lower_block_sumILi64EidPKPddEviT1_lS3_lT2_lT0_lPT3_i ; -- Begin function _ZL36rocblas_hemvn_kernel_lower_block_sumILi64EidPKPddEviT1_lS3_lT2_lT0_lPT3_i
	.p2align	8
	.type	_ZL36rocblas_hemvn_kernel_lower_block_sumILi64EidPKPddEviT1_lS3_lT2_lT0_lPT3_i,@function
_ZL36rocblas_hemvn_kernel_lower_block_sumILi64EidPKPddEviT1_lS3_lT2_lT0_lPT3_i: ; @_ZL36rocblas_hemvn_kernel_lower_block_sumILi64EidPKPddEviT1_lS3_lT2_lT0_lPT3_i
; %bb.0:
	s_load_dwordx2 s[2:3], s[4:5], 0x8
	s_load_dwordx2 s[8:9], s[4:5], 0x18
	s_waitcnt lgkmcnt(0)
	v_cmp_eq_f64_e64 s[0:1], s[2:3], 0
	v_cmp_eq_f64_e64 s[10:11], s[8:9], 1.0
	s_and_b64 s[0:1], s[0:1], s[10:11]
	s_and_b64 vcc, exec, s[0:1]
	s_cbranch_vccnz .LBB179_19
; %bb.1:
	s_load_dwordx4 s[16:19], s[4:5], 0x28
	s_load_dword s20, s[4:5], 0x38
	s_load_dword s14, s[4:5], 0x0
	s_mov_b32 s12, s7
	s_mov_b32 s13, 0
	s_lshl_b64 s[0:1], s[12:13], 3
	s_waitcnt lgkmcnt(0)
	s_add_u32 s0, s16, s0
	s_addc_u32 s1, s17, s1
	v_cmp_neq_f64_e64 s[16:17], s[2:3], 0
	s_load_dwordx2 s[0:1], s[0:1], 0x0
	s_lshl_b64 s[18:19], s[18:19], 3
	v_lshl_or_b32 v6, s6, 6, v0
	s_mov_b64 s[10:11], 0
	s_waitcnt lgkmcnt(0)
	s_add_u32 s7, s0, s18
	s_addc_u32 s13, s1, s19
	s_and_b64 vcc, exec, s[16:17]
	v_cmp_gt_i32_e64 s[0:1], s14, v6
	s_cbranch_vccnz .LBB179_6
; %bb.2:
	s_mov_b64 s[16:17], 0
                                        ; implicit-def: $vgpr2_vgpr3
                                        ; implicit-def: $vgpr0_vgpr1
	s_and_saveexec_b64 s[18:19], s[0:1]
	s_cbranch_execz .LBB179_7
; %bb.3:
	v_cmp_eq_f64_e64 s[0:1], s[8:9], 0
	v_mul_lo_u32 v0, s20, v6
	v_mov_b32_e32 v2, 0
	v_mov_b32_e32 v3, 0
	v_ashrrev_i32_e32 v1, 31, v0
	s_and_b64 vcc, exec, s[0:1]
	s_cbranch_vccnz .LBB179_5
; %bb.4:
	v_lshlrev_b64 v[2:3], 3, v[0:1]
	v_mov_b32_e32 v4, s13
	v_add_co_u32_e32 v2, vcc, s7, v2
	v_addc_co_u32_e32 v3, vcc, v4, v3, vcc
	flat_load_dwordx2 v[2:3], v[2:3]
	s_waitcnt vmcnt(0) lgkmcnt(0)
	v_mul_f64 v[2:3], s[8:9], v[2:3]
.LBB179_5:
	s_mov_b64 s[10:11], exec
	s_or_b64 exec, exec, s[18:19]
	s_and_b64 vcc, exec, s[16:17]
	s_cbranch_vccnz .LBB179_8
	s_branch .LBB179_17
.LBB179_6:
                                        ; implicit-def: $vgpr2_vgpr3
                                        ; implicit-def: $vgpr0_vgpr1
	s_cbranch_execnz .LBB179_8
	s_branch .LBB179_17
.LBB179_7:
	s_or_b64 exec, exec, s[18:19]
	s_and_b64 vcc, exec, s[16:17]
	s_cbranch_vccz .LBB179_17
.LBB179_8:
	v_cmp_gt_i32_e32 vcc, s14, v6
                                        ; implicit-def: $vgpr2_vgpr3
                                        ; implicit-def: $vgpr0_vgpr1
	s_and_saveexec_b64 s[0:1], vcc
	s_cbranch_execz .LBB179_16
; %bb.9:
	s_load_dword s16, s[4:5], 0x58
	v_mov_b32_e32 v4, 0
	v_mov_b32_e32 v5, 0
	s_waitcnt lgkmcnt(0)
	s_cmp_ge_i32 s6, s16
	s_cbranch_scc1 .LBB179_12
; %bb.10:
	s_ashr_i32 s15, s14, 31
	s_mul_i32 s17, s14, s6
	s_load_dwordx2 s[4:5], s[4:5], 0x48
	v_add_u32_e32 v0, s17, v6
	s_mul_hi_u32 s17, s14, s12
	s_mul_i32 s18, s15, s12
	s_add_i32 s17, s17, s18
	s_mul_i32 s12, s14, s12
	s_mul_i32 s17, s17, s16
	s_mul_hi_u32 s18, s12, s16
	s_add_i32 s19, s18, s17
	s_mul_i32 s18, s12, s16
	v_ashrrev_i32_e32 v1, 31, v0
	s_lshl_b64 s[18:19], s[18:19], 3
	v_lshlrev_b64 v[0:1], 3, v[0:1]
	s_waitcnt lgkmcnt(0)
	s_add_u32 s4, s4, s18
	s_addc_u32 s5, s5, s19
	v_mov_b32_e32 v2, s5
	v_add_co_u32_e32 v0, vcc, s4, v0
	s_lshl_b64 s[4:5], s[14:15], 3
	v_mov_b32_e32 v4, 0
	v_addc_co_u32_e32 v1, vcc, v2, v1, vcc
	v_mov_b32_e32 v5, 0
	v_mov_b32_e32 v2, s5
.LBB179_11:                             ; =>This Inner Loop Header: Depth=1
	global_load_dwordx2 v[7:8], v[0:1], off
	s_add_i32 s6, s6, 1
	v_add_co_u32_e32 v0, vcc, s4, v0
	s_cmp_ge_i32 s6, s16
	v_addc_co_u32_e32 v1, vcc, v1, v2, vcc
	s_waitcnt vmcnt(0)
	v_add_f64 v[4:5], v[4:5], v[7:8]
	s_cbranch_scc0 .LBB179_11
.LBB179_12:
	v_cmp_eq_f64_e64 s[14:15], s[8:9], 0
	v_mul_lo_u32 v0, s20, v6
	s_mov_b64 s[4:5], 0
	v_ashrrev_i32_e32 v1, 31, v0
	s_and_b64 vcc, exec, s[14:15]
	s_cbranch_vccz .LBB179_20
; %bb.13:
	v_mul_f64 v[2:3], s[2:3], v[4:5]
	s_andn2_b64 vcc, exec, s[4:5]
	s_cbranch_vccnz .LBB179_15
.LBB179_14:
	v_lshlrev_b64 v[2:3], 3, v[0:1]
	v_mov_b32_e32 v6, s13
	v_add_co_u32_e32 v2, vcc, s7, v2
	v_addc_co_u32_e32 v3, vcc, v6, v3, vcc
	flat_load_dwordx2 v[2:3], v[2:3]
	s_waitcnt vmcnt(0) lgkmcnt(0)
	v_mul_f64 v[2:3], s[8:9], v[2:3]
	v_fma_f64 v[2:3], s[2:3], v[4:5], v[2:3]
.LBB179_15:
	s_or_b64 s[10:11], s[10:11], exec
.LBB179_16:
	s_or_b64 exec, exec, s[0:1]
.LBB179_17:
	s_and_saveexec_b64 s[0:1], s[10:11]
	s_cbranch_execz .LBB179_19
; %bb.18:
	v_lshlrev_b64 v[0:1], 3, v[0:1]
	v_mov_b32_e32 v4, s13
	v_add_co_u32_e32 v0, vcc, s7, v0
	v_addc_co_u32_e32 v1, vcc, v4, v1, vcc
	flat_store_dwordx2 v[0:1], v[2:3]
.LBB179_19:
	s_endpgm
.LBB179_20:
                                        ; implicit-def: $vgpr2_vgpr3
	s_branch .LBB179_14
	.section	.rodata,"a",@progbits
	.p2align	6, 0x0
	.amdhsa_kernel _ZL36rocblas_hemvn_kernel_lower_block_sumILi64EidPKPddEviT1_lS3_lT2_lT0_lPT3_i
		.amdhsa_group_segment_fixed_size 0
		.amdhsa_private_segment_fixed_size 0
		.amdhsa_kernarg_size 344
		.amdhsa_user_sgpr_count 6
		.amdhsa_user_sgpr_private_segment_buffer 1
		.amdhsa_user_sgpr_dispatch_ptr 0
		.amdhsa_user_sgpr_queue_ptr 0
		.amdhsa_user_sgpr_kernarg_segment_ptr 1
		.amdhsa_user_sgpr_dispatch_id 0
		.amdhsa_user_sgpr_flat_scratch_init 0
		.amdhsa_user_sgpr_private_segment_size 0
		.amdhsa_uses_dynamic_stack 0
		.amdhsa_system_sgpr_private_segment_wavefront_offset 0
		.amdhsa_system_sgpr_workgroup_id_x 1
		.amdhsa_system_sgpr_workgroup_id_y 0
		.amdhsa_system_sgpr_workgroup_id_z 1
		.amdhsa_system_sgpr_workgroup_info 0
		.amdhsa_system_vgpr_workitem_id 0
		.amdhsa_next_free_vgpr 9
		.amdhsa_next_free_sgpr 21
		.amdhsa_reserve_vcc 1
		.amdhsa_reserve_flat_scratch 0
		.amdhsa_float_round_mode_32 0
		.amdhsa_float_round_mode_16_64 0
		.amdhsa_float_denorm_mode_32 3
		.amdhsa_float_denorm_mode_16_64 3
		.amdhsa_dx10_clamp 1
		.amdhsa_ieee_mode 1
		.amdhsa_fp16_overflow 0
		.amdhsa_exception_fp_ieee_invalid_op 0
		.amdhsa_exception_fp_denorm_src 0
		.amdhsa_exception_fp_ieee_div_zero 0
		.amdhsa_exception_fp_ieee_overflow 0
		.amdhsa_exception_fp_ieee_underflow 0
		.amdhsa_exception_fp_ieee_inexact 0
		.amdhsa_exception_int_div_zero 0
	.end_amdhsa_kernel
	.section	.text._ZL36rocblas_hemvn_kernel_lower_block_sumILi64EidPKPddEviT1_lS3_lT2_lT0_lPT3_i,"axG",@progbits,_ZL36rocblas_hemvn_kernel_lower_block_sumILi64EidPKPddEviT1_lS3_lT2_lT0_lPT3_i,comdat
.Lfunc_end179:
	.size	_ZL36rocblas_hemvn_kernel_lower_block_sumILi64EidPKPddEviT1_lS3_lT2_lT0_lPT3_i, .Lfunc_end179-_ZL36rocblas_hemvn_kernel_lower_block_sumILi64EidPKPddEviT1_lS3_lT2_lT0_lPT3_i
                                        ; -- End function
	.set _ZL36rocblas_hemvn_kernel_lower_block_sumILi64EidPKPddEviT1_lS3_lT2_lT0_lPT3_i.num_vgpr, 9
	.set _ZL36rocblas_hemvn_kernel_lower_block_sumILi64EidPKPddEviT1_lS3_lT2_lT0_lPT3_i.num_agpr, 0
	.set _ZL36rocblas_hemvn_kernel_lower_block_sumILi64EidPKPddEviT1_lS3_lT2_lT0_lPT3_i.numbered_sgpr, 21
	.set _ZL36rocblas_hemvn_kernel_lower_block_sumILi64EidPKPddEviT1_lS3_lT2_lT0_lPT3_i.num_named_barrier, 0
	.set _ZL36rocblas_hemvn_kernel_lower_block_sumILi64EidPKPddEviT1_lS3_lT2_lT0_lPT3_i.private_seg_size, 0
	.set _ZL36rocblas_hemvn_kernel_lower_block_sumILi64EidPKPddEviT1_lS3_lT2_lT0_lPT3_i.uses_vcc, 1
	.set _ZL36rocblas_hemvn_kernel_lower_block_sumILi64EidPKPddEviT1_lS3_lT2_lT0_lPT3_i.uses_flat_scratch, 0
	.set _ZL36rocblas_hemvn_kernel_lower_block_sumILi64EidPKPddEviT1_lS3_lT2_lT0_lPT3_i.has_dyn_sized_stack, 0
	.set _ZL36rocblas_hemvn_kernel_lower_block_sumILi64EidPKPddEviT1_lS3_lT2_lT0_lPT3_i.has_recursion, 0
	.set _ZL36rocblas_hemvn_kernel_lower_block_sumILi64EidPKPddEviT1_lS3_lT2_lT0_lPT3_i.has_indirect_call, 0
	.section	.AMDGPU.csdata,"",@progbits
; Kernel info:
; codeLenInByte = 620
; TotalNumSgprs: 25
; NumVgprs: 9
; ScratchSize: 0
; MemoryBound: 0
; FloatMode: 240
; IeeeMode: 1
; LDSByteSize: 0 bytes/workgroup (compile time only)
; SGPRBlocks: 3
; VGPRBlocks: 2
; NumSGPRsForWavesPerEU: 25
; NumVGPRsForWavesPerEU: 9
; Occupancy: 10
; WaveLimiterHint : 1
; COMPUTE_PGM_RSRC2:SCRATCH_EN: 0
; COMPUTE_PGM_RSRC2:USER_SGPR: 6
; COMPUTE_PGM_RSRC2:TRAP_HANDLER: 0
; COMPUTE_PGM_RSRC2:TGID_X_EN: 1
; COMPUTE_PGM_RSRC2:TGID_Y_EN: 0
; COMPUTE_PGM_RSRC2:TGID_Z_EN: 1
; COMPUTE_PGM_RSRC2:TIDIG_COMP_CNT: 0
	.section	.text._ZL26rocblas_hemvn_kernel_upperILb0ELi64ELi4ELi33ELi32ELi16ElPK19rocblas_complex_numIfEPKS3_PS1_EviT6_lT7_lT5_lS8_lS9_lS7_lT8_i,"axG",@progbits,_ZL26rocblas_hemvn_kernel_upperILb0ELi64ELi4ELi33ELi32ELi16ElPK19rocblas_complex_numIfEPKS3_PS1_EviT6_lT7_lT5_lS8_lS9_lS7_lT8_i,comdat
	.globl	_ZL26rocblas_hemvn_kernel_upperILb0ELi64ELi4ELi33ELi32ELi16ElPK19rocblas_complex_numIfEPKS3_PS1_EviT6_lT7_lT5_lS8_lS9_lS7_lT8_i ; -- Begin function _ZL26rocblas_hemvn_kernel_upperILb0ELi64ELi4ELi33ELi32ELi16ElPK19rocblas_complex_numIfEPKS3_PS1_EviT6_lT7_lT5_lS8_lS9_lS7_lT8_i
	.p2align	8
	.type	_ZL26rocblas_hemvn_kernel_upperILb0ELi64ELi4ELi33ELi32ELi16ElPK19rocblas_complex_numIfEPKS3_PS1_EviT6_lT7_lT5_lS8_lS9_lS7_lT8_i,@function
_ZL26rocblas_hemvn_kernel_upperILb0ELi64ELi4ELi33ELi32ELi16ElPK19rocblas_complex_numIfEPKS3_PS1_EviT6_lT7_lT5_lS8_lS9_lS7_lT8_i: ; @_ZL26rocblas_hemvn_kernel_upperILb0ELi64ELi4ELi33ELi32ELi16ElPK19rocblas_complex_numIfEPKS3_PS1_EviT6_lT7_lT5_lS8_lS9_lS7_lT8_i
; %bb.0:
	s_load_dwordx2 s[0:1], s[4:5], 0x84
	s_add_u32 s18, s4, 0x78
	s_addc_u32 s19, s5, 0
	s_waitcnt lgkmcnt(0)
	s_lshr_b32 s2, s0, 16
	s_and_b32 s0, s0, 0xffff
	s_and_b32 s1, s1, 0xffff
	s_mul_i32 s0, s2, s0
	s_mul_i32 s0, s0, s1
	s_cmpk_lg_i32 s0, 0x100
	s_cbranch_scc1 .LBB180_155
; %bb.1:
	s_load_dwordx8 s[8:15], s[4:5], 0x8
	s_mov_b32 s26, s7
	s_mov_b32 s27, 0
	s_waitcnt lgkmcnt(0)
	s_mul_i32 s0, s11, s7
	s_mul_hi_u32 s1, s10, s7
	s_add_i32 s1, s1, s0
	s_mul_i32 s0, s10, s7
	s_lshl_b64 s[0:1], s[0:1], 3
	s_add_u32 s8, s8, s0
	s_addc_u32 s9, s9, s1
	s_load_dwordx2 s[10:11], s[8:9], 0x0
	s_load_dwordx2 s[28:29], s[4:5], 0x68
	s_load_dwordx4 s[0:3], s[4:5], 0x58
	s_mov_b64 s[8:9], -1
	s_waitcnt lgkmcnt(0)
	s_or_b32 s7, s10, s11
	s_bitset0_b32 s7, 31
	s_cmp_lg_u32 s7, 0
	s_cbranch_scc1 .LBB180_3
; %bb.2:
	s_mul_i32 s3, s3, s26
	s_mul_hi_u32 s7, s2, s26
	s_add_i32 s3, s7, s3
	s_mul_i32 s2, s2, s26
	s_lshl_b64 s[2:3], s[2:3], 3
	s_add_u32 s0, s0, s2
	s_addc_u32 s1, s1, s3
	s_load_dwordx2 s[2:3], s[0:1], 0x0
	s_mov_b64 s[8:9], 0
	s_waitcnt lgkmcnt(0)
	v_cmp_eq_f32_e64 s[0:1], s2, 1.0
	v_cmp_eq_f32_e64 s[2:3], s3, 0
	s_and_b64 s[0:1], s[0:1], s[2:3]
	s_andn2_b64 vcc, exec, s[0:1]
.LBB180_3:
	s_andn2_b64 vcc, exec, s[8:9]
	s_cbranch_vccnz .LBB180_155
; %bb.4:
	s_load_dword s7, s[18:19], 0x0
	s_load_dwordx4 s[8:11], s[4:5], 0x38
	s_load_dwordx2 s[16:17], s[4:5], 0x48
	s_lshl_b64 s[0:1], s[26:27], 3
	s_add_u32 s12, s12, s0
	s_addc_u32 s13, s13, s1
	s_waitcnt lgkmcnt(0)
	s_add_u32 s0, s8, s0
	s_addc_u32 s1, s9, s1
	s_load_dwordx2 s[8:9], s[0:1], 0x0
	s_load_dwordx2 s[22:23], s[4:5], 0x28
	s_load_dword s33, s[4:5], 0x0
	s_load_dwordx2 s[2:3], s[12:13], 0x0
	s_lshl_b64 s[0:1], s[10:11], 3
	s_waitcnt lgkmcnt(0)
	s_add_u32 s4, s8, s0
	s_addc_u32 s5, s9, s1
	s_lshl_b32 s24, s6, 6
	s_ashr_i32 s38, s33, 31
	s_lshr_b32 s0, s38, 26
	v_add_u32_e32 v50, s24, v0
	s_add_i32 s0, s33, s0
	v_ashrrev_i32_e32 v51, 31, v50
	s_and_b32 s9, s0, 0xffffffc0
	v_mul_lo_u32 v4, s16, v51
	v_mul_lo_u32 v5, s17, v50
	v_mad_u64_u32 v[2:3], s[0:1], s16, v50, 0
	s_add_i32 s8, s7, -1
	s_sub_i32 s27, s33, s9
	v_add3_u32 v3, v3, v4, v5
	v_lshlrev_b64 v[2:3], 3, v[2:3]
	s_cmp_eq_u32 s6, s8
	v_mov_b32_e32 v4, s5
	v_add_co_u32_e32 v16, vcc, s4, v2
	s_cselect_b32 s18, s27, 0
	v_addc_co_u32_e32 v17, vcc, v4, v3, vcc
	v_cmp_eq_u32_e64 s[0:1], 0, v1
	s_and_saveexec_b64 s[4:5], s[0:1]
	s_cbranch_execz .LBB180_9
; %bb.5:
	s_cmp_lg_u32 s18, 0
	s_cselect_b64 s[8:9], -1, 0
	v_cmp_le_i32_e32 vcc, s18, v0
	v_mov_b32_e32 v2, 0x2380
	s_and_b64 s[8:9], s[8:9], vcc
	v_lshl_add_u32 v2, v0, 3, v2
	s_and_saveexec_b64 s[10:11], s[8:9]
	s_xor_b64 s[8:9], exec, s[10:11]
; %bb.6:
	v_mov_b32_e32 v3, 0
	v_mov_b32_e32 v4, v3
	ds_write_b64 v2, v[3:4]
                                        ; implicit-def: $vgpr2
; %bb.7:
	s_andn2_saveexec_b64 s[8:9], s[8:9]
	s_cbranch_execz .LBB180_9
; %bb.8:
	flat_load_dwordx2 v[3:4], v[16:17]
	s_waitcnt vmcnt(0) lgkmcnt(0)
	ds_write_b64 v2, v[3:4]
.LBB180_9:
	s_or_b64 exec, exec, s[4:5]
	v_lshl_add_u32 v24, v1, 6, v0
	v_and_b32_e32 v2, 31, v0
	v_lshrrev_b32_e32 v9, 5, v24
	v_mov_b32_e32 v3, 0
	v_mad_u64_u32 v[3:4], s[8:9], s22, v9, v[2:3]
	s_lshl_b64 s[4:5], s[14:15], 3
	s_add_u32 s4, s2, s4
	s_addc_u32 s5, s3, s5
	v_mad_u64_u32 v[4:5], s[2:3], s23, v9, v[4:5]
	s_ashr_i32 s25, s24, 31
	s_lshl_b64 s[2:3], s[24:25], 3
	s_add_u32 s2, s4, s2
	v_lshlrev_b64 v[14:15], 3, v[3:4]
	s_addc_u32 s3, s5, s3
	v_mov_b32_e32 v3, s3
	v_add_co_u32_e32 v4, vcc, s2, v14
	s_mul_hi_u32 s2, s22, s24
	s_mul_i32 s3, s22, s25
	s_add_i32 s2, s2, s3
	s_mul_i32 s3, s23, s24
	s_add_i32 s3, s2, s3
	s_mul_i32 s2, s22, s24
	s_lshl_b64 s[2:3], s[2:3], 3
	v_addc_co_u32_e32 v3, vcc, v3, v15, vcc
	s_cmp_eq_u32 s18, 0
	v_mov_b32_e32 v6, s3
	v_add_co_u32_e32 v5, vcc, s2, v4
	s_cselect_b64 s[20:21], -1, 0
	s_cmp_lg_u32 s18, 0
	v_addc_co_u32_e32 v6, vcc, v3, v6, vcc
	s_cselect_b64 s[30:31], -1, 0
	s_and_b64 vcc, exec, s[30:31]
	v_cmp_gt_i32_e64 s[2:3], s18, v2
	v_lshlrev_b32_e32 v11, 3, v2
	v_lshlrev_b32_e32 v10, 3, v2
	s_cbranch_vccz .LBB180_27
; %bb.10:
	v_sub_co_u32_e32 v3, vcc, v5, v11
	s_ashr_i32 s19, s18, 31
	v_subbrev_co_u32_e32 v4, vcc, 0, v6, vcc
	s_lshl_b64 s[4:5], s[18:19], 3
	v_mov_b32_e32 v7, s5
	v_add_co_u32_e32 v3, vcc, s4, v3
	v_addc_co_u32_e32 v4, vcc, v4, v7, vcc
	v_add_co_u32_e32 v3, vcc, -8, v3
	v_addc_co_u32_e32 v4, vcc, -1, v4, vcc
	v_mul_u32_u24_e32 v7, 0x108, v9
	v_cndmask_b32_e64 v4, v4, v6, s[2:3]
	v_cndmask_b32_e64 v3, v3, v5, s[2:3]
	v_cmp_le_i32_e32 vcc, s18, v9
	v_add_u32_e32 v7, v10, v7
	s_and_saveexec_b64 s[8:9], vcc
	s_xor_b64 s[8:9], exec, s[8:9]
; %bb.11:
	v_mov_b32_e32 v12, 0
	v_mov_b32_e32 v13, v12
	ds_write_b64 v7, v[12:13]
; %bb.12:
	s_andn2_saveexec_b64 s[8:9], s[8:9]
	s_cbranch_execz .LBB180_14
; %bb.13:
	flat_load_dwordx2 v[12:13], v[3:4]
	s_waitcnt vmcnt(0) lgkmcnt(0)
	ds_write_b64 v7, v[12:13]
.LBB180_14:
	s_or_b64 exec, exec, s[8:9]
	v_add_u32_e32 v8, 8, v9
	v_cmp_le_i32_e32 vcc, s18, v8
	s_and_saveexec_b64 s[8:9], vcc
	s_xor_b64 s[8:9], exec, s[8:9]
; %bb.15:
	v_mov_b32_e32 v12, 0
	v_mov_b32_e32 v13, v12
	ds_write_b64 v7, v[12:13] offset:2112
; %bb.16:
	s_andn2_saveexec_b64 s[8:9], s[8:9]
	s_cbranch_execz .LBB180_18
; %bb.17:
	s_lshl_b64 s[10:11], s[22:23], 6
	v_mov_b32_e32 v8, s11
	v_add_co_u32_e32 v12, vcc, s10, v3
	v_addc_co_u32_e32 v13, vcc, v4, v8, vcc
	flat_load_dwordx2 v[12:13], v[12:13]
	s_waitcnt vmcnt(0) lgkmcnt(0)
	ds_write_b64 v7, v[12:13] offset:2112
.LBB180_18:
	s_or_b64 exec, exec, s[8:9]
	v_add_u32_e32 v8, 16, v9
	v_cmp_le_i32_e32 vcc, s18, v8
	s_and_saveexec_b64 s[8:9], vcc
	s_xor_b64 s[8:9], exec, s[8:9]
; %bb.19:
	v_mov_b32_e32 v12, 0
	v_mov_b32_e32 v13, v12
	ds_write_b64 v7, v[12:13] offset:4224
; %bb.20:
	s_andn2_saveexec_b64 s[8:9], s[8:9]
	s_cbranch_execz .LBB180_22
; %bb.21:
	s_lshl_b64 s[10:11], s[22:23], 7
	v_mov_b32_e32 v8, s11
	v_add_co_u32_e32 v12, vcc, s10, v3
	v_addc_co_u32_e32 v13, vcc, v4, v8, vcc
	flat_load_dwordx2 v[12:13], v[12:13]
	s_waitcnt vmcnt(0) lgkmcnt(0)
	ds_write_b64 v7, v[12:13] offset:4224
.LBB180_22:
	s_or_b64 exec, exec, s[8:9]
	v_add_u32_e32 v8, 24, v9
	v_cmp_le_i32_e32 vcc, s18, v8
	s_and_saveexec_b64 s[8:9], vcc
	s_xor_b64 s[8:9], exec, s[8:9]
; %bb.23:
	v_mov_b32_e32 v12, 0
	v_mov_b32_e32 v13, v12
	ds_write_b64 v7, v[12:13] offset:6336
                                        ; implicit-def: $vgpr7
; %bb.24:
	s_andn2_saveexec_b64 s[8:9], s[8:9]
	s_cbranch_execz .LBB180_26
; %bb.25:
	v_mov_b32_e32 v8, 0xc0
	v_mad_u64_u32 v[12:13], s[10:11], s22, v8, v[3:4]
	s_mul_i32 s10, s23, 0xc0
	v_add_u32_e32 v13, s10, v13
	flat_load_dwordx2 v[12:13], v[12:13]
	s_waitcnt vmcnt(0) lgkmcnt(0)
	ds_write_b64 v7, v[12:13] offset:6336
.LBB180_26:
	s_or_b64 exec, exec, s[8:9]
	v_add_co_u32_e32 v3, vcc, v3, v11
	v_addc_co_u32_e32 v4, vcc, 0, v4, vcc
	v_mov_b32_e32 v7, s5
	v_subrev_co_u32_e32 v3, vcc, s4, v3
	v_subb_co_u32_e32 v4, vcc, v4, v7, vcc
	v_add_co_u32_e32 v3, vcc, 8, v3
	v_addc_co_u32_e32 v4, vcc, 0, v4, vcc
	v_cndmask_b32_e64 v4, v4, v6, s[2:3]
	v_cndmask_b32_e64 v3, v3, v5, s[2:3]
	s_branch .LBB180_29
.LBB180_27:
                                        ; implicit-def: $vgpr3_vgpr4
	s_cbranch_execz .LBB180_29
; %bb.28:
	s_lshl_b64 s[2:3], s[22:23], 6
	v_mov_b32_e32 v13, s3
	v_add_co_u32_e32 v3, vcc, s2, v5
	v_addc_co_u32_e32 v4, vcc, v6, v13, vcc
	v_add_co_u32_e32 v7, vcc, s2, v3
	v_addc_co_u32_e32 v8, vcc, v4, v13, vcc
	;; [unrolled: 2-line block ×3, first 2 shown]
	flat_load_dwordx2 v[18:19], v[5:6]
	flat_load_dwordx2 v[20:21], v[3:4]
	;; [unrolled: 1-line block ×4, first 2 shown]
	v_mul_u32_u24_e32 v3, 0x108, v9
	v_lshl_add_u32 v3, v2, 3, v3
	s_waitcnt vmcnt(0) lgkmcnt(0)
	ds_write_b64 v3, v[18:19]
	ds_write_b64 v3, v[20:21] offset:2112
	ds_write_b64 v3, v[22:23] offset:4224
	;; [unrolled: 1-line block ×3, first 2 shown]
	v_mov_b32_e32 v3, v5
	v_mov_b32_e32 v4, v6
.LBB180_29:
	v_lshlrev_b32_e32 v18, 2, v9
	v_lshl_or_b32 v5, v2, 8, v10
	v_cmp_gt_u32_e64 s[4:5], v18, v2
	v_lshl_add_u32 v5, v18, 3, v5
	s_waitcnt lgkmcnt(0)
	s_barrier
	s_and_saveexec_b64 s[2:3], s[4:5]
	s_cbranch_execz .LBB180_31
; %bb.30:
	s_movk_i32 s8, 0x420
	v_mad_u32_u24 v6, v9, s8, v10
	ds_read_b64 v[6:7], v6
	s_waitcnt lgkmcnt(0)
	ds_write_b64 v5, v[6:7]
.LBB180_31:
	s_or_b64 exec, exec, s[2:3]
	v_or_b32_e32 v13, 1, v18
	v_cmp_ge_u32_e64 s[14:15], v18, v2
	s_and_saveexec_b64 s[2:3], s[14:15]
	s_cbranch_execz .LBB180_33
; %bb.32:
	s_movk_i32 s8, 0x108
	v_mad_u32_u24 v6, v13, s8, v10
	ds_read_b64 v[6:7], v6
	s_waitcnt lgkmcnt(0)
	ds_write_b64 v5, v[6:7] offset:8
.LBB180_33:
	s_or_b64 exec, exec, s[2:3]
	v_or_b32_e32 v6, 2, v18
	v_cmp_gt_u32_e64 s[8:9], v6, v2
	s_and_saveexec_b64 s[2:3], s[8:9]
	s_cbranch_execz .LBB180_35
; %bb.34:
	s_movk_i32 s10, 0x108
	v_mad_u32_u24 v6, v6, s10, v10
	ds_read_b64 v[6:7], v6
	s_waitcnt lgkmcnt(0)
	ds_write_b64 v5, v[6:7] offset:16
.LBB180_35:
	s_or_b64 exec, exec, s[2:3]
	v_or_b32_e32 v7, 3, v18
	v_cmp_gt_u32_e64 s[10:11], v7, v2
	v_cmp_le_u32_e32 vcc, v7, v2
                                        ; implicit-def: $vgpr6
	s_and_saveexec_b64 s[2:3], vcc
	s_xor_b64 s[2:3], exec, s[2:3]
; %bb.36:
	v_mul_u32_u24_e32 v6, 0x108, v7
                                        ; implicit-def: $vgpr7
                                        ; implicit-def: $vgpr5
; %bb.37:
	s_andn2_saveexec_b64 s[2:3], s[2:3]
	s_cbranch_execz .LBB180_39
; %bb.38:
	s_movk_i32 s12, 0x108
	v_mad_u32_u24 v6, v7, s12, v10
	ds_read_b64 v[19:20], v6
	v_mul_u32_u24_e32 v6, 0x108, v7
	s_waitcnt lgkmcnt(0)
	ds_write_b64 v5, v[19:20] offset:24
.LBB180_39:
	s_or_b64 exec, exec, s[2:3]
	s_movk_i32 s2, 0x420
	v_mad_u32_u24 v5, v9, s2, v10
	s_movk_i32 s2, 0x108
	v_mad_u32_u24 v12, v13, s2, v10
	s_waitcnt lgkmcnt(0)
	s_barrier
	v_lshlrev_b32_e32 v19, 3, v18
	ds_read_b64 v[7:8], v5
	ds_read_b128 v[20:23], v19 offset:9088
	ds_read_b128 v[25:28], v19 offset:9104
	ds_read2_b64 v[29:32], v12 offset1:33
	v_mov_b32_e32 v52, 0
	v_cmp_gt_u32_e64 s[2:3], 32, v24
	s_waitcnt lgkmcnt(2)
	v_mul_f32_e32 v5, v21, v8
	v_mul_f32_e32 v8, v20, v8
	v_fmac_f32_e32 v8, v21, v7
	s_waitcnt lgkmcnt(0)
	v_mul_f32_e32 v12, v22, v30
	v_fma_f32 v5, v20, v7, -v5
	v_add_f32_e32 v7, 0, v8
	v_mul_f32_e32 v8, v23, v30
	v_fmac_f32_e32 v12, v23, v29
	v_add_f32_e32 v5, 0, v5
	v_fma_f32 v8, v22, v29, -v8
	v_add_f32_e32 v7, v7, v12
	v_add_u32_e32 v12, v10, v6
	v_add_f32_e32 v8, v5, v8
	ds_read_b64 v[5:6], v12
	v_mul_f32_e32 v20, v26, v32
	v_fma_f32 v20, v25, v31, -v20
	v_mul_f32_e32 v21, v25, v32
	v_fmac_f32_e32 v21, v26, v31
	v_add_f32_e32 v8, v8, v20
	s_waitcnt lgkmcnt(0)
	v_mul_f32_e32 v20, v28, v6
	v_mul_f32_e32 v6, v27, v6
	v_add_f32_e32 v7, v7, v21
	v_fmac_f32_e32 v6, v28, v5
	v_add_f32_e32 v6, v7, v6
	v_mul_u32_u24_e32 v7, 33, v2
	v_fma_f32 v20, v27, v5, -v20
	v_lshlrev_b32_e32 v25, 3, v7
	v_add_f32_e32 v5, v8, v20
	v_lshl_add_u32 v26, v9, 3, v25
	v_mov_b32_e32 v53, 0
	s_barrier
	ds_write_b64 v26, v[5:6]
	s_waitcnt lgkmcnt(0)
	s_barrier
	s_and_saveexec_b64 s[12:13], s[2:3]
	s_cbranch_execz .LBB180_41
; %bb.40:
	ds_read2_b64 v[5:8], v25 offset1:7
	ds_read2_b64 v[20:23], v25 offset0:1 offset1:2
	ds_read2_b64 v[27:30], v25 offset0:3 offset1:4
	s_waitcnt lgkmcnt(1)
	v_add_f32_e32 v5, v20, v5
	v_add_f32_e32 v6, v21, v6
	;; [unrolled: 1-line block ×4, first 2 shown]
	ds_read2_b64 v[20:23], v25 offset0:5 offset1:6
	s_waitcnt lgkmcnt(1)
	v_add_f32_e32 v5, v5, v27
	v_add_f32_e32 v6, v6, v28
	;; [unrolled: 1-line block ×4, first 2 shown]
	s_waitcnt lgkmcnt(0)
	v_add_f32_e32 v5, v5, v20
	v_add_f32_e32 v6, v6, v21
	;; [unrolled: 1-line block ×6, first 2 shown]
.LBB180_41:
	s_or_b64 exec, exec, s[12:13]
	s_lshl_b64 s[12:13], s[22:23], 8
	v_mov_b32_e32 v6, s13
	v_add_co_u32_e32 v5, vcc, s12, v3
	v_addc_co_u32_e32 v6, vcc, v4, v6, vcc
	v_add_co_u32_e32 v3, vcc, 0x100, v5
	v_addc_co_u32_e32 v4, vcc, 0, v6, vcc
	s_and_b64 vcc, exec, s[30:31]
	s_barrier
	s_cbranch_vccz .LBB180_59
; %bb.42:
	v_sub_co_u32_e32 v8, vcc, v5, v11
	s_ashr_i32 s19, s18, 31
	v_subbrev_co_u32_e32 v20, vcc, 0, v6, vcc
	s_lshl_b64 s[34:35], s[18:19], 3
	v_mov_b32_e32 v21, s35
	v_add_co_u32_e32 v8, vcc, s34, v8
	v_addc_co_u32_e32 v20, vcc, v20, v21, vcc
	v_or_b32_e32 v7, 32, v2
	v_add_co_u32_e32 v21, vcc, -8, v8
	v_addc_co_u32_e32 v8, vcc, -1, v20, vcc
	v_cmp_gt_i32_e64 s[12:13], s18, v7
	s_sub_i32 s19, s18, 32
	v_mul_u32_u24_e32 v20, 0x108, v9
	v_cndmask_b32_e64 v8, v8, v4, s[12:13]
	v_cndmask_b32_e64 v7, v21, v3, s[12:13]
	v_cmp_le_i32_e32 vcc, s19, v9
	v_add_u32_e32 v20, v10, v20
	s_and_saveexec_b64 s[36:37], vcc
	s_xor_b64 s[36:37], exec, s[36:37]
; %bb.43:
	v_mov_b32_e32 v21, 0
	v_mov_b32_e32 v22, v21
	ds_write_b64 v20, v[21:22]
; %bb.44:
	s_andn2_saveexec_b64 s[36:37], s[36:37]
	s_cbranch_execz .LBB180_46
; %bb.45:
	flat_load_dwordx2 v[21:22], v[7:8]
	s_waitcnt vmcnt(0) lgkmcnt(0)
	ds_write_b64 v20, v[21:22]
.LBB180_46:
	s_or_b64 exec, exec, s[36:37]
	v_add_u32_e32 v21, 8, v9
	v_cmp_le_i32_e32 vcc, s19, v21
	s_and_saveexec_b64 s[36:37], vcc
	s_xor_b64 s[36:37], exec, s[36:37]
; %bb.47:
	v_mov_b32_e32 v21, 0
	v_mov_b32_e32 v22, v21
	ds_write_b64 v20, v[21:22] offset:2112
; %bb.48:
	s_andn2_saveexec_b64 s[36:37], s[36:37]
	s_cbranch_execz .LBB180_50
; %bb.49:
	s_lshl_b64 s[40:41], s[22:23], 6
	v_mov_b32_e32 v22, s41
	v_add_co_u32_e32 v21, vcc, s40, v7
	v_addc_co_u32_e32 v22, vcc, v8, v22, vcc
	flat_load_dwordx2 v[21:22], v[21:22]
	s_waitcnt vmcnt(0) lgkmcnt(0)
	ds_write_b64 v20, v[21:22] offset:2112
.LBB180_50:
	s_or_b64 exec, exec, s[36:37]
	v_add_u32_e32 v21, 16, v9
	v_cmp_le_i32_e32 vcc, s19, v21
	s_and_saveexec_b64 s[36:37], vcc
	s_xor_b64 s[36:37], exec, s[36:37]
; %bb.51:
	v_mov_b32_e32 v21, 0
	v_mov_b32_e32 v22, v21
	ds_write_b64 v20, v[21:22] offset:4224
; %bb.52:
	s_andn2_saveexec_b64 s[36:37], s[36:37]
	s_cbranch_execz .LBB180_54
; %bb.53:
	s_lshl_b64 s[40:41], s[22:23], 7
	v_mov_b32_e32 v22, s41
	v_add_co_u32_e32 v21, vcc, s40, v7
	v_addc_co_u32_e32 v22, vcc, v8, v22, vcc
	flat_load_dwordx2 v[21:22], v[21:22]
	s_waitcnt vmcnt(0) lgkmcnt(0)
	ds_write_b64 v20, v[21:22] offset:4224
.LBB180_54:
	s_or_b64 exec, exec, s[36:37]
	v_add_u32_e32 v21, 24, v9
	v_cmp_le_i32_e32 vcc, s19, v21
	s_and_saveexec_b64 s[36:37], vcc
	s_xor_b64 s[36:37], exec, s[36:37]
; %bb.55:
	v_mov_b32_e32 v21, 0
	v_mov_b32_e32 v22, v21
	ds_write_b64 v20, v[21:22] offset:6336
                                        ; implicit-def: $vgpr20
; %bb.56:
	s_andn2_saveexec_b64 s[36:37], s[36:37]
	s_cbranch_execz .LBB180_58
; %bb.57:
	v_mov_b32_e32 v21, 0xc0
	v_mad_u64_u32 v[21:22], s[40:41], s22, v21, v[7:8]
	s_mul_i32 s19, s23, 0xc0
	v_add_u32_e32 v22, s19, v22
	flat_load_dwordx2 v[21:22], v[21:22]
	s_waitcnt vmcnt(0) lgkmcnt(0)
	ds_write_b64 v20, v[21:22] offset:6336
.LBB180_58:
	s_or_b64 exec, exec, s[36:37]
	v_add_co_u32_e32 v7, vcc, v7, v11
	v_addc_co_u32_e32 v8, vcc, 0, v8, vcc
	v_mov_b32_e32 v20, s35
	v_subrev_co_u32_e32 v7, vcc, s34, v7
	v_subb_co_u32_e32 v8, vcc, v8, v20, vcc
	v_add_co_u32_e32 v7, vcc, 0x108, v7
	v_addc_co_u32_e32 v8, vcc, 0, v8, vcc
	v_cndmask_b32_e64 v8, v8, v4, s[12:13]
	v_cndmask_b32_e64 v7, v7, v3, s[12:13]
	v_mul_u32_u24_e32 v20, 0x420, v9
	s_branch .LBB180_61
.LBB180_59:
                                        ; implicit-def: $vgpr7_vgpr8
	v_mul_u32_u24_e32 v20, 0x420, v9
	s_cbranch_execz .LBB180_61
; %bb.60:
	s_lshl_b64 s[12:13], s[22:23], 6
	v_mov_b32_e32 v23, s13
	v_add_co_u32_e32 v7, vcc, s12, v5
	v_addc_co_u32_e32 v8, vcc, v6, v23, vcc
	v_add_co_u32_e32 v21, vcc, s12, v7
	v_addc_co_u32_e32 v22, vcc, v8, v23, vcc
	;; [unrolled: 2-line block ×3, first 2 shown]
	flat_load_dwordx2 v[29:30], v[5:6] offset:256
	flat_load_dwordx2 v[31:32], v[7:8] offset:256
	;; [unrolled: 1-line block ×4, first 2 shown]
	s_movk_i32 s12, 0x108
	v_mov_b32_e32 v8, v4
	v_mad_u32_u24 v5, v9, s12, v10
	v_mov_b32_e32 v7, v3
	s_waitcnt vmcnt(0) lgkmcnt(0)
	ds_write_b64 v5, v[29:30]
	ds_write_b64 v5, v[31:32] offset:2112
	ds_write_b64 v5, v[33:34] offset:4224
	;; [unrolled: 1-line block ×3, first 2 shown]
.LBB180_61:
	v_mul_u32_u24_e32 v4, 0x108, v13
	v_add_u32_e32 v13, v10, v20
	v_lshl_add_u32 v3, v18, 3, v25
	s_waitcnt lgkmcnt(0)
	s_barrier
	s_and_saveexec_b64 s[12:13], s[4:5]
	s_cbranch_execz .LBB180_65
; %bb.62:
	ds_read_b64 v[5:6], v13
	s_waitcnt lgkmcnt(0)
	ds_write_b64 v3, v[5:6]
	s_or_b64 exec, exec, s[12:13]
	v_add_u32_e32 v27, v10, v4
	s_and_saveexec_b64 s[4:5], s[14:15]
	s_cbranch_execnz .LBB180_66
.LBB180_63:
	s_or_b64 exec, exec, s[4:5]
	s_and_saveexec_b64 s[4:5], s[8:9]
	s_cbranch_execz .LBB180_67
.LBB180_64:
	ds_read_b64 v[4:5], v27 offset:264
	s_waitcnt lgkmcnt(0)
	ds_write_b64 v3, v[4:5] offset:16
	s_or_b64 exec, exec, s[4:5]
	v_add_u32_e32 v28, 0x2380, v19
	s_and_saveexec_b64 s[4:5], s[10:11]
	s_cbranch_execnz .LBB180_68
	s_branch .LBB180_69
.LBB180_65:
	s_or_b64 exec, exec, s[12:13]
	v_add_u32_e32 v27, v10, v4
	s_and_saveexec_b64 s[4:5], s[14:15]
	s_cbranch_execz .LBB180_63
.LBB180_66:
	ds_read_b64 v[4:5], v27
	s_waitcnt lgkmcnt(0)
	ds_write_b64 v3, v[4:5] offset:8
	s_or_b64 exec, exec, s[4:5]
	s_and_saveexec_b64 s[4:5], s[8:9]
	s_cbranch_execnz .LBB180_64
.LBB180_67:
	s_or_b64 exec, exec, s[4:5]
	v_add_u32_e32 v28, 0x2380, v19
	s_and_saveexec_b64 s[4:5], s[10:11]
	s_cbranch_execz .LBB180_69
.LBB180_68:
	ds_read_b64 v[4:5], v12
	s_waitcnt lgkmcnt(0)
	ds_write_b64 v3, v[4:5] offset:24
.LBB180_69:
	s_or_b64 exec, exec, s[4:5]
	s_waitcnt lgkmcnt(0)
	s_barrier
	ds_read_b64 v[22:23], v13
	ds_read_b128 v[3:6], v28 offset:256
	ds_read_b128 v[18:21], v28 offset:272
	ds_read_b64 v[33:34], v12
	v_cmp_eq_u32_e64 s[4:5], 1, v9
	s_waitcnt lgkmcnt(2)
	v_mul_f32_e32 v29, v4, v23
	v_fma_f32 v35, v3, v22, -v29
	ds_read2_b64 v[29:32], v27 offset1:33
	v_mul_f32_e32 v3, v3, v23
	v_fmac_f32_e32 v3, v4, v22
	v_add_f32_e32 v3, 0, v3
	v_add_f32_e32 v4, 0, v35
	s_waitcnt lgkmcnt(0)
	v_mul_f32_e32 v22, v6, v30
	v_fma_f32 v22, v5, v29, -v22
	v_mul_f32_e32 v5, v5, v30
	v_fmac_f32_e32 v5, v6, v29
	v_add_f32_e32 v3, v3, v5
	v_mul_f32_e32 v5, v19, v32
	v_mul_f32_e32 v6, v18, v32
	v_add_f32_e32 v4, v4, v22
	v_fma_f32 v5, v18, v31, -v5
	v_fmac_f32_e32 v6, v19, v31
	v_add_f32_e32 v4, v4, v5
	v_add_f32_e32 v5, v3, v6
	v_mul_f32_e32 v3, v21, v34
	v_mul_f32_e32 v6, v20, v34
	v_fma_f32 v3, v20, v33, -v3
	v_fmac_f32_e32 v6, v21, v33
	v_add_f32_e32 v3, v4, v3
	v_add_f32_e32 v4, v5, v6
	s_barrier
	ds_write_b64 v26, v[3:4]
	s_waitcnt lgkmcnt(0)
	s_barrier
	s_and_saveexec_b64 s[8:9], s[4:5]
	s_cbranch_execz .LBB180_71
; %bb.70:
	ds_read2_b64 v[3:6], v25 offset1:7
	ds_read2_b64 v[18:21], v25 offset0:1 offset1:2
	ds_read2_b64 v[29:32], v25 offset0:3 offset1:4
	s_waitcnt lgkmcnt(1)
	v_add_f32_e32 v3, v18, v3
	v_add_f32_e32 v4, v19, v4
	;; [unrolled: 1-line block ×4, first 2 shown]
	ds_read2_b64 v[18:21], v25 offset0:5 offset1:6
	s_waitcnt lgkmcnt(1)
	v_add_f32_e32 v3, v3, v29
	v_add_f32_e32 v4, v4, v30
	;; [unrolled: 1-line block ×4, first 2 shown]
	s_waitcnt lgkmcnt(0)
	v_add_f32_e32 v3, v3, v18
	v_add_f32_e32 v4, v4, v19
	;; [unrolled: 1-line block ×6, first 2 shown]
.LBB180_71:
	s_or_b64 exec, exec, s[8:9]
	v_add_co_u32_e32 v3, vcc, 0xffffff00, v7
	v_addc_co_u32_e32 v4, vcc, -1, v8, vcc
	s_and_b64 vcc, exec, s[30:31]
	s_barrier
	s_cbranch_vccz .LBB180_89
; %bb.72:
	v_sub_co_u32_e32 v5, vcc, v3, v11
	s_ashr_i32 s19, s18, 31
	v_subbrev_co_u32_e32 v6, vcc, 0, v4, vcc
	s_lshl_b64 s[10:11], s[18:19], 3
	v_mov_b32_e32 v7, s11
	v_add_co_u32_e32 v5, vcc, s10, v5
	v_addc_co_u32_e32 v6, vcc, v6, v7, vcc
	v_add_co_u32_e32 v5, vcc, -8, v5
	v_addc_co_u32_e32 v6, vcc, -1, v6, vcc
	v_cmp_gt_i32_e32 vcc, s18, v2
	s_sub_i32 s14, s18, 32
	v_mul_u32_u24_e32 v2, 0x108, v9
	v_cndmask_b32_e32 v6, v6, v4, vcc
	v_cndmask_b32_e32 v5, v5, v3, vcc
	v_cmp_le_i32_e64 s[8:9], s14, v9
	v_add_u32_e32 v18, v10, v2
	s_and_saveexec_b64 s[12:13], s[8:9]
	s_xor_b64 s[8:9], exec, s[12:13]
; %bb.73:
	v_mov_b32_e32 v7, 0
	v_mov_b32_e32 v8, v7
	ds_write_b64 v18, v[7:8]
; %bb.74:
	s_andn2_saveexec_b64 s[8:9], s[8:9]
	s_cbranch_execz .LBB180_76
; %bb.75:
	flat_load_dwordx2 v[7:8], v[5:6]
	s_waitcnt vmcnt(0) lgkmcnt(0)
	ds_write_b64 v18, v[7:8]
.LBB180_76:
	s_or_b64 exec, exec, s[8:9]
	v_add_u32_e32 v7, 8, v9
	v_cmp_le_i32_e64 s[8:9], s14, v7
	s_and_saveexec_b64 s[12:13], s[8:9]
	s_xor_b64 s[8:9], exec, s[12:13]
; %bb.77:
	v_mov_b32_e32 v19, 0
	v_mov_b32_e32 v20, v19
	ds_write_b64 v18, v[19:20] offset:2112
; %bb.78:
	s_andn2_saveexec_b64 s[12:13], s[8:9]
	s_cbranch_execz .LBB180_80
; %bb.79:
	s_lshl_b64 s[8:9], s[22:23], 6
	v_mov_b32_e32 v2, s9
	v_add_co_u32_e64 v19, s[8:9], s8, v5
	v_addc_co_u32_e64 v20, s[8:9], v6, v2, s[8:9]
	flat_load_dwordx2 v[19:20], v[19:20]
	s_waitcnt vmcnt(0) lgkmcnt(0)
	ds_write_b64 v18, v[19:20] offset:2112
.LBB180_80:
	s_or_b64 exec, exec, s[12:13]
	v_add_u32_e32 v2, 16, v9
	v_cmp_le_i32_e64 s[8:9], s14, v2
	s_and_saveexec_b64 s[12:13], s[8:9]
	s_xor_b64 s[8:9], exec, s[12:13]
; %bb.81:
	v_mov_b32_e32 v19, 0
	v_mov_b32_e32 v20, v19
	ds_write_b64 v18, v[19:20] offset:4224
; %bb.82:
	s_andn2_saveexec_b64 s[12:13], s[8:9]
	s_cbranch_execz .LBB180_84
; %bb.83:
	s_lshl_b64 s[8:9], s[22:23], 7
	v_mov_b32_e32 v8, s9
	v_add_co_u32_e64 v19, s[8:9], s8, v5
	v_addc_co_u32_e64 v20, s[8:9], v6, v8, s[8:9]
	flat_load_dwordx2 v[19:20], v[19:20]
	s_waitcnt vmcnt(0) lgkmcnt(0)
	ds_write_b64 v18, v[19:20] offset:4224
.LBB180_84:
	s_or_b64 exec, exec, s[12:13]
	v_add_u32_e32 v8, 24, v9
	v_cmp_le_i32_e64 s[8:9], s14, v8
	s_and_saveexec_b64 s[12:13], s[8:9]
	s_xor_b64 s[8:9], exec, s[12:13]
; %bb.85:
	v_mov_b32_e32 v19, 0
	v_mov_b32_e32 v20, v19
	ds_write_b64 v18, v[19:20] offset:6336
                                        ; implicit-def: $vgpr18
; %bb.86:
	s_andn2_saveexec_b64 s[8:9], s[8:9]
	s_cbranch_execz .LBB180_88
; %bb.87:
	v_mov_b32_e32 v19, 0xc0
	v_mad_u64_u32 v[19:20], s[12:13], s22, v19, v[5:6]
	s_mul_i32 s12, s23, 0xc0
	v_add_u32_e32 v20, s12, v20
	flat_load_dwordx2 v[19:20], v[19:20]
	s_waitcnt vmcnt(0) lgkmcnt(0)
	ds_write_b64 v18, v[19:20] offset:6336
.LBB180_88:
	s_or_b64 exec, exec, s[8:9]
	v_add_co_u32_e64 v5, s[8:9], v5, v11
	v_addc_co_u32_e64 v6, s[8:9], 0, v6, s[8:9]
	v_mov_b32_e32 v11, s11
	v_subrev_co_u32_e64 v5, s[8:9], s10, v5
	v_subb_co_u32_e64 v6, s[8:9], v6, v11, s[8:9]
	v_add_co_u32_e64 v5, s[8:9], 8, v5
	v_addc_co_u32_e64 v6, s[8:9], 0, v6, s[8:9]
	v_cndmask_b32_e32 v19, v6, v4, vcc
	v_cndmask_b32_e32 v18, v5, v3, vcc
	s_branch .LBB180_91
.LBB180_89:
                                        ; implicit-def: $vgpr18_vgpr19
                                        ; implicit-def: $vgpr7
                                        ; implicit-def: $vgpr2
                                        ; implicit-def: $vgpr8
	s_cbranch_execz .LBB180_91
; %bb.90:
	s_lshl_b64 s[8:9], s[22:23], 6
	v_mov_b32_e32 v2, s9
	v_add_co_u32_e32 v5, vcc, s8, v3
	v_addc_co_u32_e32 v6, vcc, v4, v2, vcc
	v_add_co_u32_e32 v7, vcc, s8, v5
	v_addc_co_u32_e32 v8, vcc, v6, v2, vcc
	;; [unrolled: 2-line block ×3, first 2 shown]
	flat_load_dwordx2 v[20:21], v[3:4]
	flat_load_dwordx2 v[22:23], v[5:6]
	;; [unrolled: 1-line block ×4, first 2 shown]
	s_movk_i32 s8, 0x108
	v_mov_b32_e32 v19, v4
	v_add_u32_e32 v7, 8, v9
	v_add_u32_e32 v2, 16, v9
	;; [unrolled: 1-line block ×3, first 2 shown]
	v_mad_u32_u24 v5, v9, s8, v10
	v_mov_b32_e32 v18, v3
	s_waitcnt vmcnt(0) lgkmcnt(0)
	ds_write_b64 v5, v[20:21]
	ds_write_b64 v5, v[22:23] offset:2112
	ds_write_b64 v5, v[29:30] offset:4224
	;; [unrolled: 1-line block ×3, first 2 shown]
.LBB180_91:
	v_lshlrev_b32_e32 v3, 3, v9
	v_add_u32_e32 v4, v25, v3
	v_lshlrev_b32_e32 v5, 3, v7
	s_waitcnt lgkmcnt(0)
	s_barrier
	ds_read_b64 v[29:30], v4
	ds_read_b64 v[31:32], v5 offset:9088
	ds_read_b64 v[33:34], v3 offset:9088
	ds_read_b64 v[20:21], v12
	v_add_u32_e32 v4, v25, v5
	ds_read_b64 v[35:36], v4
	v_lshlrev_b32_e32 v2, 3, v2
	s_waitcnt lgkmcnt(2)
	v_mul_f32_e32 v3, v34, v30
	v_add_u32_e32 v4, v25, v2
	v_fma_f32 v3, v33, v29, -v3
	v_lshlrev_b32_e32 v5, 3, v8
	ds_read_b64 v[37:38], v4
	ds_read_b64 v[39:40], v5 offset:9088
	ds_read_b64 v[41:42], v2 offset:9088
	s_waitcnt lgkmcnt(3)
	v_mul_f32_e32 v2, v32, v36
	v_add_f32_e32 v3, 0, v3
	v_fma_f32 v2, v31, v35, -v2
	v_add_f32_e32 v2, v3, v2
	v_add_u32_e32 v3, v25, v5
	ds_read_b64 v[43:44], v3
	ds_read_b64 v[22:23], v13
	s_waitcnt lgkmcnt(2)
	v_mul_f32_e32 v3, v42, v38
	v_fma_f32 v3, v41, v37, -v3
	v_add_f32_e32 v2, v2, v3
	s_waitcnt lgkmcnt(1)
	v_mul_f32_e32 v3, v40, v44
	v_fma_f32 v3, v39, v43, -v3
	v_add_f32_e32 v45, v2, v3
	ds_read_b128 v[10:13], v28 offset:256
	ds_read_b128 v[2:5], v28 offset:272
	ds_read2_b64 v[6:9], v27 offset1:33
	v_mul_f32_e32 v27, v33, v30
	v_fmac_f32_e32 v27, v34, v29
	v_mul_f32_e32 v28, v31, v36
	v_add_f32_e32 v27, 0, v27
	v_fmac_f32_e32 v28, v32, v35
	v_add_f32_e32 v27, v27, v28
	v_mul_f32_e32 v28, v41, v38
	v_fmac_f32_e32 v28, v42, v37
	v_add_f32_e32 v27, v27, v28
	v_mul_f32_e32 v28, v39, v44
	v_fmac_f32_e32 v28, v40, v43
	v_add_f32_e32 v46, v27, v28
	s_waitcnt lgkmcnt(0)
	s_barrier
	ds_write_b64 v26, v[45:46]
	s_waitcnt lgkmcnt(0)
	s_barrier
	s_and_saveexec_b64 s[8:9], s[4:5]
	s_cbranch_execz .LBB180_93
; %bb.92:
	ds_read2_b64 v[27:30], v25 offset1:1
	ds_read2_b64 v[31:34], v25 offset0:2 offset1:3
	ds_read2_b64 v[35:38], v25 offset0:4 offset1:5
	s_waitcnt lgkmcnt(2)
	v_add_f32_e32 v27, v52, v27
	v_add_f32_e32 v28, v53, v28
	;; [unrolled: 1-line block ×4, first 2 shown]
	s_waitcnt lgkmcnt(1)
	v_add_f32_e32 v27, v27, v31
	v_add_f32_e32 v28, v28, v32
	;; [unrolled: 1-line block ×4, first 2 shown]
	ds_read2_b64 v[27:30], v25 offset0:6 offset1:7
	s_waitcnt lgkmcnt(1)
	v_add_f32_e32 v31, v31, v35
	v_add_f32_e32 v32, v32, v36
	;; [unrolled: 1-line block ×4, first 2 shown]
	s_waitcnt lgkmcnt(0)
	v_add_f32_e32 v27, v31, v27
	v_add_f32_e32 v28, v32, v28
	;; [unrolled: 1-line block ×4, first 2 shown]
.LBB180_93:
	s_or_b64 exec, exec, s[8:9]
	v_mul_f32_e32 v27, v11, v23
	v_fma_f32 v27, v10, v22, -v27
	v_mul_f32_e32 v10, v10, v23
	v_fmac_f32_e32 v10, v11, v22
	v_mul_f32_e32 v22, v13, v7
	v_mul_f32_e32 v7, v12, v7
	v_add_f32_e32 v10, 0, v10
	v_fmac_f32_e32 v7, v13, v6
	v_add_f32_e32 v7, v10, v7
	v_mul_f32_e32 v10, v3, v9
	v_add_f32_e32 v11, 0, v27
	v_fma_f32 v22, v12, v6, -v22
	v_fma_f32 v10, v2, v8, -v10
	v_mul_f32_e32 v2, v2, v9
	v_add_f32_e32 v6, v11, v22
	v_fmac_f32_e32 v2, v3, v8
	v_add_f32_e32 v3, v6, v10
	v_add_f32_e32 v6, v7, v2
	v_mul_f32_e32 v2, v5, v21
	v_fma_f32 v2, v4, v20, -v2
	v_mul_f32_e32 v4, v4, v21
	v_fmac_f32_e32 v4, v5, v20
	v_add_f32_e32 v2, v3, v2
	v_add_f32_e32 v3, v6, v4
	s_barrier
	ds_write_b64 v26, v[2:3]
	s_waitcnt lgkmcnt(0)
	s_barrier
	s_and_saveexec_b64 s[4:5], s[2:3]
	s_cbranch_execz .LBB180_95
; %bb.94:
	ds_read2_b64 v[2:5], v25 offset1:1
	ds_read2_b64 v[6:9], v25 offset0:2 offset1:3
	ds_read2_b64 v[10:13], v25 offset0:4 offset1:5
	s_waitcnt lgkmcnt(2)
	v_add_f32_e32 v2, v52, v2
	v_add_f32_e32 v3, v53, v3
	;; [unrolled: 1-line block ×4, first 2 shown]
	s_waitcnt lgkmcnt(1)
	v_add_f32_e32 v2, v2, v6
	v_add_f32_e32 v3, v3, v7
	;; [unrolled: 1-line block ×4, first 2 shown]
	ds_read2_b64 v[2:5], v25 offset0:6 offset1:7
	s_waitcnt lgkmcnt(1)
	v_add_f32_e32 v6, v6, v10
	v_add_f32_e32 v7, v7, v11
	v_add_f32_e32 v6, v6, v12
	v_add_f32_e32 v7, v7, v13
	s_waitcnt lgkmcnt(0)
	v_add_f32_e32 v2, v6, v2
	v_add_f32_e32 v3, v7, v3
	;; [unrolled: 1-line block ×4, first 2 shown]
.LBB180_95:
	s_or_b64 exec, exec, s[4:5]
	s_mul_hi_u32 s2, s33, s26
	s_mul_i32 s38, s38, s26
	s_add_i32 s2, s2, s38
	s_mul_i32 s4, s33, s26
	s_mul_i32 s2, s2, s7
	s_mul_hi_u32 s3, s4, s7
	s_add_i32 s3, s3, s2
	s_mul_i32 s2, s4, s7
	s_lshl_b64 s[2:3], s[2:3], 3
	s_add_u32 s4, s28, s2
	s_addc_u32 s5, s29, s3
	s_mul_hi_i32 s3, s33, s6
	s_mul_i32 s2, s33, s6
	s_lshl_b64 s[2:3], s[2:3], 3
	s_add_u32 s19, s4, s2
	s_addc_u32 s26, s5, s3
	s_add_i32 s2, s6, 1
	s_cmp_ge_u32 s2, s7
	v_lshlrev_b32_e32 v87, 3, v0
	s_barrier
	s_cbranch_scc1 .LBB180_153
; %bb.96:
	s_mul_i32 s2, s16, s25
	s_mul_hi_u32 s3, s16, s24
	s_add_i32 s2, s3, s2
	s_mul_i32 s3, s17, s24
	s_add_i32 s3, s2, s3
	s_mul_i32 s2, s16, s24
	s_lshl_b64 s[2:3], s[2:3], 3
	v_mov_b32_e32 v2, s3
	v_subrev_co_u32_e32 v89, vcc, s2, v16
	v_subb_co_u32_e32 v90, vcc, v17, v2, vcc
	v_lshrrev_b32_e32 v2, 4, v24
	v_lshlrev_b32_e32 v4, 5, v2
	v_mul_i32_i24_e32 v8, 0xffffffe8, v2
	v_and_b32_e32 v2, 48, v0
	v_and_b32_e32 v3, 15, v0
	v_lshlrev_b32_e32 v7, 5, v1
	s_movk_i32 s4, 0x218
	v_lshlrev_b32_e32 v2, 3, v2
	v_mad_u32_u24 v95, v3, s4, v4
	v_mad_u32_u24 v96, v3, s4, v2
	v_or_b32_e32 v2, 0x78, v87
	v_add_u32_e32 v4, 0x110, v7
	v_mad_u32_u24 v97, v3, s4, v2
	v_mad_u64_u32 v[2:3], s[4:5], s22, v4, 0
	v_add_u32_e32 v6, 0x108, v7
	v_add_u32_e32 v17, 0x190, v7
	v_mad_u64_u32 v[3:4], s[4:5], s23, v4, v[3:4]
	v_mad_u64_u32 v[4:5], s[4:5], s22, v6, 0
	v_sub_co_u32_e32 v9, vcc, v2, v14
	v_mov_b32_e32 v2, v5
	v_subb_co_u32_e32 v10, vcc, v3, v15, vcc
	v_mad_u64_u32 v[2:3], s[4:5], s23, v6, v[2:3]
	v_add_u32_e32 v3, 0x100, v7
	v_mad_u64_u32 v[5:6], s[4:5], s22, v3, 0
	v_sub_co_u32_e32 v11, vcc, v4, v14
	v_subb_co_u32_e32 v12, vcc, v2, v15, vcc
	v_mov_b32_e32 v2, v6
	v_mad_u64_u32 v[2:3], s[4:5], s23, v3, v[2:3]
	v_add_u32_e32 v6, 0x118, v7
	v_mad_u64_u32 v[3:4], s[4:5], s22, v6, 0
	v_sub_co_u32_e32 v13, vcc, v5, v14
	v_subb_co_u32_e32 v16, vcc, v2, v15, vcc
	v_mov_b32_e32 v2, v4
	v_mad_u64_u32 v[4:5], s[4:5], s23, v6, v[2:3]
	v_mad_u64_u32 v[5:6], s[4:5], s22, v17, 0
	v_sub_co_u32_e32 v20, vcc, v3, v14
	v_mov_b32_e32 v2, v6
	v_mad_u64_u32 v[2:3], s[4:5], s23, v17, v[2:3]
	v_add_u32_e32 v6, 0x188, v7
	v_subb_co_u32_e32 v21, vcc, v4, v15, vcc
	v_mad_u64_u32 v[3:4], s[4:5], s22, v6, 0
	v_sub_co_u32_e32 v17, vcc, v5, v14
	v_subb_co_u32_e32 v22, vcc, v2, v15, vcc
	v_mov_b32_e32 v2, v4
	v_mad_u64_u32 v[4:5], s[4:5], s23, v6, v[2:3]
	v_add_u32_e32 v23, 0x180, v7
	v_mad_u64_u32 v[5:6], s[4:5], s22, v23, 0
	s_movk_i32 s2, 0x860
	v_mad_u32_u24 v94, v1, s2, v87
	v_mov_b32_e32 v2, v6
	v_cmp_gt_u32_e64 s[2:3], 64, v24
	v_sub_co_u32_e32 v24, vcc, v3, v14
	v_mad_u64_u32 v[2:3], s[4:5], s23, v23, v[2:3]
	v_add_u32_e32 v6, 0x198, v7
	v_subb_co_u32_e32 v25, vcc, v4, v15, vcc
	v_mad_u64_u32 v[3:4], s[4:5], s22, v6, 0
	v_sub_co_u32_e32 v23, vcc, v5, v14
	v_subb_co_u32_e32 v26, vcc, v2, v15, vcc
	v_mov_b32_e32 v2, v4
	v_mad_u64_u32 v[4:5], s[4:5], s23, v6, v[2:3]
	v_add_u32_e32 v27, 0x210, v7
	v_mad_u64_u32 v[5:6], s[4:5], s22, v27, 0
	v_sub_co_u32_e32 v28, vcc, v3, v14
	v_mov_b32_e32 v2, v6
	v_mad_u64_u32 v[2:3], s[4:5], s23, v27, v[2:3]
	v_add_u32_e32 v6, 0x208, v7
	v_subb_co_u32_e32 v29, vcc, v4, v15, vcc
	v_mad_u64_u32 v[3:4], s[4:5], s22, v6, 0
	v_sub_co_u32_e32 v27, vcc, v5, v14
	v_subb_co_u32_e32 v30, vcc, v2, v15, vcc
	v_mov_b32_e32 v2, v4
	v_mad_u64_u32 v[4:5], s[4:5], s23, v6, v[2:3]
	v_add_u32_e32 v31, 0x200, v7
	v_mad_u64_u32 v[5:6], s[4:5], s22, v31, 0
	v_sub_co_u32_e32 v32, vcc, v3, v14
	v_mov_b32_e32 v2, v6
	;; [unrolled: 12-line block ×4, first 2 shown]
	v_mad_u64_u32 v[2:3], s[4:5], s23, v39, v[2:3]
	v_add_u32_e32 v6, 0x298, v7
	v_subb_co_u32_e32 v41, vcc, v4, v15, vcc
	v_mad_u64_u32 v[3:4], s[4:5], s22, v6, 0
	v_add_u32_e32 v92, 0x2180, v7
	v_sub_co_u32_e32 v7, vcc, v5, v14
	v_subb_co_u32_e32 v39, vcc, v2, v15, vcc
	v_mov_b32_e32 v2, v4
	v_mad_u64_u32 v[4:5], s[4:5], s23, v6, v[2:3]
	v_sub_co_u32_e32 v2, vcc, v3, v14
	v_subb_co_u32_e32 v3, vcc, v4, v15, vcc
	v_add_co_u32_e32 v110, vcc, v18, v9
	v_addc_co_u32_e32 v111, vcc, v19, v10, vcc
	v_add_co_u32_e32 v112, vcc, v18, v11
	v_addc_co_u32_e32 v113, vcc, v19, v12, vcc
	;; [unrolled: 2-line block ×15, first 2 shown]
	v_lshlrev_b32_e32 v88, 2, v1
	v_add_co_u32_e32 v140, vcc, v18, v2
	s_add_i32 s25, s7, -2
	v_add_u32_e32 v91, 0x2180, v87
	v_add_u32_e32 v93, 0x2380, v87
	v_or_b32_e32 v98, 1, v88
	v_or_b32_e32 v99, 2, v88
	;; [unrolled: 1-line block ×3, first 2 shown]
	v_add_u32_e32 v101, 16, v88
	v_add_u32_e32 v102, 17, v88
	;; [unrolled: 1-line block ×9, first 2 shown]
	v_addc_co_u32_e32 v141, vcc, v19, v3, vcc
	v_add_u32_e32 v142, 49, v88
	v_add_u32_e32 v143, 50, v88
	s_add_i32 s24, s24, 64
	s_lshl_b64 s[10:11], s[22:23], 9
	v_add_u32_e32 v144, v95, v8
	v_add_u32_e32 v145, 51, v88
	v_mov_b32_e32 v54, 0
	s_cmp_eq_u32 s25, s6
	s_cselect_b32 s22, s27, 0
	s_and_saveexec_b64 s[4:5], s[0:1]
	s_cbranch_execz .LBB180_102
	s_branch .LBB180_98
.LBB180_97:                             ;   in Loop: Header=BB180_102 Depth=1
	s_mov_b32 s6, s4
	s_cmp_eq_u32 s25, s6
	s_cselect_b32 s22, s27, 0
	s_and_saveexec_b64 s[4:5], s[0:1]
	s_cbranch_execz .LBB180_102
.LBB180_98:
	s_cmp_lg_u32 s22, 0
	s_cselect_b64 s[8:9], -1, 0
	v_cmp_le_i32_e32 vcc, s22, v0
	s_and_b64 s[8:9], s[8:9], vcc
	s_and_saveexec_b64 s[12:13], s[8:9]
	s_xor_b64 s[8:9], exec, s[12:13]
; %bb.99:
	v_mov_b32_e32 v55, v54
	ds_write_b64 v91, v[54:55]
; %bb.100:
	s_andn2_saveexec_b64 s[8:9], s[8:9]
	s_cbranch_execz .LBB180_102
; %bb.101:
	s_ashr_i32 s8, s24, 31
	s_mul_hi_u32 s9, s16, s24
	s_mul_i32 s8, s16, s8
	s_add_i32 s8, s9, s8
	s_mul_i32 s9, s17, s24
	s_add_i32 s9, s8, s9
	s_mul_i32 s8, s16, s24
	s_lshl_b64 s[8:9], s[8:9], 3
	v_mov_b32_e32 v3, s9
	v_add_co_u32_e32 v2, vcc, s8, v89
	v_addc_co_u32_e32 v3, vcc, v90, v3, vcc
	flat_load_dwordx2 v[2:3], v[2:3]
	s_waitcnt vmcnt(0) lgkmcnt(0)
	ds_write_b64 v91, v[2:3]
.LBB180_102:                            ; =>This Inner Loop Header: Depth=1
	s_or_b64 exec, exec, s[4:5]
	s_cmp_eq_u32 s22, 0
	v_add_co_u32_e32 v2, vcc, v114, v87
	s_cselect_b64 s[12:13], -1, 0
	s_cmp_lg_u32 s22, 0
	v_addc_co_u32_e32 v3, vcc, 0, v115, vcc
	s_cselect_b64 s[8:9], -1, 0
	s_and_b64 vcc, exec, s[8:9]
	s_waitcnt lgkmcnt(0)
	s_barrier
	s_cbranch_vccz .LBB180_110
; %bb.103:                              ;   in Loop: Header=BB180_102 Depth=1
	v_mov_b32_e32 v57, 0
	v_mov_b32_e32 v55, 0
	;; [unrolled: 1-line block ×4, first 2 shown]
	v_cmp_gt_i32_e32 vcc, s22, v88
	s_and_saveexec_b64 s[4:5], vcc
	s_cbranch_execz .LBB180_105
; %bb.104:                              ;   in Loop: Header=BB180_102 Depth=1
	flat_load_dwordx2 v[55:56], v[2:3]
.LBB180_105:                            ;   in Loop: Header=BB180_102 Depth=1
	s_or_b64 exec, exec, s[4:5]
	v_cmp_gt_i32_e32 vcc, s22, v98
	s_and_saveexec_b64 s[4:5], vcc
	s_cbranch_execz .LBB180_107
; %bb.106:                              ;   in Loop: Header=BB180_102 Depth=1
	v_add_co_u32_e32 v4, vcc, v112, v87
	v_addc_co_u32_e32 v5, vcc, 0, v113, vcc
	flat_load_dwordx2 v[57:58], v[4:5]
.LBB180_107:                            ;   in Loop: Header=BB180_102 Depth=1
	s_or_b64 exec, exec, s[4:5]
	v_mov_b32_e32 v59, 0
	v_mov_b32_e32 v60, 0
	v_cmp_gt_i32_e32 vcc, s22, v99
	s_and_saveexec_b64 s[4:5], vcc
	s_cbranch_execz .LBB180_109
; %bb.108:                              ;   in Loop: Header=BB180_102 Depth=1
	v_add_co_u32_e32 v4, vcc, v110, v87
	v_addc_co_u32_e32 v5, vcc, 0, v111, vcc
	flat_load_dwordx2 v[59:60], v[4:5]
.LBB180_109:                            ;   in Loop: Header=BB180_102 Depth=1
	s_or_b64 exec, exec, s[4:5]
	v_cmp_gt_i32_e64 s[4:5], s22, v100
	s_branch .LBB180_112
.LBB180_110:                            ;   in Loop: Header=BB180_102 Depth=1
	s_mov_b64 s[4:5], 0
                                        ; implicit-def: $vgpr59_vgpr60
                                        ; implicit-def: $vgpr57_vgpr58
                                        ; implicit-def: $vgpr55_vgpr56
	s_cbranch_execz .LBB180_112
; %bb.111:                              ;   in Loop: Header=BB180_102 Depth=1
	s_waitcnt vmcnt(0) lgkmcnt(0)
	flat_load_dwordx2 v[55:56], v[2:3]
	v_add_co_u32_e32 v2, vcc, v112, v87
	v_addc_co_u32_e32 v3, vcc, 0, v113, vcc
	flat_load_dwordx2 v[57:58], v[2:3]
	v_add_co_u32_e32 v2, vcc, v110, v87
	v_addc_co_u32_e32 v3, vcc, 0, v111, vcc
	flat_load_dwordx2 v[59:60], v[2:3]
	s_or_b64 s[4:5], s[4:5], exec
.LBB180_112:                            ;   in Loop: Header=BB180_102 Depth=1
	v_mov_b32_e32 v61, 0
	v_mov_b32_e32 v62, 0
	s_and_saveexec_b64 s[14:15], s[4:5]
	s_cbranch_execz .LBB180_114
; %bb.113:                              ;   in Loop: Header=BB180_102 Depth=1
	v_add_co_u32_e32 v2, vcc, v116, v87
	v_addc_co_u32_e32 v3, vcc, 0, v117, vcc
	flat_load_dwordx2 v[61:62], v[2:3]
.LBB180_114:                            ;   in Loop: Header=BB180_102 Depth=1
	s_or_b64 exec, exec, s[14:15]
	ds_read_b64 v[10:11], v93
	ds_read_b128 v[6:9], v92
	ds_read_b128 v[2:5], v92 offset:16
	s_andn2_b64 vcc, exec, s[8:9]
	s_waitcnt vmcnt(0) lgkmcnt(0)
	v_mul_f32_e32 v12, v11, v56
	v_mul_f32_e32 v13, v11, v55
	v_mul_f32_e32 v14, v11, v58
	v_mul_f32_e32 v15, v11, v57
	v_fma_f32 v12, v10, v55, -v12
	v_fmac_f32_e32 v13, v10, v56
	v_fma_f32 v14, v10, v57, -v14
	v_fmac_f32_e32 v15, v10, v58
	ds_write2_b64 v94, v[12:13], v[14:15] offset1:67
	v_mul_f32_e32 v12, v11, v60
	v_mul_f32_e32 v13, v11, v59
	;; [unrolled: 1-line block ×4, first 2 shown]
	v_fma_f32 v12, v10, v59, -v12
	v_fmac_f32_e32 v13, v10, v60
	v_fma_f32 v14, v10, v61, -v14
	v_fmac_f32_e32 v15, v11, v61
	ds_write2_b64 v94, v[12:13], v[14:15] offset0:134 offset1:201
	s_waitcnt lgkmcnt(0)
	s_barrier
	ds_read2_b64 v[22:25], v95 offset1:1
	ds_read2_b64 v[18:21], v95 offset0:2 offset1:3
	v_cndmask_b32_e64 v10, 0, 1, s[8:9]
	v_cmp_ne_u32_e64 s[4:5], 1, v10
	v_add_co_u32_e64 v10, s[8:9], v122, v87
	v_addc_co_u32_e64 v11, s[8:9], 0, v123, s[8:9]
	s_waitcnt lgkmcnt(0)
	s_barrier
	s_cbranch_vccnz .LBB180_122
; %bb.115:                              ;   in Loop: Header=BB180_102 Depth=1
	v_mov_b32_e32 v65, 0
	v_mov_b32_e32 v63, 0
	;; [unrolled: 1-line block ×4, first 2 shown]
	v_cmp_gt_i32_e32 vcc, s22, v101
	s_and_saveexec_b64 s[8:9], vcc
	s_cbranch_execz .LBB180_117
; %bb.116:                              ;   in Loop: Header=BB180_102 Depth=1
	flat_load_dwordx2 v[63:64], v[10:11]
.LBB180_117:                            ;   in Loop: Header=BB180_102 Depth=1
	s_or_b64 exec, exec, s[8:9]
	v_cmp_gt_i32_e32 vcc, s22, v102
	s_and_saveexec_b64 s[8:9], vcc
	s_cbranch_execz .LBB180_119
; %bb.118:                              ;   in Loop: Header=BB180_102 Depth=1
	v_add_co_u32_e32 v12, vcc, v120, v87
	v_addc_co_u32_e32 v13, vcc, 0, v121, vcc
	flat_load_dwordx2 v[65:66], v[12:13]
.LBB180_119:                            ;   in Loop: Header=BB180_102 Depth=1
	s_or_b64 exec, exec, s[8:9]
	v_mov_b32_e32 v67, 0
	v_mov_b32_e32 v68, 0
	v_cmp_gt_i32_e32 vcc, s22, v103
	s_and_saveexec_b64 s[8:9], vcc
	s_cbranch_execz .LBB180_121
; %bb.120:                              ;   in Loop: Header=BB180_102 Depth=1
	v_add_co_u32_e32 v12, vcc, v118, v87
	v_addc_co_u32_e32 v13, vcc, 0, v119, vcc
	flat_load_dwordx2 v[67:68], v[12:13]
.LBB180_121:                            ;   in Loop: Header=BB180_102 Depth=1
	s_or_b64 exec, exec, s[8:9]
	v_cmp_gt_i32_e64 s[8:9], s22, v104
	s_branch .LBB180_124
.LBB180_122:                            ;   in Loop: Header=BB180_102 Depth=1
	s_mov_b64 s[8:9], 0
                                        ; implicit-def: $vgpr67_vgpr68
                                        ; implicit-def: $vgpr65_vgpr66
                                        ; implicit-def: $vgpr63_vgpr64
	s_cbranch_execz .LBB180_124
; %bb.123:                              ;   in Loop: Header=BB180_102 Depth=1
	s_waitcnt vmcnt(0) lgkmcnt(0)
	flat_load_dwordx2 v[63:64], v[10:11]
	v_add_co_u32_e32 v10, vcc, v120, v87
	v_addc_co_u32_e32 v11, vcc, 0, v121, vcc
	flat_load_dwordx2 v[65:66], v[10:11]
	v_add_co_u32_e32 v10, vcc, v118, v87
	v_addc_co_u32_e32 v11, vcc, 0, v119, vcc
	flat_load_dwordx2 v[67:68], v[10:11]
	s_or_b64 s[8:9], s[8:9], exec
.LBB180_124:                            ;   in Loop: Header=BB180_102 Depth=1
	v_mov_b32_e32 v69, 0
	v_mov_b32_e32 v70, 0
	s_and_saveexec_b64 s[14:15], s[8:9]
	s_cbranch_execz .LBB180_126
; %bb.125:                              ;   in Loop: Header=BB180_102 Depth=1
	v_add_co_u32_e32 v10, vcc, v124, v87
	v_addc_co_u32_e32 v11, vcc, 0, v125, vcc
	flat_load_dwordx2 v[69:70], v[10:11]
.LBB180_126:                            ;   in Loop: Header=BB180_102 Depth=1
	s_or_b64 exec, exec, s[14:15]
	ds_read_b64 v[26:27], v93
	ds_read_b128 v[14:17], v92 offset:128
	ds_read_b128 v[10:13], v92 offset:144
	s_and_b64 vcc, exec, s[4:5]
	s_waitcnt vmcnt(0) lgkmcnt(0)
	v_mul_f32_e32 v28, v27, v64
	v_mul_f32_e32 v29, v27, v63
	;; [unrolled: 1-line block ×4, first 2 shown]
	v_fma_f32 v28, v26, v63, -v28
	v_fmac_f32_e32 v29, v26, v64
	v_fma_f32 v30, v26, v65, -v30
	v_fmac_f32_e32 v31, v26, v66
	ds_write2_b64 v94, v[28:29], v[30:31] offset1:67
	v_mul_f32_e32 v28, v27, v68
	v_mul_f32_e32 v29, v27, v67
	v_mul_f32_e32 v30, v27, v70
	v_mul_f32_e32 v31, v26, v70
	v_fma_f32 v28, v26, v67, -v28
	v_fmac_f32_e32 v29, v26, v68
	v_fma_f32 v30, v26, v69, -v30
	v_fmac_f32_e32 v31, v27, v69
	ds_write2_b64 v94, v[28:29], v[30:31] offset0:134 offset1:201
	s_waitcnt lgkmcnt(0)
	s_barrier
	ds_read2_b64 v[38:41], v95 offset1:1
	ds_read2_b64 v[34:37], v95 offset0:2 offset1:3
	v_add_co_u32_e64 v26, s[8:9], v130, v87
	v_addc_co_u32_e64 v27, s[8:9], 0, v131, s[8:9]
	s_waitcnt lgkmcnt(0)
	s_barrier
	s_cbranch_vccnz .LBB180_134
; %bb.127:                              ;   in Loop: Header=BB180_102 Depth=1
	v_mov_b32_e32 v73, 0
	v_mov_b32_e32 v71, 0
	;; [unrolled: 1-line block ×4, first 2 shown]
	v_cmp_gt_i32_e32 vcc, s22, v105
	s_and_saveexec_b64 s[8:9], vcc
	s_cbranch_execz .LBB180_129
; %bb.128:                              ;   in Loop: Header=BB180_102 Depth=1
	flat_load_dwordx2 v[71:72], v[26:27]
.LBB180_129:                            ;   in Loop: Header=BB180_102 Depth=1
	s_or_b64 exec, exec, s[8:9]
	v_cmp_gt_i32_e32 vcc, s22, v106
	s_and_saveexec_b64 s[8:9], vcc
	s_cbranch_execz .LBB180_131
; %bb.130:                              ;   in Loop: Header=BB180_102 Depth=1
	v_add_co_u32_e32 v28, vcc, v128, v87
	v_addc_co_u32_e32 v29, vcc, 0, v129, vcc
	flat_load_dwordx2 v[73:74], v[28:29]
.LBB180_131:                            ;   in Loop: Header=BB180_102 Depth=1
	s_or_b64 exec, exec, s[8:9]
	v_mov_b32_e32 v75, 0
	v_mov_b32_e32 v76, 0
	v_cmp_gt_i32_e32 vcc, s22, v107
	s_and_saveexec_b64 s[8:9], vcc
	s_cbranch_execz .LBB180_133
; %bb.132:                              ;   in Loop: Header=BB180_102 Depth=1
	v_add_co_u32_e32 v28, vcc, v126, v87
	v_addc_co_u32_e32 v29, vcc, 0, v127, vcc
	flat_load_dwordx2 v[75:76], v[28:29]
.LBB180_133:                            ;   in Loop: Header=BB180_102 Depth=1
	s_or_b64 exec, exec, s[8:9]
	v_cmp_gt_i32_e64 s[8:9], s22, v108
	s_branch .LBB180_136
.LBB180_134:                            ;   in Loop: Header=BB180_102 Depth=1
	s_mov_b64 s[8:9], 0
                                        ; implicit-def: $vgpr75_vgpr76
                                        ; implicit-def: $vgpr73_vgpr74
                                        ; implicit-def: $vgpr71_vgpr72
	s_cbranch_execz .LBB180_136
; %bb.135:                              ;   in Loop: Header=BB180_102 Depth=1
	s_waitcnt vmcnt(0) lgkmcnt(0)
	flat_load_dwordx2 v[71:72], v[26:27]
	v_add_co_u32_e32 v26, vcc, v128, v87
	v_addc_co_u32_e32 v27, vcc, 0, v129, vcc
	flat_load_dwordx2 v[73:74], v[26:27]
	v_add_co_u32_e32 v26, vcc, v126, v87
	v_addc_co_u32_e32 v27, vcc, 0, v127, vcc
	flat_load_dwordx2 v[75:76], v[26:27]
	s_or_b64 s[8:9], s[8:9], exec
.LBB180_136:                            ;   in Loop: Header=BB180_102 Depth=1
	v_mov_b32_e32 v77, 0
	v_mov_b32_e32 v78, 0
	s_and_saveexec_b64 s[14:15], s[8:9]
	s_cbranch_execz .LBB180_138
; %bb.137:                              ;   in Loop: Header=BB180_102 Depth=1
	v_add_co_u32_e32 v26, vcc, v132, v87
	v_addc_co_u32_e32 v27, vcc, 0, v133, vcc
	flat_load_dwordx2 v[77:78], v[26:27]
.LBB180_138:                            ;   in Loop: Header=BB180_102 Depth=1
	s_or_b64 exec, exec, s[14:15]
	ds_read_b64 v[42:43], v93
	ds_read_b128 v[30:33], v92 offset:256
	ds_read_b128 v[26:29], v92 offset:272
	s_and_b64 vcc, exec, s[4:5]
	v_add_co_u32_e64 v85, s[4:5], v138, v87
	s_waitcnt vmcnt(0) lgkmcnt(0)
	v_mul_f32_e32 v44, v43, v72
	v_mul_f32_e32 v45, v43, v71
	;; [unrolled: 1-line block ×4, first 2 shown]
	v_fma_f32 v44, v42, v71, -v44
	v_fmac_f32_e32 v45, v42, v72
	v_fma_f32 v46, v42, v73, -v46
	v_fmac_f32_e32 v47, v42, v74
	ds_write2_b64 v94, v[44:45], v[46:47] offset1:67
	v_mul_f32_e32 v44, v43, v76
	v_mul_f32_e32 v45, v43, v75
	;; [unrolled: 1-line block ×4, first 2 shown]
	v_fma_f32 v44, v42, v75, -v44
	v_fmac_f32_e32 v45, v42, v76
	v_fma_f32 v46, v42, v77, -v46
	v_fmac_f32_e32 v47, v43, v77
	ds_write2_b64 v94, v[44:45], v[46:47] offset0:134 offset1:201
	s_waitcnt lgkmcnt(0)
	s_barrier
	ds_read2_b64 v[46:49], v95 offset1:1
	ds_read2_b64 v[42:45], v95 offset0:2 offset1:3
	v_addc_co_u32_e64 v86, s[4:5], 0, v139, s[4:5]
	s_waitcnt lgkmcnt(0)
	s_barrier
	s_cbranch_vccnz .LBB180_146
; %bb.139:                              ;   in Loop: Header=BB180_102 Depth=1
	v_mov_b32_e32 v81, 0
	v_mov_b32_e32 v79, 0
	;; [unrolled: 1-line block ×4, first 2 shown]
	v_cmp_gt_i32_e32 vcc, s22, v109
	s_and_saveexec_b64 s[4:5], vcc
	s_cbranch_execz .LBB180_141
; %bb.140:                              ;   in Loop: Header=BB180_102 Depth=1
	flat_load_dwordx2 v[79:80], v[85:86]
.LBB180_141:                            ;   in Loop: Header=BB180_102 Depth=1
	s_or_b64 exec, exec, s[4:5]
	v_cmp_gt_i32_e32 vcc, s22, v142
	s_and_saveexec_b64 s[4:5], vcc
	s_cbranch_execz .LBB180_143
; %bb.142:                              ;   in Loop: Header=BB180_102 Depth=1
	v_add_co_u32_e32 v81, vcc, v136, v87
	v_addc_co_u32_e32 v82, vcc, 0, v137, vcc
	flat_load_dwordx2 v[81:82], v[81:82]
.LBB180_143:                            ;   in Loop: Header=BB180_102 Depth=1
	s_or_b64 exec, exec, s[4:5]
	v_mov_b32_e32 v83, 0
	v_mov_b32_e32 v84, 0
	v_cmp_gt_i32_e32 vcc, s22, v143
	s_and_saveexec_b64 s[4:5], vcc
	s_cbranch_execz .LBB180_145
; %bb.144:                              ;   in Loop: Header=BB180_102 Depth=1
	v_add_co_u32_e32 v83, vcc, v134, v87
	v_addc_co_u32_e32 v84, vcc, 0, v135, vcc
	flat_load_dwordx2 v[83:84], v[83:84]
.LBB180_145:                            ;   in Loop: Header=BB180_102 Depth=1
	s_or_b64 exec, exec, s[4:5]
	v_cmp_gt_i32_e64 s[4:5], s22, v145
	s_branch .LBB180_148
.LBB180_146:                            ;   in Loop: Header=BB180_102 Depth=1
	s_mov_b64 s[4:5], 0
                                        ; implicit-def: $vgpr83_vgpr84
                                        ; implicit-def: $vgpr81_vgpr82
                                        ; implicit-def: $vgpr79_vgpr80
	s_cbranch_execz .LBB180_148
; %bb.147:                              ;   in Loop: Header=BB180_102 Depth=1
	s_waitcnt vmcnt(0) lgkmcnt(0)
	v_add_co_u32_e32 v81, vcc, v136, v87
	v_addc_co_u32_e32 v82, vcc, 0, v137, vcc
	v_add_co_u32_e32 v83, vcc, v134, v87
	v_addc_co_u32_e32 v84, vcc, 0, v135, vcc
	flat_load_dwordx2 v[79:80], v[85:86]
	s_or_b64 s[4:5], s[4:5], exec
	flat_load_dwordx2 v[81:82], v[81:82]
	s_nop 0
	flat_load_dwordx2 v[83:84], v[83:84]
.LBB180_148:                            ;   in Loop: Header=BB180_102 Depth=1
	v_mov_b32_e32 v85, 0
	v_mov_b32_e32 v86, 0
	s_and_saveexec_b64 s[8:9], s[4:5]
	s_cbranch_execz .LBB180_150
; %bb.149:                              ;   in Loop: Header=BB180_102 Depth=1
	v_add_co_u32_e32 v85, vcc, v140, v87
	v_addc_co_u32_e32 v86, vcc, 0, v141, vcc
	flat_load_dwordx2 v[85:86], v[85:86]
.LBB180_150:                            ;   in Loop: Header=BB180_102 Depth=1
	s_or_b64 exec, exec, s[8:9]
	v_add_f32_e32 v38, 0, v38
	v_add_f32_e32 v39, 0, v39
	;; [unrolled: 1-line block ×6, first 2 shown]
	ds_read_b64 v[38:39], v93
	v_add_f32_e32 v46, 0, v46
	v_add_f32_e32 v47, 0, v47
	;; [unrolled: 1-line block ×7, first 2 shown]
	s_waitcnt vmcnt(0) lgkmcnt(0)
	v_mul_f32_e32 v40, v39, v80
	v_mul_f32_e32 v41, v39, v79
	;; [unrolled: 1-line block ×4, first 2 shown]
	v_add_f32_e32 v23, 0, v23
	v_add_f32_e32 v22, v22, v24
	v_fma_f32 v40, v38, v79, -v40
	v_fmac_f32_e32 v41, v38, v80
	v_fma_f32 v46, v38, v81, -v46
	v_fmac_f32_e32 v47, v38, v82
	v_add_f32_e32 v42, v42, v44
	v_add_f32_e32 v43, v43, v45
	;; [unrolled: 1-line block ×6, first 2 shown]
	ds_read_b128 v[34:37], v92 offset:384
	ds_read_b128 v[22:25], v92 offset:400
	ds_write2_b64 v94, v[40:41], v[46:47] offset1:67
	v_mul_f32_e32 v40, v39, v84
	v_mul_f32_e32 v41, v39, v83
	;; [unrolled: 1-line block ×4, first 2 shown]
	v_fma_f32 v40, v38, v83, -v40
	v_fmac_f32_e32 v41, v38, v84
	v_fma_f32 v46, v38, v85, -v46
	v_fmac_f32_e32 v47, v39, v85
	ds_write2_b64 v94, v[40:41], v[46:47] offset0:134 offset1:201
	s_waitcnt lgkmcnt(0)
	s_barrier
	ds_read2_b64 v[38:41], v95 offset1:1
	v_add_f32_e32 v19, v48, v19
	v_add_f32_e32 v46, v18, v20
	;; [unrolled: 1-line block ×3, first 2 shown]
	ds_read2_b64 v[18:21], v95 offset0:2 offset1:3
	s_waitcnt lgkmcnt(1)
	v_add_f32_e32 v38, 0, v38
	v_add_f32_e32 v39, 0, v39
	v_cmp_gt_i32_e32 vcc, s22, v0
	v_add_f32_e32 v38, v38, v40
	v_add_f32_e32 v39, v39, v41
	s_or_b64 s[4:5], s[12:13], vcc
	s_waitcnt lgkmcnt(0)
	v_add_f32_e32 v18, v38, v18
	v_add_f32_e32 v19, v39, v19
	s_and_b64 s[8:9], s[2:3], s[4:5]
	v_add_f32_e32 v18, v18, v20
	v_add_f32_e32 v19, v19, v21
	s_barrier
	ds_write2_b64 v144, v[46:47], v[44:45] offset1:16
	ds_write2_b64 v144, v[42:43], v[18:19] offset0:32 offset1:48
	s_waitcnt lgkmcnt(0)
	s_barrier
	s_and_saveexec_b64 s[4:5], s[8:9]
	s_cbranch_execz .LBB180_152
; %bb.151:                              ;   in Loop: Header=BB180_102 Depth=1
	ds_read_b64 v[42:43], v96
	ds_read2_b64 v[18:21], v96 offset0:1 offset1:2
	ds_read2_b64 v[38:41], v96 offset0:3 offset1:4
	s_waitcnt lgkmcnt(1)
	v_add_f32_e32 v18, v18, v42
	v_add_f32_e32 v19, v19, v43
	;; [unrolled: 1-line block ×4, first 2 shown]
	ds_read2_b64 v[18:21], v96 offset0:5 offset1:6
	s_waitcnt lgkmcnt(1)
	v_add_f32_e32 v38, v42, v38
	v_add_f32_e32 v39, v43, v39
	;; [unrolled: 1-line block ×4, first 2 shown]
	s_waitcnt lgkmcnt(0)
	v_add_f32_e32 v18, v38, v18
	ds_read2_b64 v[38:41], v96 offset0:7 offset1:8
	v_add_f32_e32 v19, v42, v19
	v_add_f32_e32 v42, v18, v20
	;; [unrolled: 1-line block ×3, first 2 shown]
	ds_read2_b64 v[18:21], v96 offset0:9 offset1:10
	s_waitcnt lgkmcnt(1)
	v_add_f32_e32 v38, v42, v38
	v_add_f32_e32 v39, v43, v39
	;; [unrolled: 1-line block ×4, first 2 shown]
	s_waitcnt lgkmcnt(0)
	v_add_f32_e32 v18, v38, v18
	ds_read2_b64 v[38:41], v96 offset0:11 offset1:12
	v_add_f32_e32 v19, v42, v19
	v_add_f32_e32 v42, v18, v20
	;; [unrolled: 1-line block ×3, first 2 shown]
	ds_read2_b64 v[18:21], v96 offset0:13 offset1:14
	s_waitcnt lgkmcnt(1)
	v_add_f32_e32 v38, v42, v38
	v_add_f32_e32 v39, v43, v39
	;; [unrolled: 1-line block ×4, first 2 shown]
	ds_read_b64 v[38:39], v97
	s_waitcnt lgkmcnt(1)
	v_add_f32_e32 v18, v40, v18
	v_add_f32_e32 v19, v41, v19
	;; [unrolled: 1-line block ×3, first 2 shown]
	v_add_u32_e32 v20, s24, v0
	v_add_f32_e32 v19, v19, v21
	v_ashrrev_i32_e32 v21, 31, v20
	v_lshlrev_b64 v[20:21], 3, v[20:21]
	s_waitcnt lgkmcnt(0)
	v_add_f32_e32 v18, v18, v38
	v_mov_b32_e32 v38, s26
	v_add_co_u32_e32 v20, vcc, s19, v20
	v_add_f32_e32 v19, v19, v39
	v_addc_co_u32_e32 v21, vcc, v38, v21, vcc
	global_store_dwordx2 v[20:21], v[18:19], off
.LBB180_152:                            ;   in Loop: Header=BB180_102 Depth=1
	s_or_b64 exec, exec, s[4:5]
	v_mul_f32_e32 v18, v7, v56
	v_fma_f32 v18, v6, v55, -v18
	v_mul_f32_e32 v19, v9, v58
	v_mul_f32_e32 v7, v7, v55
	v_add_f32_e32 v18, v52, v18
	v_fma_f32 v19, v8, v57, -v19
	v_mul_f32_e32 v9, v9, v57
	v_add_f32_e32 v18, v18, v19
	v_mul_f32_e32 v19, v3, v60
	v_fmac_f32_e32 v7, v6, v56
	v_fma_f32 v19, v2, v59, -v19
	v_mul_f32_e32 v3, v3, v59
	v_add_f32_e32 v6, v53, v7
	v_fmac_f32_e32 v9, v8, v58
	v_add_f32_e32 v18, v18, v19
	v_mul_f32_e32 v19, v5, v62
	v_mul_f32_e32 v5, v5, v61
	v_add_f32_e32 v6, v6, v9
	v_fmac_f32_e32 v3, v2, v60
	v_fma_f32 v19, v4, v61, -v19
	v_add_f32_e32 v2, v6, v3
	v_fmac_f32_e32 v5, v4, v62
	v_mul_f32_e32 v3, v15, v64
	v_add_f32_e32 v18, v18, v19
	v_add_f32_e32 v2, v2, v5
	v_fma_f32 v3, v14, v63, -v3
	v_mul_f32_e32 v5, v17, v66
	v_add_f32_e32 v3, v18, v3
	v_fma_f32 v5, v16, v65, -v5
	v_mul_f32_e32 v4, v15, v63
	v_add_f32_e32 v3, v3, v5
	v_mul_f32_e32 v5, v11, v68
	v_mul_f32_e32 v6, v17, v65
	v_fma_f32 v5, v10, v67, -v5
	v_fmac_f32_e32 v4, v14, v64
	v_mul_f32_e32 v7, v11, v67
	v_add_f32_e32 v3, v3, v5
	v_mul_f32_e32 v5, v13, v70
	v_add_f32_e32 v2, v2, v4
	v_fmac_f32_e32 v6, v16, v66
	v_fma_f32 v5, v12, v69, -v5
	v_mul_f32_e32 v8, v13, v69
	v_add_f32_e32 v2, v2, v6
	v_fmac_f32_e32 v7, v10, v68
	v_add_f32_e32 v3, v3, v5
	v_add_f32_e32 v2, v2, v7
	v_fmac_f32_e32 v8, v12, v70
	v_mul_f32_e32 v5, v31, v71
	v_add_f32_e32 v2, v2, v8
	v_mul_f32_e32 v6, v33, v73
	v_fmac_f32_e32 v5, v30, v72
	v_mul_f32_e32 v7, v27, v75
	v_add_f32_e32 v2, v2, v5
	v_fmac_f32_e32 v6, v32, v74
	v_mul_f32_e32 v8, v29, v77
	v_add_f32_e32 v2, v2, v6
	v_fmac_f32_e32 v7, v26, v76
	v_add_f32_e32 v2, v2, v7
	v_fmac_f32_e32 v8, v28, v78
	v_mul_f32_e32 v5, v35, v79
	v_add_f32_e32 v2, v2, v8
	v_mul_f32_e32 v6, v37, v81
	v_fmac_f32_e32 v5, v34, v80
	v_mul_f32_e32 v7, v23, v83
	v_fmac_f32_e32 v6, v36, v82
	v_add_f32_e32 v2, v2, v5
	v_mul_f32_e32 v8, v25, v85
	v_fmac_f32_e32 v7, v22, v84
	v_add_f32_e32 v2, v2, v6
	v_fmac_f32_e32 v8, v24, v86
	v_add_f32_e32 v2, v2, v7
	v_add_f32_e32 v53, v2, v8
	v_mov_b32_e32 v2, s11
	v_add_co_u32_e32 v110, vcc, s10, v110
	v_addc_co_u32_e32 v111, vcc, v111, v2, vcc
	v_add_co_u32_e32 v112, vcc, s10, v112
	v_addc_co_u32_e32 v113, vcc, v113, v2, vcc
	v_add_co_u32_e32 v114, vcc, s10, v114
	v_addc_co_u32_e32 v115, vcc, v115, v2, vcc
	v_add_co_u32_e32 v116, vcc, s10, v116
	v_addc_co_u32_e32 v117, vcc, v117, v2, vcc
	v_add_co_u32_e32 v118, vcc, s10, v118
	v_addc_co_u32_e32 v119, vcc, v119, v2, vcc
	v_add_co_u32_e32 v120, vcc, s10, v120
	v_addc_co_u32_e32 v121, vcc, v121, v2, vcc
	v_add_co_u32_e32 v122, vcc, s10, v122
	v_addc_co_u32_e32 v123, vcc, v123, v2, vcc
	v_add_co_u32_e32 v124, vcc, s10, v124
	v_mul_f32_e32 v4, v31, v72
	v_addc_co_u32_e32 v125, vcc, v125, v2, vcc
	v_fma_f32 v4, v30, v71, -v4
	v_add_co_u32_e32 v126, vcc, s10, v126
	v_add_f32_e32 v3, v3, v4
	v_mul_f32_e32 v4, v33, v74
	v_addc_co_u32_e32 v127, vcc, v127, v2, vcc
	v_fma_f32 v4, v32, v73, -v4
	v_add_co_u32_e32 v128, vcc, s10, v128
	v_add_f32_e32 v3, v3, v4
	;; [unrolled: 5-line block ×7, first 2 shown]
	v_mul_f32_e32 v4, v25, v86
	v_addc_co_u32_e32 v139, vcc, v139, v2, vcc
	v_fma_f32 v4, v24, v85, -v4
	s_add_i32 s4, s6, 1
	s_add_i32 s24, s24, 64
	;; [unrolled: 1-line block ×3, first 2 shown]
	v_add_co_u32_e32 v140, vcc, s10, v140
	v_add_f32_e32 v52, v3, v4
	s_cmp_ge_u32 s5, s7
	v_addc_co_u32_e32 v141, vcc, v141, v2, vcc
	s_waitcnt vmcnt(0)
	s_barrier
	s_cbranch_scc0 .LBB180_97
.LBB180_153:
	s_movk_i32 s2, 0x218
	v_cmp_gt_i32_e32 vcc, s18, v0
	v_mad_u32_u24 v1, v1, s2, v87
	s_or_b64 s[2:3], s[20:21], vcc
	s_and_b64 s[0:1], s[0:1], s[2:3]
	ds_write_b64 v1, v[52:53]
	s_waitcnt lgkmcnt(0)
	s_barrier
	s_and_saveexec_b64 s[2:3], s[0:1]
	s_cbranch_execz .LBB180_155
; %bb.154:
	ds_read2_b64 v[0:3], v87 offset1:67
	ds_read2_b64 v[4:7], v87 offset0:134 offset1:201
	s_waitcnt lgkmcnt(1)
	v_add_f32_e32 v0, v2, v0
	v_add_f32_e32 v1, v3, v1
	v_lshlrev_b64 v[2:3], 3, v[50:51]
	s_waitcnt lgkmcnt(0)
	v_add_f32_e32 v0, v4, v0
	v_add_f32_e32 v1, v5, v1
	v_mov_b32_e32 v4, s26
	v_add_co_u32_e32 v2, vcc, s19, v2
	v_add_f32_e32 v0, v0, v6
	v_add_f32_e32 v1, v1, v7
	v_addc_co_u32_e32 v3, vcc, v4, v3, vcc
	global_store_dwordx2 v[2:3], v[0:1], off
.LBB180_155:
	s_endpgm
	.section	.rodata,"a",@progbits
	.p2align	6, 0x0
	.amdhsa_kernel _ZL26rocblas_hemvn_kernel_upperILb0ELi64ELi4ELi33ELi32ELi16ElPK19rocblas_complex_numIfEPKS3_PS1_EviT6_lT7_lT5_lS8_lS9_lS7_lT8_i
		.amdhsa_group_segment_fixed_size 9600
		.amdhsa_private_segment_fixed_size 0
		.amdhsa_kernarg_size 376
		.amdhsa_user_sgpr_count 6
		.amdhsa_user_sgpr_private_segment_buffer 1
		.amdhsa_user_sgpr_dispatch_ptr 0
		.amdhsa_user_sgpr_queue_ptr 0
		.amdhsa_user_sgpr_kernarg_segment_ptr 1
		.amdhsa_user_sgpr_dispatch_id 0
		.amdhsa_user_sgpr_flat_scratch_init 0
		.amdhsa_user_sgpr_private_segment_size 0
		.amdhsa_uses_dynamic_stack 0
		.amdhsa_system_sgpr_private_segment_wavefront_offset 0
		.amdhsa_system_sgpr_workgroup_id_x 1
		.amdhsa_system_sgpr_workgroup_id_y 0
		.amdhsa_system_sgpr_workgroup_id_z 1
		.amdhsa_system_sgpr_workgroup_info 0
		.amdhsa_system_vgpr_workitem_id 1
		.amdhsa_next_free_vgpr 146
		.amdhsa_next_free_sgpr 93
		.amdhsa_reserve_vcc 1
		.amdhsa_reserve_flat_scratch 0
		.amdhsa_float_round_mode_32 0
		.amdhsa_float_round_mode_16_64 0
		.amdhsa_float_denorm_mode_32 3
		.amdhsa_float_denorm_mode_16_64 3
		.amdhsa_dx10_clamp 1
		.amdhsa_ieee_mode 1
		.amdhsa_fp16_overflow 0
		.amdhsa_exception_fp_ieee_invalid_op 0
		.amdhsa_exception_fp_denorm_src 0
		.amdhsa_exception_fp_ieee_div_zero 0
		.amdhsa_exception_fp_ieee_overflow 0
		.amdhsa_exception_fp_ieee_underflow 0
		.amdhsa_exception_fp_ieee_inexact 0
		.amdhsa_exception_int_div_zero 0
	.end_amdhsa_kernel
	.section	.text._ZL26rocblas_hemvn_kernel_upperILb0ELi64ELi4ELi33ELi32ELi16ElPK19rocblas_complex_numIfEPKS3_PS1_EviT6_lT7_lT5_lS8_lS9_lS7_lT8_i,"axG",@progbits,_ZL26rocblas_hemvn_kernel_upperILb0ELi64ELi4ELi33ELi32ELi16ElPK19rocblas_complex_numIfEPKS3_PS1_EviT6_lT7_lT5_lS8_lS9_lS7_lT8_i,comdat
.Lfunc_end180:
	.size	_ZL26rocblas_hemvn_kernel_upperILb0ELi64ELi4ELi33ELi32ELi16ElPK19rocblas_complex_numIfEPKS3_PS1_EviT6_lT7_lT5_lS8_lS9_lS7_lT8_i, .Lfunc_end180-_ZL26rocblas_hemvn_kernel_upperILb0ELi64ELi4ELi33ELi32ELi16ElPK19rocblas_complex_numIfEPKS3_PS1_EviT6_lT7_lT5_lS8_lS9_lS7_lT8_i
                                        ; -- End function
	.set _ZL26rocblas_hemvn_kernel_upperILb0ELi64ELi4ELi33ELi32ELi16ElPK19rocblas_complex_numIfEPKS3_PS1_EviT6_lT7_lT5_lS8_lS9_lS7_lT8_i.num_vgpr, 146
	.set _ZL26rocblas_hemvn_kernel_upperILb0ELi64ELi4ELi33ELi32ELi16ElPK19rocblas_complex_numIfEPKS3_PS1_EviT6_lT7_lT5_lS8_lS9_lS7_lT8_i.num_agpr, 0
	.set _ZL26rocblas_hemvn_kernel_upperILb0ELi64ELi4ELi33ELi32ELi16ElPK19rocblas_complex_numIfEPKS3_PS1_EviT6_lT7_lT5_lS8_lS9_lS7_lT8_i.numbered_sgpr, 42
	.set _ZL26rocblas_hemvn_kernel_upperILb0ELi64ELi4ELi33ELi32ELi16ElPK19rocblas_complex_numIfEPKS3_PS1_EviT6_lT7_lT5_lS8_lS9_lS7_lT8_i.num_named_barrier, 0
	.set _ZL26rocblas_hemvn_kernel_upperILb0ELi64ELi4ELi33ELi32ELi16ElPK19rocblas_complex_numIfEPKS3_PS1_EviT6_lT7_lT5_lS8_lS9_lS7_lT8_i.private_seg_size, 0
	.set _ZL26rocblas_hemvn_kernel_upperILb0ELi64ELi4ELi33ELi32ELi16ElPK19rocblas_complex_numIfEPKS3_PS1_EviT6_lT7_lT5_lS8_lS9_lS7_lT8_i.uses_vcc, 1
	.set _ZL26rocblas_hemvn_kernel_upperILb0ELi64ELi4ELi33ELi32ELi16ElPK19rocblas_complex_numIfEPKS3_PS1_EviT6_lT7_lT5_lS8_lS9_lS7_lT8_i.uses_flat_scratch, 0
	.set _ZL26rocblas_hemvn_kernel_upperILb0ELi64ELi4ELi33ELi32ELi16ElPK19rocblas_complex_numIfEPKS3_PS1_EviT6_lT7_lT5_lS8_lS9_lS7_lT8_i.has_dyn_sized_stack, 0
	.set _ZL26rocblas_hemvn_kernel_upperILb0ELi64ELi4ELi33ELi32ELi16ElPK19rocblas_complex_numIfEPKS3_PS1_EviT6_lT7_lT5_lS8_lS9_lS7_lT8_i.has_recursion, 0
	.set _ZL26rocblas_hemvn_kernel_upperILb0ELi64ELi4ELi33ELi32ELi16ElPK19rocblas_complex_numIfEPKS3_PS1_EviT6_lT7_lT5_lS8_lS9_lS7_lT8_i.has_indirect_call, 0
	.section	.AMDGPU.csdata,"",@progbits
; Kernel info:
; codeLenInByte = 8320
; TotalNumSgprs: 46
; NumVgprs: 146
; ScratchSize: 0
; MemoryBound: 1
; FloatMode: 240
; IeeeMode: 1
; LDSByteSize: 9600 bytes/workgroup (compile time only)
; SGPRBlocks: 12
; VGPRBlocks: 36
; NumSGPRsForWavesPerEU: 97
; NumVGPRsForWavesPerEU: 146
; Occupancy: 1
; WaveLimiterHint : 1
; COMPUTE_PGM_RSRC2:SCRATCH_EN: 0
; COMPUTE_PGM_RSRC2:USER_SGPR: 6
; COMPUTE_PGM_RSRC2:TRAP_HANDLER: 0
; COMPUTE_PGM_RSRC2:TGID_X_EN: 1
; COMPUTE_PGM_RSRC2:TGID_Y_EN: 0
; COMPUTE_PGM_RSRC2:TGID_Z_EN: 1
; COMPUTE_PGM_RSRC2:TIDIG_COMP_CNT: 1
	.section	.text._ZL26rocblas_hemvn_kernel_upperILb0ELi64ELi4ELi33ELi32ELi16EiPK19rocblas_complex_numIfEPKS3_PS1_EviT6_lT7_lT5_lS8_lS9_lS7_lT8_i,"axG",@progbits,_ZL26rocblas_hemvn_kernel_upperILb0ELi64ELi4ELi33ELi32ELi16EiPK19rocblas_complex_numIfEPKS3_PS1_EviT6_lT7_lT5_lS8_lS9_lS7_lT8_i,comdat
	.globl	_ZL26rocblas_hemvn_kernel_upperILb0ELi64ELi4ELi33ELi32ELi16EiPK19rocblas_complex_numIfEPKS3_PS1_EviT6_lT7_lT5_lS8_lS9_lS7_lT8_i ; -- Begin function _ZL26rocblas_hemvn_kernel_upperILb0ELi64ELi4ELi33ELi32ELi16EiPK19rocblas_complex_numIfEPKS3_PS1_EviT6_lT7_lT5_lS8_lS9_lS7_lT8_i
	.p2align	8
	.type	_ZL26rocblas_hemvn_kernel_upperILb0ELi64ELi4ELi33ELi32ELi16EiPK19rocblas_complex_numIfEPKS3_PS1_EviT6_lT7_lT5_lS8_lS9_lS7_lT8_i,@function
_ZL26rocblas_hemvn_kernel_upperILb0ELi64ELi4ELi33ELi32ELi16EiPK19rocblas_complex_numIfEPKS3_PS1_EviT6_lT7_lT5_lS8_lS9_lS7_lT8_i: ; @_ZL26rocblas_hemvn_kernel_upperILb0ELi64ELi4ELi33ELi32ELi16EiPK19rocblas_complex_numIfEPKS3_PS1_EviT6_lT7_lT5_lS8_lS9_lS7_lT8_i
; %bb.0:
	s_load_dwordx2 s[0:1], s[4:5], 0x84
	s_add_u32 s16, s4, 0x78
	s_addc_u32 s17, s5, 0
	s_waitcnt lgkmcnt(0)
	s_lshr_b32 s2, s0, 16
	s_and_b32 s0, s0, 0xffff
	s_and_b32 s1, s1, 0xffff
	s_mul_i32 s0, s2, s0
	s_mul_i32 s0, s0, s1
	s_cmpk_lg_i32 s0, 0x100
	s_cbranch_scc1 .LBB181_155
; %bb.1:
	s_load_dwordx8 s[8:15], s[4:5], 0x8
	s_mov_b32 s22, s7
	s_mov_b32 s23, 0
	s_waitcnt lgkmcnt(0)
	s_mul_i32 s0, s11, s7
	s_mul_hi_u32 s1, s10, s7
	s_add_i32 s1, s1, s0
	s_mul_i32 s0, s10, s7
	s_lshl_b64 s[0:1], s[0:1], 3
	s_add_u32 s8, s8, s0
	s_addc_u32 s9, s9, s1
	s_load_dwordx2 s[10:11], s[8:9], 0x0
	s_load_dwordx2 s[24:25], s[4:5], 0x68
	s_load_dwordx4 s[0:3], s[4:5], 0x58
	s_mov_b64 s[8:9], -1
	s_waitcnt lgkmcnt(0)
	s_or_b32 s7, s10, s11
	s_bitset0_b32 s7, 31
	s_cmp_lg_u32 s7, 0
	s_cbranch_scc1 .LBB181_3
; %bb.2:
	s_mul_i32 s3, s3, s22
	s_mul_hi_u32 s7, s2, s22
	s_add_i32 s3, s7, s3
	s_mul_i32 s2, s2, s22
	s_lshl_b64 s[2:3], s[2:3], 3
	s_add_u32 s0, s0, s2
	s_addc_u32 s1, s1, s3
	s_load_dwordx2 s[2:3], s[0:1], 0x0
	s_mov_b64 s[8:9], 0
	s_waitcnt lgkmcnt(0)
	v_cmp_eq_f32_e64 s[0:1], s2, 1.0
	v_cmp_eq_f32_e64 s[2:3], s3, 0
	s_and_b64 s[0:1], s[0:1], s[2:3]
	s_andn2_b64 vcc, exec, s[0:1]
.LBB181_3:
	s_andn2_b64 vcc, exec, s[8:9]
	s_cbranch_vccnz .LBB181_155
; %bb.4:
	s_load_dwordx4 s[8:11], s[4:5], 0x38
	s_load_dword s40, s[4:5], 0x48
	s_lshl_b64 s[0:1], s[22:23], 3
	s_add_u32 s12, s12, s0
	s_addc_u32 s13, s13, s1
	s_waitcnt lgkmcnt(0)
	s_add_u32 s0, s8, s0
	s_addc_u32 s1, s9, s1
	s_load_dwordx2 s[8:9], s[0:1], 0x0
	s_load_dword s23, s[4:5], 0x0
	s_load_dword s7, s[16:17], 0x0
	s_load_dwordx2 s[2:3], s[12:13], 0x0
	s_lshl_b64 s[0:1], s[10:11], 3
	s_waitcnt lgkmcnt(0)
	s_add_u32 s0, s8, s0
	s_addc_u32 s1, s9, s1
	s_lshl_b32 s26, s6, 6
	v_add_u32_e32 v50, s26, v0
	v_mul_lo_u32 v2, s40, v50
	s_ashr_i32 s41, s23, 31
	s_lshr_b32 s9, s41, 26
	s_add_i32 s9, s23, s9
	v_ashrrev_i32_e32 v3, 31, v2
	s_andn2_b32 s9, s9, 63
	v_lshlrev_b64 v[2:3], 3, v[2:3]
	s_add_i32 s8, s7, -1
	s_sub_i32 s33, s23, s9
	s_cmp_eq_u32 s6, s8
	v_mov_b32_e32 v4, s1
	v_add_co_u32_e32 v16, vcc, s0, v2
	s_cselect_b32 s16, s33, 0
	v_addc_co_u32_e32 v17, vcc, v4, v3, vcc
	v_cmp_eq_u32_e64 s[0:1], 0, v1
	s_and_saveexec_b64 s[8:9], s[0:1]
	s_cbranch_execz .LBB181_9
; %bb.5:
	s_cmp_lg_u32 s16, 0
	s_cselect_b64 s[10:11], -1, 0
	v_cmp_le_i32_e32 vcc, s16, v0
	v_mov_b32_e32 v2, 0x2380
	s_and_b64 s[10:11], s[10:11], vcc
	v_lshl_add_u32 v2, v0, 3, v2
	s_and_saveexec_b64 s[12:13], s[10:11]
	s_xor_b64 s[10:11], exec, s[12:13]
; %bb.6:
	v_mov_b32_e32 v3, 0
	v_mov_b32_e32 v4, v3
	ds_write_b64 v2, v[3:4]
                                        ; implicit-def: $vgpr2
; %bb.7:
	s_andn2_saveexec_b64 s[10:11], s[10:11]
	s_cbranch_execz .LBB181_9
; %bb.8:
	flat_load_dwordx2 v[3:4], v[16:17]
	s_waitcnt vmcnt(0) lgkmcnt(0)
	ds_write_b64 v2, v[3:4]
.LBB181_9:
	s_or_b64 exec, exec, s[8:9]
	s_load_dword s20, s[4:5], 0x28
	s_lshl_b64 s[8:9], s[14:15], 3
	v_lshl_add_u32 v24, v1, 6, v0
	s_add_u32 s8, s2, s8
	v_and_b32_e32 v2, 31, v0
	v_lshrrev_b32_e32 v9, 5, v24
	s_addc_u32 s9, s3, s9
	s_waitcnt lgkmcnt(0)
	v_mad_u64_u32 v[3:4], s[2:3], s20, v9, v[2:3]
	s_ashr_i32 s27, s26, 31
	s_lshl_b64 s[2:3], s[26:27], 3
	v_ashrrev_i32_e32 v4, 31, v3
	v_lshlrev_b64 v[14:15], 3, v[3:4]
	s_add_u32 s2, s8, s2
	s_addc_u32 s3, s9, s3
	v_add_co_u32_e32 v4, vcc, s2, v14
	s_mul_i32 s2, s20, s26
	v_mov_b32_e32 v3, s3
	s_ashr_i32 s3, s2, 31
	s_lshl_b64 s[2:3], s[2:3], 3
	v_addc_co_u32_e32 v5, vcc, v3, v15, vcc
	s_cmp_eq_u32 s16, 0
	v_mov_b32_e32 v6, s3
	v_add_co_u32_e32 v3, vcc, s2, v4
	s_cselect_b64 s[18:19], -1, 0
	s_cmp_lg_u32 s16, 0
	v_addc_co_u32_e32 v4, vcc, v5, v6, vcc
	s_cselect_b64 s[34:35], -1, 0
	s_and_b64 vcc, exec, s[34:35]
	v_cmp_gt_i32_e64 s[2:3], s16, v2
	v_lshlrev_b32_e32 v10, 3, v2
	s_cbranch_vccz .LBB181_27
; %bb.10:
	v_sub_co_u32_e32 v5, vcc, v3, v10
	s_ashr_i32 s17, s16, 31
	v_subbrev_co_u32_e32 v6, vcc, 0, v4, vcc
	s_lshl_b64 s[4:5], s[16:17], 3
	v_mov_b32_e32 v7, s5
	v_add_co_u32_e32 v5, vcc, s4, v5
	v_addc_co_u32_e32 v6, vcc, v6, v7, vcc
	v_add_co_u32_e32 v5, vcc, -8, v5
	v_addc_co_u32_e32 v6, vcc, -1, v6, vcc
	v_mul_u32_u24_e32 v7, 0x108, v9
	v_cndmask_b32_e64 v6, v6, v4, s[2:3]
	v_cndmask_b32_e64 v5, v5, v3, s[2:3]
	v_cmp_le_i32_e32 vcc, s16, v9
	v_add_u32_e32 v7, v10, v7
	s_and_saveexec_b64 s[8:9], vcc
	s_xor_b64 s[8:9], exec, s[8:9]
; %bb.11:
	v_mov_b32_e32 v11, 0
	v_mov_b32_e32 v12, v11
	ds_write_b64 v7, v[11:12]
; %bb.12:
	s_andn2_saveexec_b64 s[8:9], s[8:9]
	s_cbranch_execz .LBB181_14
; %bb.13:
	flat_load_dwordx2 v[11:12], v[5:6]
	s_waitcnt vmcnt(0) lgkmcnt(0)
	ds_write_b64 v7, v[11:12]
.LBB181_14:
	s_or_b64 exec, exec, s[8:9]
	v_add_u32_e32 v8, 8, v9
	v_cmp_le_i32_e32 vcc, s16, v8
	s_and_saveexec_b64 s[8:9], vcc
	s_xor_b64 s[8:9], exec, s[8:9]
; %bb.15:
	v_mov_b32_e32 v11, 0
	v_mov_b32_e32 v12, v11
	ds_write_b64 v7, v[11:12] offset:2112
; %bb.16:
	s_andn2_saveexec_b64 s[8:9], s[8:9]
	s_cbranch_execz .LBB181_18
; %bb.17:
	s_lshl_b32 s10, s20, 3
	s_ashr_i32 s11, s10, 31
	s_lshl_b64 s[10:11], s[10:11], 3
	v_mov_b32_e32 v8, s11
	v_add_co_u32_e32 v11, vcc, s10, v5
	v_addc_co_u32_e32 v12, vcc, v6, v8, vcc
	flat_load_dwordx2 v[11:12], v[11:12]
	s_waitcnt vmcnt(0) lgkmcnt(0)
	ds_write_b64 v7, v[11:12] offset:2112
.LBB181_18:
	s_or_b64 exec, exec, s[8:9]
	v_add_u32_e32 v8, 16, v9
	v_cmp_le_i32_e32 vcc, s16, v8
	s_and_saveexec_b64 s[8:9], vcc
	s_xor_b64 s[8:9], exec, s[8:9]
; %bb.19:
	v_mov_b32_e32 v11, 0
	v_mov_b32_e32 v12, v11
	ds_write_b64 v7, v[11:12] offset:4224
; %bb.20:
	s_andn2_saveexec_b64 s[8:9], s[8:9]
	s_cbranch_execz .LBB181_22
; %bb.21:
	s_lshl_b32 s10, s20, 4
	s_ashr_i32 s11, s10, 31
	s_lshl_b64 s[10:11], s[10:11], 3
	v_mov_b32_e32 v8, s11
	v_add_co_u32_e32 v11, vcc, s10, v5
	v_addc_co_u32_e32 v12, vcc, v6, v8, vcc
	flat_load_dwordx2 v[11:12], v[11:12]
	s_waitcnt vmcnt(0) lgkmcnt(0)
	ds_write_b64 v7, v[11:12] offset:4224
.LBB181_22:
	s_or_b64 exec, exec, s[8:9]
	v_add_u32_e32 v8, 24, v9
	v_cmp_le_i32_e32 vcc, s16, v8
	s_and_saveexec_b64 s[8:9], vcc
	s_xor_b64 s[8:9], exec, s[8:9]
; %bb.23:
	v_mov_b32_e32 v11, 0
	v_mov_b32_e32 v12, v11
	ds_write_b64 v7, v[11:12] offset:6336
                                        ; implicit-def: $vgpr7
; %bb.24:
	s_andn2_saveexec_b64 s[8:9], s[8:9]
	s_cbranch_execz .LBB181_26
; %bb.25:
	s_mul_i32 s10, s20, 24
	s_ashr_i32 s11, s10, 31
	s_lshl_b64 s[10:11], s[10:11], 3
	v_mov_b32_e32 v8, s11
	v_add_co_u32_e32 v11, vcc, s10, v5
	v_addc_co_u32_e32 v12, vcc, v6, v8, vcc
	flat_load_dwordx2 v[11:12], v[11:12]
	s_waitcnt vmcnt(0) lgkmcnt(0)
	ds_write_b64 v7, v[11:12] offset:6336
.LBB181_26:
	s_or_b64 exec, exec, s[8:9]
	v_add_co_u32_e32 v5, vcc, v5, v10
	v_addc_co_u32_e32 v6, vcc, 0, v6, vcc
	v_mov_b32_e32 v7, s5
	v_subrev_co_u32_e32 v5, vcc, s4, v5
	v_subb_co_u32_e32 v6, vcc, v6, v7, vcc
	v_add_co_u32_e32 v5, vcc, 8, v5
	v_addc_co_u32_e32 v6, vcc, 0, v6, vcc
	v_cndmask_b32_e64 v6, v6, v4, s[2:3]
	v_cndmask_b32_e64 v5, v5, v3, s[2:3]
	s_branch .LBB181_29
.LBB181_27:
                                        ; implicit-def: $vgpr5_vgpr6
	s_cbranch_execz .LBB181_29
; %bb.28:
	s_lshl_b32 s2, s20, 3
	s_ashr_i32 s3, s2, 31
	s_lshl_b64 s[2:3], s[2:3], 3
	v_mov_b32_e32 v6, s3
	v_add_co_u32_e32 v5, vcc, s2, v3
	s_ashr_i32 s21, s20, 31
	v_addc_co_u32_e32 v6, vcc, v4, v6, vcc
	s_lshl_b64 s[2:3], s[20:21], 6
	v_mov_b32_e32 v12, s3
	v_add_co_u32_e32 v7, vcc, s2, v5
	v_addc_co_u32_e32 v8, vcc, v6, v12, vcc
	v_add_co_u32_e32 v11, vcc, s2, v7
	v_addc_co_u32_e32 v12, vcc, v8, v12, vcc
	flat_load_dwordx2 v[18:19], v[3:4]
	flat_load_dwordx2 v[20:21], v[5:6]
	;; [unrolled: 1-line block ×4, first 2 shown]
	v_mul_u32_u24_e32 v5, 0x108, v9
	v_lshl_add_u32 v5, v2, 3, v5
	s_waitcnt vmcnt(0) lgkmcnt(0)
	ds_write_b64 v5, v[18:19]
	ds_write_b64 v5, v[20:21] offset:2112
	ds_write_b64 v5, v[22:23] offset:4224
	;; [unrolled: 1-line block ×3, first 2 shown]
	v_mov_b32_e32 v6, v4
	v_mov_b32_e32 v5, v3
.LBB181_29:
	v_lshlrev_b32_e32 v13, 2, v9
	v_lshl_or_b32 v3, v2, 8, v10
	v_cmp_gt_u32_e64 s[4:5], v13, v2
	v_lshl_add_u32 v3, v13, 3, v3
	s_waitcnt lgkmcnt(0)
	s_barrier
	s_and_saveexec_b64 s[2:3], s[4:5]
	s_cbranch_execz .LBB181_31
; %bb.30:
	s_movk_i32 s8, 0x420
	v_mad_u32_u24 v4, v9, s8, v10
	ds_read_b64 v[7:8], v4
	s_waitcnt lgkmcnt(0)
	ds_write_b64 v3, v[7:8]
.LBB181_31:
	s_or_b64 exec, exec, s[2:3]
	v_or_b32_e32 v12, 1, v13
	v_cmp_ge_u32_e64 s[14:15], v13, v2
	s_and_saveexec_b64 s[2:3], s[14:15]
	s_cbranch_execz .LBB181_33
; %bb.32:
	s_movk_i32 s8, 0x108
	v_mad_u32_u24 v4, v12, s8, v10
	ds_read_b64 v[7:8], v4
	s_waitcnt lgkmcnt(0)
	ds_write_b64 v3, v[7:8] offset:8
.LBB181_33:
	s_or_b64 exec, exec, s[2:3]
	v_or_b32_e32 v4, 2, v13
	v_cmp_gt_u32_e64 s[8:9], v4, v2
	s_and_saveexec_b64 s[2:3], s[8:9]
	s_cbranch_execz .LBB181_35
; %bb.34:
	s_movk_i32 s10, 0x108
	v_mad_u32_u24 v4, v4, s10, v10
	ds_read_b64 v[7:8], v4
	s_waitcnt lgkmcnt(0)
	ds_write_b64 v3, v[7:8] offset:16
.LBB181_35:
	s_or_b64 exec, exec, s[2:3]
	v_or_b32_e32 v7, 3, v13
	v_cmp_gt_u32_e64 s[10:11], v7, v2
	v_cmp_le_u32_e32 vcc, v7, v2
                                        ; implicit-def: $vgpr4
	s_and_saveexec_b64 s[2:3], vcc
	s_xor_b64 s[2:3], exec, s[2:3]
; %bb.36:
	v_mul_u32_u24_e32 v4, 0x108, v7
                                        ; implicit-def: $vgpr7
                                        ; implicit-def: $vgpr3
; %bb.37:
	s_andn2_saveexec_b64 s[2:3], s[2:3]
	s_cbranch_execz .LBB181_39
; %bb.38:
	s_movk_i32 s12, 0x108
	v_mad_u32_u24 v4, v7, s12, v10
	ds_read_b64 v[18:19], v4
	v_mul_u32_u24_e32 v4, 0x108, v7
	s_waitcnt lgkmcnt(0)
	ds_write_b64 v3, v[18:19] offset:24
.LBB181_39:
	s_or_b64 exec, exec, s[2:3]
	s_movk_i32 s2, 0x420
	v_mad_u32_u24 v3, v9, s2, v10
	s_movk_i32 s2, 0x108
	v_mad_u32_u24 v11, v12, s2, v10
	s_waitcnt lgkmcnt(0)
	s_barrier
	v_lshlrev_b32_e32 v18, 3, v13
	ds_read_b64 v[7:8], v3
	ds_read_b128 v[19:22], v18 offset:9088
	ds_read_b128 v[25:28], v18 offset:9104
	ds_read2_b64 v[29:32], v11 offset1:33
	v_mov_b32_e32 v51, 0
	v_cmp_gt_u32_e64 s[2:3], 32, v24
	s_waitcnt lgkmcnt(2)
	v_mul_f32_e32 v3, v20, v8
	v_mul_f32_e32 v8, v19, v8
	v_fmac_f32_e32 v8, v20, v7
	s_waitcnt lgkmcnt(0)
	v_mul_f32_e32 v11, v21, v30
	v_fma_f32 v3, v19, v7, -v3
	v_add_f32_e32 v7, 0, v8
	v_mul_f32_e32 v8, v22, v30
	v_fmac_f32_e32 v11, v22, v29
	v_add_f32_e32 v3, 0, v3
	v_fma_f32 v8, v21, v29, -v8
	v_add_f32_e32 v7, v7, v11
	v_add_u32_e32 v11, v10, v4
	v_add_f32_e32 v8, v3, v8
	ds_read_b64 v[3:4], v11
	v_mul_f32_e32 v19, v26, v32
	v_fma_f32 v19, v25, v31, -v19
	v_mul_f32_e32 v20, v25, v32
	v_fmac_f32_e32 v20, v26, v31
	v_add_f32_e32 v8, v8, v19
	s_waitcnt lgkmcnt(0)
	v_mul_f32_e32 v19, v28, v4
	v_mul_f32_e32 v4, v27, v4
	v_add_f32_e32 v7, v7, v20
	v_fmac_f32_e32 v4, v28, v3
	v_add_f32_e32 v4, v7, v4
	v_mul_u32_u24_e32 v7, 33, v2
	v_fma_f32 v19, v27, v3, -v19
	v_lshlrev_b32_e32 v25, 3, v7
	v_add_f32_e32 v3, v8, v19
	v_lshl_add_u32 v26, v9, 3, v25
	v_mov_b32_e32 v52, 0
	s_barrier
	ds_write_b64 v26, v[3:4]
	s_waitcnt lgkmcnt(0)
	s_barrier
	s_and_saveexec_b64 s[12:13], s[2:3]
	s_cbranch_execz .LBB181_41
; %bb.40:
	ds_read2_b64 v[19:22], v25 offset1:7
	ds_read2_b64 v[27:30], v25 offset0:1 offset1:2
	ds_read2_b64 v[31:34], v25 offset0:3 offset1:4
	s_waitcnt lgkmcnt(1)
	v_add_f32_e32 v3, v27, v19
	v_add_f32_e32 v4, v28, v20
	;; [unrolled: 1-line block ×4, first 2 shown]
	ds_read2_b64 v[27:30], v25 offset0:5 offset1:6
	s_waitcnt lgkmcnt(1)
	v_add_f32_e32 v3, v3, v31
	v_add_f32_e32 v4, v4, v32
	v_add_f32_e32 v3, v3, v33
	v_add_f32_e32 v4, v4, v34
	s_waitcnt lgkmcnt(0)
	v_add_f32_e32 v3, v3, v27
	v_add_f32_e32 v4, v4, v28
	;; [unrolled: 1-line block ×6, first 2 shown]
.LBB181_41:
	s_or_b64 exec, exec, s[12:13]
	s_lshl_b32 s28, s20, 5
	s_ashr_i32 s29, s28, 31
	s_lshl_b64 s[30:31], s[28:29], 3
	v_mov_b32_e32 v3, s31
	v_add_co_u32_e32 v5, vcc, s30, v5
	v_addc_co_u32_e32 v6, vcc, v6, v3, vcc
	v_add_co_u32_e32 v3, vcc, 0x100, v5
	v_addc_co_u32_e32 v4, vcc, 0, v6, vcc
	s_and_b64 vcc, exec, s[34:35]
	s_barrier
	s_cbranch_vccz .LBB181_59
; %bb.42:
	v_sub_co_u32_e32 v8, vcc, v5, v10
	s_ashr_i32 s17, s16, 31
	v_subbrev_co_u32_e32 v19, vcc, 0, v6, vcc
	s_lshl_b64 s[36:37], s[16:17], 3
	v_mov_b32_e32 v20, s37
	v_add_co_u32_e32 v8, vcc, s36, v8
	v_addc_co_u32_e32 v19, vcc, v19, v20, vcc
	v_or_b32_e32 v7, 32, v2
	v_add_co_u32_e32 v20, vcc, -8, v8
	v_addc_co_u32_e32 v8, vcc, -1, v19, vcc
	v_cmp_gt_i32_e64 s[12:13], s16, v7
	s_sub_i32 s17, s16, 32
	v_mul_u32_u24_e32 v19, 0x108, v9
	v_cndmask_b32_e64 v8, v8, v4, s[12:13]
	v_cndmask_b32_e64 v7, v20, v3, s[12:13]
	v_cmp_le_i32_e32 vcc, s17, v9
	v_add_u32_e32 v19, v10, v19
	s_and_saveexec_b64 s[38:39], vcc
	s_xor_b64 s[38:39], exec, s[38:39]
; %bb.43:
	v_mov_b32_e32 v20, 0
	v_mov_b32_e32 v21, v20
	ds_write_b64 v19, v[20:21]
; %bb.44:
	s_andn2_saveexec_b64 s[38:39], s[38:39]
	s_cbranch_execz .LBB181_46
; %bb.45:
	flat_load_dwordx2 v[20:21], v[7:8]
	s_waitcnt vmcnt(0) lgkmcnt(0)
	ds_write_b64 v19, v[20:21]
.LBB181_46:
	s_or_b64 exec, exec, s[38:39]
	v_add_u32_e32 v20, 8, v9
	v_cmp_le_i32_e32 vcc, s17, v20
	s_and_saveexec_b64 s[38:39], vcc
	s_xor_b64 s[38:39], exec, s[38:39]
; %bb.47:
	v_mov_b32_e32 v20, 0
	v_mov_b32_e32 v21, v20
	ds_write_b64 v19, v[20:21] offset:2112
; %bb.48:
	s_andn2_saveexec_b64 s[38:39], s[38:39]
	s_cbranch_execz .LBB181_50
; %bb.49:
	s_lshl_b32 s42, s20, 3
	s_ashr_i32 s43, s42, 31
	s_lshl_b64 s[42:43], s[42:43], 3
	v_mov_b32_e32 v21, s43
	v_add_co_u32_e32 v20, vcc, s42, v7
	v_addc_co_u32_e32 v21, vcc, v8, v21, vcc
	flat_load_dwordx2 v[20:21], v[20:21]
	s_waitcnt vmcnt(0) lgkmcnt(0)
	ds_write_b64 v19, v[20:21] offset:2112
.LBB181_50:
	s_or_b64 exec, exec, s[38:39]
	v_add_u32_e32 v20, 16, v9
	v_cmp_le_i32_e32 vcc, s17, v20
	s_and_saveexec_b64 s[38:39], vcc
	s_xor_b64 s[38:39], exec, s[38:39]
; %bb.51:
	v_mov_b32_e32 v20, 0
	v_mov_b32_e32 v21, v20
	ds_write_b64 v19, v[20:21] offset:4224
; %bb.52:
	s_andn2_saveexec_b64 s[38:39], s[38:39]
	s_cbranch_execz .LBB181_54
; %bb.53:
	s_lshl_b32 s42, s20, 4
	s_ashr_i32 s43, s42, 31
	s_lshl_b64 s[42:43], s[42:43], 3
	v_mov_b32_e32 v21, s43
	v_add_co_u32_e32 v20, vcc, s42, v7
	v_addc_co_u32_e32 v21, vcc, v8, v21, vcc
	flat_load_dwordx2 v[20:21], v[20:21]
	s_waitcnt vmcnt(0) lgkmcnt(0)
	ds_write_b64 v19, v[20:21] offset:4224
.LBB181_54:
	s_or_b64 exec, exec, s[38:39]
	v_add_u32_e32 v20, 24, v9
	v_cmp_le_i32_e32 vcc, s17, v20
	s_and_saveexec_b64 s[38:39], vcc
	s_xor_b64 s[38:39], exec, s[38:39]
; %bb.55:
	v_mov_b32_e32 v20, 0
	v_mov_b32_e32 v21, v20
	ds_write_b64 v19, v[20:21] offset:6336
                                        ; implicit-def: $vgpr19
; %bb.56:
	s_andn2_saveexec_b64 s[38:39], s[38:39]
	s_cbranch_execz .LBB181_58
; %bb.57:
	s_mul_i32 s42, s20, 24
	s_ashr_i32 s43, s42, 31
	s_lshl_b64 s[42:43], s[42:43], 3
	v_mov_b32_e32 v21, s43
	v_add_co_u32_e32 v20, vcc, s42, v7
	v_addc_co_u32_e32 v21, vcc, v8, v21, vcc
	flat_load_dwordx2 v[20:21], v[20:21]
	s_waitcnt vmcnt(0) lgkmcnt(0)
	ds_write_b64 v19, v[20:21] offset:6336
.LBB181_58:
	s_or_b64 exec, exec, s[38:39]
	v_add_co_u32_e32 v7, vcc, v7, v10
	v_addc_co_u32_e32 v8, vcc, 0, v8, vcc
	v_mov_b32_e32 v19, s37
	v_subrev_co_u32_e32 v7, vcc, s36, v7
	v_subb_co_u32_e32 v8, vcc, v8, v19, vcc
	v_add_co_u32_e32 v7, vcc, 0x108, v7
	v_addc_co_u32_e32 v8, vcc, 0, v8, vcc
	v_cndmask_b32_e64 v8, v8, v4, s[12:13]
	v_cndmask_b32_e64 v7, v7, v3, s[12:13]
	v_mul_u32_u24_e32 v19, 0x420, v9
	s_branch .LBB181_61
.LBB181_59:
                                        ; implicit-def: $vgpr7_vgpr8
	v_mul_u32_u24_e32 v19, 0x420, v9
	s_cbranch_execz .LBB181_61
; %bb.60:
	s_lshl_b32 s12, s20, 3
	s_ashr_i32 s13, s12, 31
	s_lshl_b64 s[12:13], s[12:13], 3
	v_mov_b32_e32 v8, s13
	v_add_co_u32_e32 v7, vcc, s12, v5
	s_ashr_i32 s21, s20, 31
	v_addc_co_u32_e32 v8, vcc, v6, v8, vcc
	s_lshl_b64 s[12:13], s[20:21], 6
	v_mov_b32_e32 v23, s13
	v_add_co_u32_e32 v20, vcc, s12, v7
	v_addc_co_u32_e32 v21, vcc, v8, v23, vcc
	v_add_co_u32_e32 v22, vcc, s12, v20
	v_addc_co_u32_e32 v23, vcc, v21, v23, vcc
	flat_load_dwordx2 v[27:28], v[5:6] offset:256
	flat_load_dwordx2 v[29:30], v[7:8] offset:256
	;; [unrolled: 1-line block ×4, first 2 shown]
	s_movk_i32 s12, 0x108
	v_mov_b32_e32 v8, v4
	v_mad_u32_u24 v5, v9, s12, v10
	v_mov_b32_e32 v7, v3
	s_waitcnt vmcnt(0) lgkmcnt(0)
	ds_write_b64 v5, v[27:28]
	ds_write_b64 v5, v[29:30] offset:2112
	ds_write_b64 v5, v[31:32] offset:4224
	;; [unrolled: 1-line block ×3, first 2 shown]
.LBB181_61:
	v_mul_u32_u24_e32 v4, 0x108, v12
	v_add_u32_e32 v12, v10, v19
	v_lshl_add_u32 v3, v13, 3, v25
	s_waitcnt lgkmcnt(0)
	s_barrier
	s_and_saveexec_b64 s[12:13], s[4:5]
	s_cbranch_execz .LBB181_65
; %bb.62:
	ds_read_b64 v[5:6], v12
	s_waitcnt lgkmcnt(0)
	ds_write_b64 v3, v[5:6]
	s_or_b64 exec, exec, s[12:13]
	v_add_u32_e32 v27, v10, v4
	s_and_saveexec_b64 s[4:5], s[14:15]
	s_cbranch_execnz .LBB181_66
.LBB181_63:
	s_or_b64 exec, exec, s[4:5]
	s_and_saveexec_b64 s[4:5], s[8:9]
	s_cbranch_execz .LBB181_67
.LBB181_64:
	ds_read_b64 v[4:5], v27 offset:264
	s_waitcnt lgkmcnt(0)
	ds_write_b64 v3, v[4:5] offset:16
	s_or_b64 exec, exec, s[4:5]
	v_add_u32_e32 v28, 0x2380, v18
	s_and_saveexec_b64 s[4:5], s[10:11]
	s_cbranch_execnz .LBB181_68
	s_branch .LBB181_69
.LBB181_65:
	s_or_b64 exec, exec, s[12:13]
	v_add_u32_e32 v27, v10, v4
	s_and_saveexec_b64 s[4:5], s[14:15]
	s_cbranch_execz .LBB181_63
.LBB181_66:
	ds_read_b64 v[4:5], v27
	s_waitcnt lgkmcnt(0)
	ds_write_b64 v3, v[4:5] offset:8
	s_or_b64 exec, exec, s[4:5]
	s_and_saveexec_b64 s[4:5], s[8:9]
	s_cbranch_execnz .LBB181_64
.LBB181_67:
	s_or_b64 exec, exec, s[4:5]
	v_add_u32_e32 v28, 0x2380, v18
	s_and_saveexec_b64 s[4:5], s[10:11]
	s_cbranch_execz .LBB181_69
.LBB181_68:
	ds_read_b64 v[4:5], v11
	s_waitcnt lgkmcnt(0)
	ds_write_b64 v3, v[4:5] offset:24
.LBB181_69:
	s_or_b64 exec, exec, s[4:5]
	s_waitcnt lgkmcnt(0)
	s_barrier
	ds_read_b64 v[22:23], v12
	ds_read_b128 v[3:6], v28 offset:256
	ds_read_b128 v[18:21], v28 offset:272
	ds_read_b64 v[33:34], v11
	ds_read2_b64 v[29:32], v27 offset1:33
	v_cmp_eq_u32_e64 s[4:5], 1, v9
	s_waitcnt lgkmcnt(3)
	v_mul_f32_e32 v13, v4, v23
	v_fma_f32 v13, v3, v22, -v13
	v_mul_f32_e32 v3, v3, v23
	v_fmac_f32_e32 v3, v4, v22
	v_add_f32_e32 v4, 0, v13
	s_waitcnt lgkmcnt(0)
	v_mul_f32_e32 v13, v6, v30
	v_fma_f32 v13, v5, v29, -v13
	v_mul_f32_e32 v5, v5, v30
	v_add_f32_e32 v3, 0, v3
	v_fmac_f32_e32 v5, v6, v29
	v_add_f32_e32 v3, v3, v5
	v_mul_f32_e32 v5, v19, v32
	v_mul_f32_e32 v6, v18, v32
	v_add_f32_e32 v4, v4, v13
	v_fma_f32 v5, v18, v31, -v5
	v_fmac_f32_e32 v6, v19, v31
	v_add_f32_e32 v4, v4, v5
	v_add_f32_e32 v5, v3, v6
	v_mul_f32_e32 v3, v21, v34
	v_mul_f32_e32 v6, v20, v34
	v_fma_f32 v3, v20, v33, -v3
	v_fmac_f32_e32 v6, v21, v33
	v_add_f32_e32 v3, v4, v3
	v_add_f32_e32 v4, v5, v6
	s_barrier
	ds_write_b64 v26, v[3:4]
	s_waitcnt lgkmcnt(0)
	s_barrier
	s_and_saveexec_b64 s[8:9], s[4:5]
	s_cbranch_execz .LBB181_71
; %bb.70:
	ds_read2_b64 v[3:6], v25 offset1:7
	ds_read2_b64 v[18:21], v25 offset0:1 offset1:2
	ds_read2_b64 v[29:32], v25 offset0:3 offset1:4
	s_waitcnt lgkmcnt(1)
	v_add_f32_e32 v3, v18, v3
	v_add_f32_e32 v4, v19, v4
	;; [unrolled: 1-line block ×4, first 2 shown]
	ds_read2_b64 v[18:21], v25 offset0:5 offset1:6
	s_waitcnt lgkmcnt(1)
	v_add_f32_e32 v3, v3, v29
	v_add_f32_e32 v4, v4, v30
	;; [unrolled: 1-line block ×4, first 2 shown]
	s_waitcnt lgkmcnt(0)
	v_add_f32_e32 v3, v3, v18
	v_add_f32_e32 v4, v4, v19
	;; [unrolled: 1-line block ×6, first 2 shown]
.LBB181_71:
	s_or_b64 exec, exec, s[8:9]
	v_add_co_u32_e32 v3, vcc, 0xffffff00, v7
	v_addc_co_u32_e32 v4, vcc, -1, v8, vcc
	s_and_b64 vcc, exec, s[34:35]
	s_barrier
	s_cbranch_vccz .LBB181_89
; %bb.72:
	v_sub_co_u32_e32 v5, vcc, v3, v10
	s_ashr_i32 s17, s16, 31
	v_subbrev_co_u32_e32 v6, vcc, 0, v4, vcc
	s_lshl_b64 s[10:11], s[16:17], 3
	v_mov_b32_e32 v7, s11
	v_add_co_u32_e32 v5, vcc, s10, v5
	v_addc_co_u32_e32 v6, vcc, v6, v7, vcc
	v_add_co_u32_e32 v5, vcc, -8, v5
	v_addc_co_u32_e32 v6, vcc, -1, v6, vcc
	v_cmp_gt_i32_e32 vcc, s16, v2
	s_sub_i32 s14, s16, 32
	v_mul_u32_u24_e32 v2, 0x108, v9
	v_cndmask_b32_e32 v6, v6, v4, vcc
	v_cndmask_b32_e32 v5, v5, v3, vcc
	v_cmp_le_i32_e64 s[8:9], s14, v9
	v_add_u32_e32 v13, v10, v2
	s_and_saveexec_b64 s[12:13], s[8:9]
	s_xor_b64 s[8:9], exec, s[12:13]
; %bb.73:
	v_mov_b32_e32 v7, 0
	v_mov_b32_e32 v8, v7
	ds_write_b64 v13, v[7:8]
; %bb.74:
	s_andn2_saveexec_b64 s[8:9], s[8:9]
	s_cbranch_execz .LBB181_76
; %bb.75:
	flat_load_dwordx2 v[7:8], v[5:6]
	s_waitcnt vmcnt(0) lgkmcnt(0)
	ds_write_b64 v13, v[7:8]
.LBB181_76:
	s_or_b64 exec, exec, s[8:9]
	v_add_u32_e32 v2, 8, v9
	v_cmp_le_i32_e64 s[8:9], s14, v2
	s_and_saveexec_b64 s[12:13], s[8:9]
	s_xor_b64 s[8:9], exec, s[12:13]
; %bb.77:
	v_mov_b32_e32 v7, 0
	v_mov_b32_e32 v8, v7
	ds_write_b64 v13, v[7:8] offset:2112
; %bb.78:
	s_andn2_saveexec_b64 s[12:13], s[8:9]
	s_cbranch_execz .LBB181_80
; %bb.79:
	s_lshl_b32 s8, s20, 3
	s_ashr_i32 s9, s8, 31
	s_lshl_b64 s[8:9], s[8:9], 3
	v_mov_b32_e32 v8, s9
	v_add_co_u32_e64 v7, s[8:9], s8, v5
	v_addc_co_u32_e64 v8, s[8:9], v6, v8, s[8:9]
	flat_load_dwordx2 v[7:8], v[7:8]
	s_waitcnt vmcnt(0) lgkmcnt(0)
	ds_write_b64 v13, v[7:8] offset:2112
.LBB181_80:
	s_or_b64 exec, exec, s[12:13]
	v_add_u32_e32 v7, 16, v9
	v_cmp_le_i32_e64 s[8:9], s14, v7
	s_and_saveexec_b64 s[12:13], s[8:9]
	s_xor_b64 s[8:9], exec, s[12:13]
; %bb.81:
	v_mov_b32_e32 v18, 0
	v_mov_b32_e32 v19, v18
	ds_write_b64 v13, v[18:19] offset:4224
; %bb.82:
	s_andn2_saveexec_b64 s[12:13], s[8:9]
	s_cbranch_execz .LBB181_84
; %bb.83:
	s_lshl_b32 s8, s20, 4
	s_ashr_i32 s9, s8, 31
	s_lshl_b64 s[8:9], s[8:9], 3
	v_mov_b32_e32 v8, s9
	v_add_co_u32_e64 v18, s[8:9], s8, v5
	v_addc_co_u32_e64 v19, s[8:9], v6, v8, s[8:9]
	flat_load_dwordx2 v[18:19], v[18:19]
	s_waitcnt vmcnt(0) lgkmcnt(0)
	ds_write_b64 v13, v[18:19] offset:4224
.LBB181_84:
	s_or_b64 exec, exec, s[12:13]
	v_add_u32_e32 v8, 24, v9
	v_cmp_le_i32_e64 s[8:9], s14, v8
	s_and_saveexec_b64 s[12:13], s[8:9]
	s_xor_b64 s[8:9], exec, s[12:13]
; %bb.85:
	v_mov_b32_e32 v18, 0
	v_mov_b32_e32 v19, v18
	ds_write_b64 v13, v[18:19] offset:6336
                                        ; implicit-def: $vgpr13
; %bb.86:
	s_andn2_saveexec_b64 s[12:13], s[8:9]
	s_cbranch_execz .LBB181_88
; %bb.87:
	s_mul_i32 s8, s20, 24
	s_ashr_i32 s9, s8, 31
	s_lshl_b64 s[8:9], s[8:9], 3
	v_mov_b32_e32 v19, s9
	v_add_co_u32_e64 v18, s[8:9], s8, v5
	v_addc_co_u32_e64 v19, s[8:9], v6, v19, s[8:9]
	flat_load_dwordx2 v[18:19], v[18:19]
	s_waitcnt vmcnt(0) lgkmcnt(0)
	ds_write_b64 v13, v[18:19] offset:6336
.LBB181_88:
	s_or_b64 exec, exec, s[12:13]
	v_add_co_u32_e64 v5, s[8:9], v5, v10
	v_addc_co_u32_e64 v6, s[8:9], 0, v6, s[8:9]
	v_mov_b32_e32 v13, s11
	v_subrev_co_u32_e64 v5, s[8:9], s10, v5
	v_subb_co_u32_e64 v6, s[8:9], v6, v13, s[8:9]
	v_add_co_u32_e64 v5, s[8:9], 8, v5
	v_addc_co_u32_e64 v6, s[8:9], 0, v6, s[8:9]
	v_cndmask_b32_e32 v19, v6, v4, vcc
	v_cndmask_b32_e32 v18, v5, v3, vcc
	s_branch .LBB181_91
.LBB181_89:
                                        ; implicit-def: $vgpr18_vgpr19
                                        ; implicit-def: $vgpr2
                                        ; implicit-def: $vgpr7
                                        ; implicit-def: $vgpr8
	s_cbranch_execz .LBB181_91
; %bb.90:
	s_lshl_b32 s8, s20, 3
	s_ashr_i32 s9, s8, 31
	s_lshl_b64 s[8:9], s[8:9], 3
	v_mov_b32_e32 v2, s9
	v_add_co_u32_e32 v5, vcc, s8, v3
	s_ashr_i32 s21, s20, 31
	v_addc_co_u32_e32 v6, vcc, v4, v2, vcc
	s_lshl_b64 s[8:9], s[20:21], 6
	v_mov_b32_e32 v2, s9
	v_add_co_u32_e32 v7, vcc, s8, v5
	v_addc_co_u32_e32 v8, vcc, v6, v2, vcc
	v_add_co_u32_e32 v18, vcc, s8, v7
	v_addc_co_u32_e32 v19, vcc, v8, v2, vcc
	flat_load_dwordx2 v[20:21], v[3:4]
	flat_load_dwordx2 v[22:23], v[5:6]
	;; [unrolled: 1-line block ×4, first 2 shown]
	s_movk_i32 s8, 0x108
	v_mov_b32_e32 v19, v4
	v_add_u32_e32 v2, 8, v9
	v_add_u32_e32 v7, 16, v9
	;; [unrolled: 1-line block ×3, first 2 shown]
	v_mad_u32_u24 v5, v9, s8, v10
	v_mov_b32_e32 v18, v3
	s_waitcnt vmcnt(0) lgkmcnt(0)
	ds_write_b64 v5, v[20:21]
	ds_write_b64 v5, v[22:23] offset:2112
	ds_write_b64 v5, v[29:30] offset:4224
	ds_write_b64 v5, v[31:32] offset:6336
.LBB181_91:
	v_lshlrev_b32_e32 v3, 3, v9
	v_add_u32_e32 v4, v25, v3
	v_lshlrev_b32_e32 v2, 3, v2
	s_waitcnt lgkmcnt(0)
	s_barrier
	ds_read_b64 v[29:30], v4
	ds_read_b64 v[31:32], v2 offset:9088
	ds_read_b64 v[33:34], v3 offset:9088
	ds_read_b64 v[20:21], v11
	v_add_u32_e32 v2, v25, v2
	ds_read_b64 v[35:36], v2
	v_lshlrev_b32_e32 v2, 3, v7
	s_waitcnt lgkmcnt(2)
	v_mul_f32_e32 v3, v34, v30
	v_add_u32_e32 v4, v25, v2
	v_fma_f32 v3, v33, v29, -v3
	v_lshlrev_b32_e32 v5, 3, v8
	ds_read_b64 v[37:38], v4
	ds_read_b64 v[39:40], v5 offset:9088
	ds_read_b64 v[41:42], v2 offset:9088
	s_waitcnt lgkmcnt(3)
	v_mul_f32_e32 v2, v32, v36
	v_add_f32_e32 v3, 0, v3
	v_fma_f32 v2, v31, v35, -v2
	v_add_f32_e32 v2, v3, v2
	v_add_u32_e32 v3, v25, v5
	ds_read_b64 v[43:44], v3
	ds_read_b64 v[22:23], v12
	s_waitcnt lgkmcnt(2)
	v_mul_f32_e32 v3, v42, v38
	v_fma_f32 v3, v41, v37, -v3
	v_add_f32_e32 v2, v2, v3
	s_waitcnt lgkmcnt(1)
	v_mul_f32_e32 v3, v40, v44
	v_fma_f32 v3, v39, v43, -v3
	v_add_f32_e32 v45, v2, v3
	ds_read_b128 v[10:13], v28 offset:256
	ds_read_b128 v[2:5], v28 offset:272
	v_mul_f32_e32 v28, v33, v30
	v_fmac_f32_e32 v28, v34, v29
	ds_read2_b64 v[6:9], v27 offset1:33
	v_add_f32_e32 v27, 0, v28
	v_mul_f32_e32 v28, v31, v36
	v_fmac_f32_e32 v28, v32, v35
	v_add_f32_e32 v27, v27, v28
	v_mul_f32_e32 v28, v41, v38
	v_fmac_f32_e32 v28, v42, v37
	;; [unrolled: 3-line block ×3, first 2 shown]
	v_add_f32_e32 v46, v27, v28
	s_waitcnt lgkmcnt(0)
	s_barrier
	ds_write_b64 v26, v[45:46]
	s_waitcnt lgkmcnt(0)
	s_barrier
	s_and_saveexec_b64 s[8:9], s[4:5]
	s_cbranch_execz .LBB181_93
; %bb.92:
	ds_read2_b64 v[27:30], v25 offset1:1
	ds_read2_b64 v[31:34], v25 offset0:2 offset1:3
	ds_read2_b64 v[35:38], v25 offset0:4 offset1:5
	s_waitcnt lgkmcnt(2)
	v_add_f32_e32 v27, v51, v27
	v_add_f32_e32 v28, v52, v28
	;; [unrolled: 1-line block ×4, first 2 shown]
	s_waitcnt lgkmcnt(1)
	v_add_f32_e32 v27, v27, v31
	v_add_f32_e32 v28, v28, v32
	;; [unrolled: 1-line block ×4, first 2 shown]
	ds_read2_b64 v[27:30], v25 offset0:6 offset1:7
	s_waitcnt lgkmcnt(1)
	v_add_f32_e32 v31, v31, v35
	v_add_f32_e32 v32, v32, v36
	;; [unrolled: 1-line block ×4, first 2 shown]
	s_waitcnt lgkmcnt(0)
	v_add_f32_e32 v27, v31, v27
	v_add_f32_e32 v28, v32, v28
	;; [unrolled: 1-line block ×4, first 2 shown]
.LBB181_93:
	s_or_b64 exec, exec, s[8:9]
	v_mul_f32_e32 v27, v11, v23
	v_fma_f32 v27, v10, v22, -v27
	v_mul_f32_e32 v10, v10, v23
	v_fmac_f32_e32 v10, v11, v22
	v_mul_f32_e32 v22, v13, v7
	v_mul_f32_e32 v7, v12, v7
	v_add_f32_e32 v10, 0, v10
	v_fmac_f32_e32 v7, v13, v6
	v_add_f32_e32 v7, v10, v7
	v_mul_f32_e32 v10, v3, v9
	v_add_f32_e32 v11, 0, v27
	v_fma_f32 v22, v12, v6, -v22
	v_fma_f32 v10, v2, v8, -v10
	v_mul_f32_e32 v2, v2, v9
	v_add_f32_e32 v6, v11, v22
	v_fmac_f32_e32 v2, v3, v8
	v_add_f32_e32 v3, v6, v10
	v_add_f32_e32 v6, v7, v2
	v_mul_f32_e32 v2, v5, v21
	v_fma_f32 v2, v4, v20, -v2
	v_mul_f32_e32 v4, v4, v21
	v_fmac_f32_e32 v4, v5, v20
	v_add_f32_e32 v2, v3, v2
	v_add_f32_e32 v3, v6, v4
	s_barrier
	ds_write_b64 v26, v[2:3]
	s_waitcnt lgkmcnt(0)
	s_barrier
	s_and_saveexec_b64 s[4:5], s[2:3]
	s_cbranch_execz .LBB181_95
; %bb.94:
	ds_read2_b64 v[2:5], v25 offset1:1
	ds_read2_b64 v[6:9], v25 offset0:2 offset1:3
	ds_read2_b64 v[10:13], v25 offset0:4 offset1:5
	s_waitcnt lgkmcnt(2)
	v_add_f32_e32 v2, v51, v2
	v_add_f32_e32 v3, v52, v3
	;; [unrolled: 1-line block ×4, first 2 shown]
	s_waitcnt lgkmcnt(1)
	v_add_f32_e32 v2, v2, v6
	v_add_f32_e32 v3, v3, v7
	;; [unrolled: 1-line block ×4, first 2 shown]
	ds_read2_b64 v[2:5], v25 offset0:6 offset1:7
	s_waitcnt lgkmcnt(1)
	v_add_f32_e32 v6, v6, v10
	v_add_f32_e32 v7, v7, v11
	;; [unrolled: 1-line block ×4, first 2 shown]
	s_waitcnt lgkmcnt(0)
	v_add_f32_e32 v2, v6, v2
	v_add_f32_e32 v3, v7, v3
	;; [unrolled: 1-line block ×4, first 2 shown]
.LBB181_95:
	s_or_b64 exec, exec, s[4:5]
	s_mul_hi_u32 s2, s23, s22
	s_mul_i32 s41, s41, s22
	s_add_i32 s2, s2, s41
	s_mul_i32 s4, s23, s22
	s_mul_i32 s2, s2, s7
	s_mul_hi_u32 s3, s4, s7
	s_add_i32 s3, s3, s2
	s_mul_i32 s2, s4, s7
	s_lshl_b64 s[2:3], s[2:3], 3
	s_add_u32 s4, s24, s2
	s_addc_u32 s5, s25, s3
	s_mul_hi_i32 s3, s23, s6
	s_mul_i32 s2, s23, s6
	s_lshl_b64 s[2:3], s[2:3], 3
	s_add_u32 s17, s4, s2
	s_addc_u32 s24, s5, s3
	s_add_i32 s8, s6, 1
	s_cmp_ge_u32 s8, s7
	v_lshlrev_b32_e32 v88, 3, v0
	s_barrier
	s_cbranch_scc1 .LBB181_153
; %bb.96:
	v_lshlrev_b32_e32 v89, 2, v1
	s_mul_i32 s2, s40, s26
	v_mad_u64_u32 v[2:3], s[4:5], s20, v89, v[0:1]
	s_ashr_i32 s3, s2, 31
	s_lshl_b64 s[2:3], s[2:3], 3
	v_subrev_co_u32_e32 v90, vcc, s2, v16
	s_lshl_b32 s26, s40, 6
	s_lshl_b32 s2, s20, 4
	s_ashr_i32 s21, s20, 31
	s_lshl_b32 s14, s20, 1
	s_mul_i32 s22, s20, 3
	s_mul_i32 s40, s40, s8
	v_mov_b32_e32 v4, s3
	v_ashrrev_i32_e32 v3, 31, v2
	s_add_i32 s25, s7, -2
	s_ashr_i32 s3, s2, 31
	s_ashr_i32 s15, s14, 31
	s_ashr_i32 s23, s22, 31
	s_lshl_b64 s[4:5], s[20:21], 3
	s_lshl_b32 s10, s40, 6
	s_lshl_b64 s[8:9], s[20:21], 4
	v_subb_co_u32_e32 v91, vcc, v17, v4, vcc
	s_add_u32 s11, s8, s30
	v_lshlrev_b64 v[4:5], 3, v[2:3]
	s_addc_u32 s21, s9, s31
	s_lshl_b64 s[12:13], s[2:3], 5
	v_mov_b32_e32 v6, s21
	v_add_co_u32_e32 v7, vcc, s11, v4
	s_add_u32 s27, s4, s30
	v_addc_co_u32_e32 v6, vcc, v6, v5, vcc
	s_addc_u32 s36, s5, s31
	v_mov_b32_e32 v8, s36
	v_add_co_u32_e32 v9, vcc, s27, v4
	v_addc_co_u32_e32 v8, vcc, v8, v5, vcc
	s_lshl_b64 s[14:15], s[14:15], 3
	v_mov_b32_e32 v10, s31
	v_add_co_u32_e32 v11, vcc, s30, v4
	s_add_u32 s34, s30, s14
	v_addc_co_u32_e32 v10, vcc, v10, v5, vcc
	s_addc_u32 s35, s31, s15
	s_lshl_b64 s[22:23], s[22:23], 3
	v_mov_b32_e32 v12, s35
	v_add_co_u32_e32 v13, vcc, s34, v4
	s_add_u32 s34, s30, s22
	v_addc_co_u32_e32 v12, vcc, v12, v5, vcc
	s_addc_u32 s35, s31, s23
	v_mov_b32_e32 v16, s35
	v_add_co_u32_e32 v17, vcc, s34, v4
	s_lshl_b64 s[34:35], s[2:3], 3
	s_add_u32 s37, s11, s34
	v_addc_co_u32_e32 v16, vcc, v16, v5, vcc
	s_addc_u32 s38, s21, s35
	v_mov_b32_e32 v20, s38
	v_add_co_u32_e32 v21, vcc, s37, v4
	s_add_u32 s27, s27, s34
	v_addc_co_u32_e32 v20, vcc, v20, v5, vcc
	s_addc_u32 s36, s36, s35
	v_add_co_u32_e32 v23, vcc, s27, v4
	s_add_u32 s27, s30, s34
	v_mov_b32_e32 v22, s36
	s_addc_u32 s34, s31, s35
	v_addc_co_u32_e32 v22, vcc, v22, v5, vcc
	s_add_u32 s35, s27, s14
	v_mov_b32_e32 v25, s34
	v_add_co_u32_e32 v26, vcc, s27, v4
	s_addc_u32 s36, s34, s15
	v_addc_co_u32_e32 v25, vcc, v25, v5, vcc
	s_add_u32 s27, s27, s22
	v_mov_b32_e32 v27, s36
	v_add_co_u32_e32 v28, vcc, s35, v4
	s_addc_u32 s34, s34, s23
	v_addc_co_u32_e32 v27, vcc, v27, v5, vcc
	v_mov_b32_e32 v29, s34
	s_lshl_b64 s[34:35], s[2:3], 4
	v_add_co_u32_e32 v30, vcc, s27, v4
	s_add_u32 s3, s11, s34
	v_addc_co_u32_e32 v29, vcc, v29, v5, vcc
	s_addc_u32 s11, s21, s35
	v_mov_b32_e32 v31, s11
	v_add_co_u32_e32 v32, vcc, s3, v4
	s_add_u32 s3, s34, s30
	v_addc_co_u32_e32 v31, vcc, v31, v5, vcc
	s_addc_u32 s11, s35, s31
	s_add_u32 s21, s3, s4
	v_mov_b32_e32 v34, s29
	v_add_co_u32_e32 v2, vcc, s28, v2
	s_addc_u32 s27, s11, s5
	v_addc_co_u32_e32 v3, vcc, v34, v3, vcc
	v_mov_b32_e32 v33, s27
	v_add_co_u32_e32 v34, vcc, s21, v4
	v_addc_co_u32_e32 v33, vcc, v33, v5, vcc
	v_mov_b32_e32 v35, s11
	v_add_co_u32_e32 v36, vcc, s3, v4
	s_add_u32 s21, s3, s14
	v_addc_co_u32_e32 v35, vcc, v35, v5, vcc
	s_addc_u32 s27, s11, s15
	v_mov_b32_e32 v37, s27
	v_add_co_u32_e32 v38, vcc, s21, v4
	v_addc_co_u32_e32 v37, vcc, v37, v5, vcc
	s_add_u32 s3, s3, s22
	s_addc_u32 s11, s11, s23
	v_add_co_u32_e32 v40, vcc, s3, v4
	s_mul_i32 s3, s20, 0x180
	v_mov_b32_e32 v39, s11
	s_mul_hi_i32 s11, s2, 24
	s_add_u32 s8, s3, s8
	v_lshlrev_b64 v[2:3], 3, v[2:3]
	s_addc_u32 s3, s11, s9
	v_addc_co_u32_e32 v39, vcc, v39, v5, vcc
	v_mov_b32_e32 v41, s3
	v_mad_i64_i32 v[4:5], s[2:3], s2, 24, v[2:3]
	v_add_co_u32_e32 v2, vcc, s8, v2
	v_addc_co_u32_e32 v3, vcc, v41, v3, vcc
	v_mov_b32_e32 v41, s5
	v_add_co_u32_e32 v42, vcc, s4, v4
	v_addc_co_u32_e32 v41, vcc, v5, v41, vcc
	v_mov_b32_e32 v43, s15
	;; [unrolled: 3-line block ×3, first 2 shown]
	v_add_co_u32_e32 v46, vcc, s22, v4
	v_addc_co_u32_e32 v45, vcc, v5, v45, vcc
	v_add_co_u32_e32 v92, vcc, v18, v4
	v_addc_co_u32_e32 v93, vcc, v19, v5, vcc
	v_add_co_u32_e32 v94, vcc, v18, v7
	v_addc_co_u32_e32 v95, vcc, v19, v6, vcc
	v_add_co_u32_e32 v96, vcc, v18, v9
	v_addc_co_u32_e32 v97, vcc, v19, v8, vcc
	v_add_co_u32_e32 v98, vcc, v18, v11
	v_addc_co_u32_e32 v99, vcc, v19, v10, vcc
	v_add_co_u32_e32 v100, vcc, v18, v13
	v_addc_co_u32_e32 v101, vcc, v19, v12, vcc
	v_add_co_u32_e32 v102, vcc, v18, v17
	v_addc_co_u32_e32 v103, vcc, v19, v16, vcc
	v_add_co_u32_e32 v104, vcc, v18, v21
	v_addc_co_u32_e32 v105, vcc, v19, v20, vcc
	v_add_co_u32_e32 v106, vcc, v18, v23
	v_addc_co_u32_e32 v107, vcc, v19, v22, vcc
	v_add_co_u32_e32 v108, vcc, v18, v26
	v_addc_co_u32_e32 v109, vcc, v19, v25, vcc
	v_add_co_u32_e32 v110, vcc, v18, v28
	v_addc_co_u32_e32 v111, vcc, v19, v27, vcc
	v_add_co_u32_e32 v112, vcc, v18, v30
	v_addc_co_u32_e32 v113, vcc, v19, v29, vcc
	v_add_co_u32_e32 v114, vcc, v18, v32
	v_addc_co_u32_e32 v115, vcc, v19, v31, vcc
	v_add_co_u32_e32 v116, vcc, v18, v34
	v_addc_co_u32_e32 v117, vcc, v19, v33, vcc
	v_add_co_u32_e32 v118, vcc, v18, v36
	v_addc_co_u32_e32 v119, vcc, v19, v35, vcc
	v_add_co_u32_e32 v120, vcc, v18, v38
	v_addc_co_u32_e32 v121, vcc, v19, v37, vcc
	v_add_co_u32_e32 v122, vcc, v18, v40
	v_addc_co_u32_e32 v123, vcc, v19, v39, vcc
	v_add_co_u32_e32 v124, vcc, v18, v2
	v_addc_co_u32_e32 v125, vcc, v19, v3, vcc
	v_add_co_u32_e32 v126, vcc, v18, v42
	v_addc_co_u32_e32 v127, vcc, v19, v41, vcc
	v_lshrrev_b32_e32 v2, 4, v24
	v_add_co_u32_e32 v128, vcc, v18, v44
	s_movk_i32 s4, 0x218
	v_and_b32_e32 v3, 15, v0
	v_lshlrev_b32_e32 v4, 5, v2
	v_addc_co_u32_e32 v129, vcc, v19, v43, vcc
	v_mad_u32_u24 v132, v3, s4, v4
	v_and_b32_e32 v4, 48, v0
	v_add_co_u32_e32 v130, vcc, v18, v46
	v_lshlrev_b32_e32 v4, 3, v4
	v_addc_co_u32_e32 v131, vcc, v19, v45, vcc
	v_mad_u32_u24 v133, v3, s4, v4
	v_or_b32_e32 v4, 0x78, v88
	v_mad_u32_u24 v134, v3, s4, v4
	v_sub_co_u32_e32 v135, vcc, 0, v14
	v_mov_b32_e32 v3, 0x2180
	s_movk_i32 s4, 0x860
	v_mul_i32_i24_e32 v2, 0xffffffe8, v2
	v_cmp_gt_u32_e64 s[2:3], 64, v24
	v_subb_co_u32_e32 v136, vcc, 0, v15, vcc
	v_lshl_add_u32 v137, v1, 5, v3
	v_add_u32_e32 v138, v132, v2
	v_add_u32_e32 v139, 0x2180, v88
	;; [unrolled: 1-line block ×3, first 2 shown]
	v_mad_u32_u24 v141, v1, s4, v88
	v_or_b32_e32 v142, 1, v89
	v_or_b32_e32 v143, 2, v89
	;; [unrolled: 1-line block ×3, first 2 shown]
	v_add_u32_e32 v145, 16, v89
	v_add_u32_e32 v146, 17, v89
	;; [unrolled: 1-line block ×13, first 2 shown]
	v_mov_b32_e32 v55, 0
	s_cmp_eq_u32 s25, s6
	s_cselect_b32 s22, s33, 0
	s_and_saveexec_b64 s[4:5], s[0:1]
	s_cbranch_execz .LBB181_102
	s_branch .LBB181_98
.LBB181_97:                             ;   in Loop: Header=BB181_102 Depth=1
	s_mov_b32 s6, s4
	s_cmp_eq_u32 s25, s6
	s_cselect_b32 s22, s33, 0
	s_and_saveexec_b64 s[4:5], s[0:1]
	s_cbranch_execz .LBB181_102
.LBB181_98:
	s_cmp_lg_u32 s22, 0
	s_cselect_b64 s[8:9], -1, 0
	v_cmp_le_i32_e32 vcc, s22, v0
	s_and_b64 s[8:9], s[8:9], vcc
	s_and_saveexec_b64 s[14:15], s[8:9]
	s_xor_b64 s[8:9], exec, s[14:15]
; %bb.99:
	v_mov_b32_e32 v56, v55
	ds_write_b64 v139, v[55:56]
; %bb.100:
	s_andn2_saveexec_b64 s[8:9], s[8:9]
	s_cbranch_execz .LBB181_102
; %bb.101:
	s_ashr_i32 s11, s10, 31
	s_lshl_b64 s[8:9], s[10:11], 3
	v_mov_b32_e32 v3, s9
	v_add_co_u32_e32 v2, vcc, s8, v90
	v_addc_co_u32_e32 v3, vcc, v91, v3, vcc
	flat_load_dwordx2 v[2:3], v[2:3]
	s_waitcnt vmcnt(0) lgkmcnt(0)
	ds_write_b64 v139, v[2:3]
.LBB181_102:                            ; =>This Inner Loop Header: Depth=1
	s_or_b64 exec, exec, s[4:5]
	s_cmp_eq_u32 s22, 0
	v_add_co_u32_e32 v2, vcc, v98, v135
	s_cselect_b64 s[14:15], -1, 0
	s_cmp_lg_u32 s22, 0
	v_addc_co_u32_e32 v3, vcc, v99, v136, vcc
	s_cselect_b64 s[8:9], -1, 0
	s_and_b64 vcc, exec, s[8:9]
	s_waitcnt lgkmcnt(0)
	s_barrier
	s_cbranch_vccz .LBB181_110
; %bb.103:                              ;   in Loop: Header=BB181_102 Depth=1
	v_mov_b32_e32 v58, 0
	v_mov_b32_e32 v56, 0
	;; [unrolled: 1-line block ×4, first 2 shown]
	v_cmp_gt_i32_e32 vcc, s22, v89
	s_and_saveexec_b64 s[4:5], vcc
	s_cbranch_execz .LBB181_105
; %bb.104:                              ;   in Loop: Header=BB181_102 Depth=1
	flat_load_dwordx2 v[56:57], v[2:3]
.LBB181_105:                            ;   in Loop: Header=BB181_102 Depth=1
	s_or_b64 exec, exec, s[4:5]
	v_cmp_gt_i32_e32 vcc, s22, v142
	s_and_saveexec_b64 s[4:5], vcc
	s_cbranch_execz .LBB181_107
; %bb.106:                              ;   in Loop: Header=BB181_102 Depth=1
	v_add_co_u32_e32 v4, vcc, v96, v135
	v_addc_co_u32_e32 v5, vcc, v97, v136, vcc
	flat_load_dwordx2 v[58:59], v[4:5]
.LBB181_107:                            ;   in Loop: Header=BB181_102 Depth=1
	s_or_b64 exec, exec, s[4:5]
	v_mov_b32_e32 v60, 0
	v_mov_b32_e32 v61, 0
	v_cmp_gt_i32_e32 vcc, s22, v143
	s_and_saveexec_b64 s[4:5], vcc
	s_cbranch_execz .LBB181_109
; %bb.108:                              ;   in Loop: Header=BB181_102 Depth=1
	v_add_co_u32_e32 v4, vcc, v100, v135
	v_addc_co_u32_e32 v5, vcc, v101, v136, vcc
	flat_load_dwordx2 v[60:61], v[4:5]
.LBB181_109:                            ;   in Loop: Header=BB181_102 Depth=1
	s_or_b64 exec, exec, s[4:5]
	v_cmp_gt_i32_e64 s[4:5], s22, v144
	s_branch .LBB181_112
.LBB181_110:                            ;   in Loop: Header=BB181_102 Depth=1
	s_mov_b64 s[4:5], 0
                                        ; implicit-def: $vgpr60_vgpr61
                                        ; implicit-def: $vgpr58_vgpr59
                                        ; implicit-def: $vgpr56_vgpr57
	s_cbranch_execz .LBB181_112
; %bb.111:                              ;   in Loop: Header=BB181_102 Depth=1
	s_waitcnt vmcnt(0) lgkmcnt(0)
	flat_load_dwordx2 v[56:57], v[2:3]
	v_add_co_u32_e32 v2, vcc, v96, v135
	v_addc_co_u32_e32 v3, vcc, v97, v136, vcc
	flat_load_dwordx2 v[58:59], v[2:3]
	v_add_co_u32_e32 v2, vcc, v94, v135
	v_addc_co_u32_e32 v3, vcc, v95, v136, vcc
	flat_load_dwordx2 v[60:61], v[2:3]
	s_or_b64 s[4:5], s[4:5], exec
.LBB181_112:                            ;   in Loop: Header=BB181_102 Depth=1
	v_mov_b32_e32 v62, 0
	v_mov_b32_e32 v63, 0
	s_and_saveexec_b64 s[20:21], s[4:5]
	s_cbranch_execz .LBB181_114
; %bb.113:                              ;   in Loop: Header=BB181_102 Depth=1
	v_add_co_u32_e32 v2, vcc, v102, v135
	v_addc_co_u32_e32 v3, vcc, v103, v136, vcc
	flat_load_dwordx2 v[62:63], v[2:3]
.LBB181_114:                            ;   in Loop: Header=BB181_102 Depth=1
	s_or_b64 exec, exec, s[20:21]
	ds_read_b64 v[10:11], v140
	ds_read_b128 v[6:9], v137
	ds_read_b128 v[2:5], v137 offset:16
	s_andn2_b64 vcc, exec, s[8:9]
	s_waitcnt vmcnt(0) lgkmcnt(0)
	v_mul_f32_e32 v12, v11, v57
	v_mul_f32_e32 v13, v11, v56
	;; [unrolled: 1-line block ×4, first 2 shown]
	v_fma_f32 v12, v10, v56, -v12
	v_fmac_f32_e32 v13, v10, v57
	v_fma_f32 v14, v10, v58, -v14
	v_fmac_f32_e32 v15, v10, v59
	ds_write2_b64 v141, v[12:13], v[14:15] offset1:67
	v_mul_f32_e32 v12, v11, v61
	v_mul_f32_e32 v13, v11, v60
	;; [unrolled: 1-line block ×4, first 2 shown]
	v_fma_f32 v12, v10, v60, -v12
	v_fmac_f32_e32 v13, v10, v61
	v_fma_f32 v14, v10, v62, -v14
	v_fmac_f32_e32 v15, v11, v62
	ds_write2_b64 v141, v[12:13], v[14:15] offset0:134 offset1:201
	s_waitcnt lgkmcnt(0)
	s_barrier
	ds_read2_b64 v[22:25], v132 offset1:1
	ds_read2_b64 v[18:21], v132 offset0:2 offset1:3
	v_cndmask_b32_e64 v10, 0, 1, s[8:9]
	v_cmp_ne_u32_e64 s[4:5], 1, v10
	v_add_co_u32_e64 v10, s[8:9], v108, v135
	v_addc_co_u32_e64 v11, s[8:9], v109, v136, s[8:9]
	s_waitcnt lgkmcnt(0)
	s_barrier
	s_cbranch_vccnz .LBB181_122
; %bb.115:                              ;   in Loop: Header=BB181_102 Depth=1
	v_mov_b32_e32 v66, 0
	v_mov_b32_e32 v64, 0
	;; [unrolled: 1-line block ×4, first 2 shown]
	v_cmp_gt_i32_e32 vcc, s22, v145
	s_and_saveexec_b64 s[8:9], vcc
	s_cbranch_execz .LBB181_117
; %bb.116:                              ;   in Loop: Header=BB181_102 Depth=1
	flat_load_dwordx2 v[64:65], v[10:11]
.LBB181_117:                            ;   in Loop: Header=BB181_102 Depth=1
	s_or_b64 exec, exec, s[8:9]
	v_cmp_gt_i32_e32 vcc, s22, v146
	s_and_saveexec_b64 s[8:9], vcc
	s_cbranch_execz .LBB181_119
; %bb.118:                              ;   in Loop: Header=BB181_102 Depth=1
	v_add_co_u32_e32 v12, vcc, v106, v135
	v_addc_co_u32_e32 v13, vcc, v107, v136, vcc
	flat_load_dwordx2 v[66:67], v[12:13]
.LBB181_119:                            ;   in Loop: Header=BB181_102 Depth=1
	s_or_b64 exec, exec, s[8:9]
	v_mov_b32_e32 v68, 0
	v_mov_b32_e32 v69, 0
	v_cmp_gt_i32_e32 vcc, s22, v147
	s_and_saveexec_b64 s[8:9], vcc
	s_cbranch_execz .LBB181_121
; %bb.120:                              ;   in Loop: Header=BB181_102 Depth=1
	v_add_co_u32_e32 v12, vcc, v110, v135
	v_addc_co_u32_e32 v13, vcc, v111, v136, vcc
	flat_load_dwordx2 v[68:69], v[12:13]
.LBB181_121:                            ;   in Loop: Header=BB181_102 Depth=1
	s_or_b64 exec, exec, s[8:9]
	v_cmp_gt_i32_e64 s[8:9], s22, v148
	s_branch .LBB181_124
.LBB181_122:                            ;   in Loop: Header=BB181_102 Depth=1
	s_mov_b64 s[8:9], 0
                                        ; implicit-def: $vgpr68_vgpr69
                                        ; implicit-def: $vgpr66_vgpr67
                                        ; implicit-def: $vgpr64_vgpr65
	s_cbranch_execz .LBB181_124
; %bb.123:                              ;   in Loop: Header=BB181_102 Depth=1
	s_waitcnt vmcnt(0) lgkmcnt(0)
	flat_load_dwordx2 v[64:65], v[10:11]
	v_add_co_u32_e32 v10, vcc, v106, v135
	v_addc_co_u32_e32 v11, vcc, v107, v136, vcc
	flat_load_dwordx2 v[66:67], v[10:11]
	v_add_co_u32_e32 v10, vcc, v104, v135
	v_addc_co_u32_e32 v11, vcc, v105, v136, vcc
	flat_load_dwordx2 v[68:69], v[10:11]
	s_or_b64 s[8:9], s[8:9], exec
.LBB181_124:                            ;   in Loop: Header=BB181_102 Depth=1
	v_mov_b32_e32 v70, 0
	v_mov_b32_e32 v71, 0
	s_and_saveexec_b64 s[20:21], s[8:9]
	s_cbranch_execz .LBB181_126
; %bb.125:                              ;   in Loop: Header=BB181_102 Depth=1
	v_add_co_u32_e32 v10, vcc, v112, v135
	v_addc_co_u32_e32 v11, vcc, v113, v136, vcc
	flat_load_dwordx2 v[70:71], v[10:11]
.LBB181_126:                            ;   in Loop: Header=BB181_102 Depth=1
	s_or_b64 exec, exec, s[20:21]
	ds_read_b64 v[26:27], v140
	ds_read_b128 v[14:17], v137 offset:128
	ds_read_b128 v[10:13], v137 offset:144
	s_and_b64 vcc, exec, s[4:5]
	s_waitcnt vmcnt(0) lgkmcnt(0)
	v_mul_f32_e32 v28, v27, v65
	v_mul_f32_e32 v29, v27, v64
	;; [unrolled: 1-line block ×4, first 2 shown]
	v_fma_f32 v28, v26, v64, -v28
	v_fmac_f32_e32 v29, v26, v65
	v_fma_f32 v30, v26, v66, -v30
	v_fmac_f32_e32 v31, v26, v67
	ds_write2_b64 v141, v[28:29], v[30:31] offset1:67
	v_mul_f32_e32 v28, v27, v69
	v_mul_f32_e32 v29, v27, v68
	;; [unrolled: 1-line block ×4, first 2 shown]
	v_fma_f32 v28, v26, v68, -v28
	v_fmac_f32_e32 v29, v26, v69
	v_fma_f32 v30, v26, v70, -v30
	v_fmac_f32_e32 v31, v27, v70
	ds_write2_b64 v141, v[28:29], v[30:31] offset0:134 offset1:201
	s_waitcnt lgkmcnt(0)
	s_barrier
	ds_read2_b64 v[38:41], v132 offset1:1
	ds_read2_b64 v[34:37], v132 offset0:2 offset1:3
	v_add_co_u32_e64 v26, s[8:9], v118, v135
	v_addc_co_u32_e64 v27, s[8:9], v119, v136, s[8:9]
	s_waitcnt lgkmcnt(0)
	s_barrier
	s_cbranch_vccnz .LBB181_134
; %bb.127:                              ;   in Loop: Header=BB181_102 Depth=1
	v_mov_b32_e32 v74, 0
	v_mov_b32_e32 v72, 0
	;; [unrolled: 1-line block ×4, first 2 shown]
	v_cmp_gt_i32_e32 vcc, s22, v149
	s_and_saveexec_b64 s[8:9], vcc
	s_cbranch_execz .LBB181_129
; %bb.128:                              ;   in Loop: Header=BB181_102 Depth=1
	flat_load_dwordx2 v[72:73], v[26:27]
.LBB181_129:                            ;   in Loop: Header=BB181_102 Depth=1
	s_or_b64 exec, exec, s[8:9]
	v_cmp_gt_i32_e32 vcc, s22, v150
	s_and_saveexec_b64 s[8:9], vcc
	s_cbranch_execz .LBB181_131
; %bb.130:                              ;   in Loop: Header=BB181_102 Depth=1
	v_add_co_u32_e32 v28, vcc, v116, v135
	v_addc_co_u32_e32 v29, vcc, v117, v136, vcc
	flat_load_dwordx2 v[74:75], v[28:29]
.LBB181_131:                            ;   in Loop: Header=BB181_102 Depth=1
	s_or_b64 exec, exec, s[8:9]
	v_mov_b32_e32 v76, 0
	v_mov_b32_e32 v77, 0
	v_cmp_gt_i32_e32 vcc, s22, v151
	s_and_saveexec_b64 s[8:9], vcc
	s_cbranch_execz .LBB181_133
; %bb.132:                              ;   in Loop: Header=BB181_102 Depth=1
	v_add_co_u32_e32 v28, vcc, v120, v135
	v_addc_co_u32_e32 v29, vcc, v121, v136, vcc
	flat_load_dwordx2 v[76:77], v[28:29]
.LBB181_133:                            ;   in Loop: Header=BB181_102 Depth=1
	s_or_b64 exec, exec, s[8:9]
	v_cmp_gt_i32_e64 s[8:9], s22, v152
	s_branch .LBB181_136
.LBB181_134:                            ;   in Loop: Header=BB181_102 Depth=1
	s_mov_b64 s[8:9], 0
                                        ; implicit-def: $vgpr76_vgpr77
                                        ; implicit-def: $vgpr74_vgpr75
                                        ; implicit-def: $vgpr72_vgpr73
	s_cbranch_execz .LBB181_136
; %bb.135:                              ;   in Loop: Header=BB181_102 Depth=1
	s_waitcnt vmcnt(0) lgkmcnt(0)
	flat_load_dwordx2 v[72:73], v[26:27]
	v_add_co_u32_e32 v26, vcc, v116, v135
	v_addc_co_u32_e32 v27, vcc, v117, v136, vcc
	flat_load_dwordx2 v[74:75], v[26:27]
	v_add_co_u32_e32 v26, vcc, v114, v135
	v_addc_co_u32_e32 v27, vcc, v115, v136, vcc
	flat_load_dwordx2 v[76:77], v[26:27]
	s_or_b64 s[8:9], s[8:9], exec
.LBB181_136:                            ;   in Loop: Header=BB181_102 Depth=1
	v_mov_b32_e32 v78, 0
	v_mov_b32_e32 v79, 0
	s_and_saveexec_b64 s[20:21], s[8:9]
	s_cbranch_execz .LBB181_138
; %bb.137:                              ;   in Loop: Header=BB181_102 Depth=1
	v_add_co_u32_e32 v26, vcc, v122, v135
	v_addc_co_u32_e32 v27, vcc, v123, v136, vcc
	flat_load_dwordx2 v[78:79], v[26:27]
.LBB181_138:                            ;   in Loop: Header=BB181_102 Depth=1
	s_or_b64 exec, exec, s[20:21]
	ds_read_b64 v[42:43], v140
	ds_read_b128 v[30:33], v137 offset:256
	ds_read_b128 v[26:29], v137 offset:272
	s_and_b64 vcc, exec, s[4:5]
	v_add_co_u32_e64 v86, s[4:5], v92, v135
	s_waitcnt vmcnt(0) lgkmcnt(0)
	v_mul_f32_e32 v44, v43, v73
	v_mul_f32_e32 v45, v43, v72
	;; [unrolled: 1-line block ×4, first 2 shown]
	v_fma_f32 v44, v42, v72, -v44
	v_fmac_f32_e32 v45, v42, v73
	v_fma_f32 v46, v42, v74, -v46
	v_fmac_f32_e32 v47, v42, v75
	ds_write2_b64 v141, v[44:45], v[46:47] offset1:67
	v_mul_f32_e32 v44, v43, v77
	v_mul_f32_e32 v45, v43, v76
	;; [unrolled: 1-line block ×4, first 2 shown]
	v_fma_f32 v44, v42, v76, -v44
	v_fmac_f32_e32 v45, v42, v77
	v_fma_f32 v46, v42, v78, -v46
	v_fmac_f32_e32 v47, v43, v78
	ds_write2_b64 v141, v[44:45], v[46:47] offset0:134 offset1:201
	s_waitcnt lgkmcnt(0)
	s_barrier
	ds_read2_b64 v[46:49], v132 offset1:1
	ds_read2_b64 v[42:45], v132 offset0:2 offset1:3
	v_addc_co_u32_e64 v87, s[4:5], v93, v136, s[4:5]
	s_waitcnt lgkmcnt(0)
	s_barrier
	s_cbranch_vccnz .LBB181_146
; %bb.139:                              ;   in Loop: Header=BB181_102 Depth=1
	v_mov_b32_e32 v82, 0
	v_mov_b32_e32 v80, 0
	;; [unrolled: 1-line block ×4, first 2 shown]
	v_cmp_gt_i32_e32 vcc, s22, v153
	s_and_saveexec_b64 s[4:5], vcc
	s_cbranch_execz .LBB181_141
; %bb.140:                              ;   in Loop: Header=BB181_102 Depth=1
	flat_load_dwordx2 v[80:81], v[86:87]
.LBB181_141:                            ;   in Loop: Header=BB181_102 Depth=1
	s_or_b64 exec, exec, s[4:5]
	v_cmp_gt_i32_e32 vcc, s22, v154
	s_and_saveexec_b64 s[4:5], vcc
	s_cbranch_execz .LBB181_143
; %bb.142:                              ;   in Loop: Header=BB181_102 Depth=1
	v_add_co_u32_e32 v82, vcc, v126, v135
	v_addc_co_u32_e32 v83, vcc, v127, v136, vcc
	flat_load_dwordx2 v[82:83], v[82:83]
.LBB181_143:                            ;   in Loop: Header=BB181_102 Depth=1
	s_or_b64 exec, exec, s[4:5]
	v_mov_b32_e32 v84, 0
	v_mov_b32_e32 v85, 0
	v_cmp_gt_i32_e32 vcc, s22, v155
	s_and_saveexec_b64 s[4:5], vcc
	s_cbranch_execz .LBB181_145
; %bb.144:                              ;   in Loop: Header=BB181_102 Depth=1
	v_add_co_u32_e32 v84, vcc, v128, v135
	v_addc_co_u32_e32 v85, vcc, v129, v136, vcc
	flat_load_dwordx2 v[84:85], v[84:85]
.LBB181_145:                            ;   in Loop: Header=BB181_102 Depth=1
	s_or_b64 exec, exec, s[4:5]
	v_cmp_gt_i32_e64 s[4:5], s22, v156
	s_branch .LBB181_148
.LBB181_146:                            ;   in Loop: Header=BB181_102 Depth=1
	s_mov_b64 s[4:5], 0
                                        ; implicit-def: $vgpr84_vgpr85
                                        ; implicit-def: $vgpr82_vgpr83
                                        ; implicit-def: $vgpr80_vgpr81
	s_cbranch_execz .LBB181_148
; %bb.147:                              ;   in Loop: Header=BB181_102 Depth=1
	s_waitcnt vmcnt(0) lgkmcnt(0)
	v_add_co_u32_e32 v82, vcc, v126, v135
	v_addc_co_u32_e32 v83, vcc, v127, v136, vcc
	v_add_co_u32_e32 v84, vcc, v124, v135
	v_addc_co_u32_e32 v85, vcc, v125, v136, vcc
	flat_load_dwordx2 v[80:81], v[86:87]
	s_or_b64 s[4:5], s[4:5], exec
	flat_load_dwordx2 v[82:83], v[82:83]
	s_nop 0
	flat_load_dwordx2 v[84:85], v[84:85]
.LBB181_148:                            ;   in Loop: Header=BB181_102 Depth=1
	v_mov_b32_e32 v86, 0
	v_mov_b32_e32 v87, 0
	s_and_saveexec_b64 s[8:9], s[4:5]
	s_cbranch_execz .LBB181_150
; %bb.149:                              ;   in Loop: Header=BB181_102 Depth=1
	v_add_co_u32_e32 v86, vcc, v130, v135
	v_addc_co_u32_e32 v87, vcc, v131, v136, vcc
	flat_load_dwordx2 v[86:87], v[86:87]
.LBB181_150:                            ;   in Loop: Header=BB181_102 Depth=1
	s_or_b64 exec, exec, s[8:9]
	v_add_f32_e32 v38, 0, v38
	v_add_f32_e32 v39, 0, v39
	;; [unrolled: 1-line block ×6, first 2 shown]
	ds_read_b64 v[38:39], v140
	v_add_f32_e32 v46, 0, v46
	v_add_f32_e32 v47, 0, v47
	;; [unrolled: 1-line block ×7, first 2 shown]
	s_waitcnt vmcnt(0) lgkmcnt(0)
	v_mul_f32_e32 v40, v39, v81
	v_mul_f32_e32 v41, v39, v80
	;; [unrolled: 1-line block ×4, first 2 shown]
	v_add_f32_e32 v23, 0, v23
	v_add_f32_e32 v22, v22, v24
	v_fma_f32 v40, v38, v80, -v40
	v_fmac_f32_e32 v41, v38, v81
	v_fma_f32 v46, v38, v82, -v46
	v_fmac_f32_e32 v47, v38, v83
	v_add_f32_e32 v42, v42, v44
	v_add_f32_e32 v43, v43, v45
	;; [unrolled: 1-line block ×6, first 2 shown]
	ds_read_b128 v[34:37], v137 offset:384
	ds_read_b128 v[22:25], v137 offset:400
	ds_write2_b64 v141, v[40:41], v[46:47] offset1:67
	v_mul_f32_e32 v40, v39, v85
	v_mul_f32_e32 v41, v39, v84
	;; [unrolled: 1-line block ×4, first 2 shown]
	v_fma_f32 v40, v38, v84, -v40
	v_fmac_f32_e32 v41, v38, v85
	v_fma_f32 v46, v38, v86, -v46
	v_fmac_f32_e32 v47, v39, v86
	ds_write2_b64 v141, v[40:41], v[46:47] offset0:134 offset1:201
	s_waitcnt lgkmcnt(0)
	s_barrier
	ds_read2_b64 v[38:41], v132 offset1:1
	v_add_f32_e32 v19, v48, v19
	v_add_f32_e32 v46, v18, v20
	v_add_f32_e32 v47, v19, v21
	ds_read2_b64 v[18:21], v132 offset0:2 offset1:3
	s_waitcnt lgkmcnt(1)
	v_add_f32_e32 v38, 0, v38
	v_add_f32_e32 v39, 0, v39
	v_cmp_gt_i32_e32 vcc, s22, v0
	v_add_f32_e32 v38, v38, v40
	v_add_f32_e32 v39, v39, v41
	s_or_b64 s[4:5], s[14:15], vcc
	s_waitcnt lgkmcnt(0)
	v_add_f32_e32 v18, v38, v18
	v_add_f32_e32 v19, v39, v19
	s_and_b64 s[8:9], s[2:3], s[4:5]
	v_add_f32_e32 v18, v18, v20
	v_add_f32_e32 v19, v19, v21
	s_barrier
	ds_write2_b64 v138, v[46:47], v[44:45] offset1:16
	ds_write2_b64 v138, v[42:43], v[18:19] offset0:32 offset1:48
	s_waitcnt lgkmcnt(0)
	s_barrier
	s_and_saveexec_b64 s[4:5], s[8:9]
	s_cbranch_execz .LBB181_152
; %bb.151:                              ;   in Loop: Header=BB181_102 Depth=1
	ds_read_b64 v[42:43], v133
	ds_read2_b64 v[18:21], v133 offset0:1 offset1:2
	ds_read2_b64 v[38:41], v133 offset0:3 offset1:4
	v_ashrrev_i32_e32 v54, 31, v53
	s_waitcnt lgkmcnt(1)
	v_add_f32_e32 v18, v18, v42
	v_add_f32_e32 v19, v19, v43
	;; [unrolled: 1-line block ×4, first 2 shown]
	ds_read2_b64 v[18:21], v133 offset0:5 offset1:6
	s_waitcnt lgkmcnt(1)
	v_add_f32_e32 v38, v42, v38
	v_add_f32_e32 v39, v43, v39
	v_add_f32_e32 v38, v38, v40
	v_add_f32_e32 v42, v39, v41
	s_waitcnt lgkmcnt(0)
	v_add_f32_e32 v18, v38, v18
	ds_read2_b64 v[38:41], v133 offset0:7 offset1:8
	v_add_f32_e32 v19, v42, v19
	v_add_f32_e32 v42, v18, v20
	;; [unrolled: 1-line block ×3, first 2 shown]
	ds_read2_b64 v[18:21], v133 offset0:9 offset1:10
	s_waitcnt lgkmcnt(1)
	v_add_f32_e32 v38, v42, v38
	v_add_f32_e32 v39, v43, v39
	v_add_f32_e32 v38, v38, v40
	v_add_f32_e32 v42, v39, v41
	s_waitcnt lgkmcnt(0)
	v_add_f32_e32 v18, v38, v18
	ds_read2_b64 v[38:41], v133 offset0:11 offset1:12
	v_add_f32_e32 v19, v42, v19
	v_add_f32_e32 v42, v18, v20
	;; [unrolled: 1-line block ×3, first 2 shown]
	ds_read2_b64 v[18:21], v133 offset0:13 offset1:14
	s_waitcnt lgkmcnt(1)
	v_add_f32_e32 v38, v42, v38
	v_add_f32_e32 v39, v43, v39
	;; [unrolled: 1-line block ×4, first 2 shown]
	ds_read_b64 v[38:39], v134
	s_waitcnt lgkmcnt(1)
	v_add_f32_e32 v18, v40, v18
	v_add_f32_e32 v19, v41, v19
	;; [unrolled: 1-line block ×4, first 2 shown]
	v_lshlrev_b64 v[20:21], 3, v[53:54]
	s_waitcnt lgkmcnt(0)
	v_add_f32_e32 v18, v18, v38
	v_mov_b32_e32 v38, s24
	v_add_co_u32_e32 v20, vcc, s17, v20
	v_add_f32_e32 v19, v19, v39
	v_addc_co_u32_e32 v21, vcc, v38, v21, vcc
	global_store_dwordx2 v[20:21], v[18:19], off
.LBB181_152:                            ;   in Loop: Header=BB181_102 Depth=1
	s_or_b64 exec, exec, s[4:5]
	v_mul_f32_e32 v18, v7, v57
	v_fma_f32 v18, v6, v56, -v18
	v_mul_f32_e32 v19, v9, v59
	v_mul_f32_e32 v7, v7, v56
	v_add_f32_e32 v18, v51, v18
	v_fma_f32 v19, v8, v58, -v19
	v_mul_f32_e32 v9, v9, v58
	v_add_f32_e32 v18, v18, v19
	v_mul_f32_e32 v19, v3, v61
	v_fmac_f32_e32 v7, v6, v57
	v_fma_f32 v19, v2, v60, -v19
	v_mul_f32_e32 v3, v3, v60
	v_add_f32_e32 v6, v52, v7
	v_fmac_f32_e32 v9, v8, v59
	v_add_f32_e32 v18, v18, v19
	v_mul_f32_e32 v19, v5, v63
	v_mul_f32_e32 v5, v5, v62
	v_add_f32_e32 v6, v6, v9
	v_fmac_f32_e32 v3, v2, v61
	v_fma_f32 v19, v4, v62, -v19
	v_add_f32_e32 v2, v6, v3
	v_fmac_f32_e32 v5, v4, v63
	v_mul_f32_e32 v3, v15, v65
	v_add_f32_e32 v18, v18, v19
	v_add_f32_e32 v2, v2, v5
	v_fma_f32 v3, v14, v64, -v3
	v_mul_f32_e32 v5, v17, v67
	v_add_f32_e32 v3, v18, v3
	v_fma_f32 v5, v16, v66, -v5
	v_mul_f32_e32 v4, v15, v64
	v_add_f32_e32 v3, v3, v5
	v_mul_f32_e32 v5, v11, v69
	v_mul_f32_e32 v6, v17, v66
	v_fma_f32 v5, v10, v68, -v5
	v_fmac_f32_e32 v4, v14, v65
	v_mul_f32_e32 v7, v11, v68
	v_add_f32_e32 v3, v3, v5
	v_mul_f32_e32 v5, v13, v71
	v_add_f32_e32 v2, v2, v4
	v_fmac_f32_e32 v6, v16, v67
	v_fma_f32 v5, v12, v70, -v5
	v_mul_f32_e32 v8, v13, v70
	v_add_f32_e32 v2, v2, v6
	v_fmac_f32_e32 v7, v10, v69
	v_add_f32_e32 v3, v3, v5
	v_add_f32_e32 v2, v2, v7
	v_fmac_f32_e32 v8, v12, v71
	v_mul_f32_e32 v5, v31, v72
	v_add_f32_e32 v2, v2, v8
	v_mul_f32_e32 v6, v33, v74
	v_fmac_f32_e32 v5, v30, v73
	v_mul_f32_e32 v7, v27, v76
	v_add_f32_e32 v2, v2, v5
	v_fmac_f32_e32 v6, v32, v75
	v_mul_f32_e32 v8, v29, v78
	v_add_f32_e32 v2, v2, v6
	v_fmac_f32_e32 v7, v26, v77
	v_add_f32_e32 v2, v2, v7
	v_fmac_f32_e32 v8, v28, v79
	v_mul_f32_e32 v5, v35, v80
	v_add_f32_e32 v2, v2, v8
	v_mul_f32_e32 v6, v37, v82
	v_fmac_f32_e32 v5, v34, v81
	v_mul_f32_e32 v7, v23, v84
	v_fmac_f32_e32 v6, v36, v83
	v_add_f32_e32 v2, v2, v5
	v_mul_f32_e32 v8, v25, v86
	v_fmac_f32_e32 v7, v22, v85
	v_add_f32_e32 v2, v2, v6
	v_fmac_f32_e32 v8, v24, v87
	v_add_f32_e32 v2, v2, v7
	v_add_f32_e32 v52, v2, v8
	v_mov_b32_e32 v2, s13
	v_add_co_u32_e32 v94, vcc, s12, v94
	v_addc_co_u32_e32 v95, vcc, v95, v2, vcc
	v_add_co_u32_e32 v96, vcc, s12, v96
	v_addc_co_u32_e32 v97, vcc, v97, v2, vcc
	;; [unrolled: 2-line block ×11, first 2 shown]
	v_add_co_u32_e32 v116, vcc, s12, v116
	v_mul_f32_e32 v4, v31, v73
	v_addc_co_u32_e32 v117, vcc, v117, v2, vcc
	v_fma_f32 v4, v30, v72, -v4
	v_add_co_u32_e32 v118, vcc, s12, v118
	v_add_f32_e32 v3, v3, v4
	v_mul_f32_e32 v4, v33, v75
	v_addc_co_u32_e32 v119, vcc, v119, v2, vcc
	v_fma_f32 v4, v32, v74, -v4
	v_add_co_u32_e32 v120, vcc, s12, v120
	v_add_f32_e32 v3, v3, v4
	;; [unrolled: 5-line block ×7, first 2 shown]
	v_mul_f32_e32 v4, v25, v87
	v_addc_co_u32_e32 v129, vcc, v129, v2, vcc
	v_fma_f32 v4, v24, v86, -v4
	s_add_i32 s4, s6, 1
	s_add_i32 s10, s10, s26
	;; [unrolled: 1-line block ×3, first 2 shown]
	v_add_co_u32_e32 v130, vcc, s12, v130
	v_add_f32_e32 v51, v3, v4
	v_add_u32_e32 v53, 64, v53
	s_cmp_ge_u32 s5, s7
	v_addc_co_u32_e32 v131, vcc, v131, v2, vcc
	s_waitcnt vmcnt(0)
	s_barrier
	s_cbranch_scc0 .LBB181_97
.LBB181_153:
	s_movk_i32 s2, 0x218
	v_cmp_gt_i32_e32 vcc, s16, v0
	v_mad_u32_u24 v1, v1, s2, v88
	s_or_b64 s[2:3], s[18:19], vcc
	s_and_b64 s[0:1], s[0:1], s[2:3]
	ds_write_b64 v1, v[51:52]
	s_waitcnt lgkmcnt(0)
	s_barrier
	s_and_saveexec_b64 s[2:3], s[0:1]
	s_cbranch_execz .LBB181_155
; %bb.154:
	ds_read2_b64 v[0:3], v88 offset1:67
	ds_read2_b64 v[4:7], v88 offset0:134 offset1:201
	v_ashrrev_i32_e32 v51, 31, v50
	s_waitcnt lgkmcnt(1)
	v_add_f32_e32 v0, v2, v0
	v_add_f32_e32 v1, v3, v1
	v_lshlrev_b64 v[2:3], 3, v[50:51]
	s_waitcnt lgkmcnt(0)
	v_add_f32_e32 v0, v4, v0
	v_add_f32_e32 v1, v5, v1
	v_mov_b32_e32 v4, s24
	v_add_co_u32_e32 v2, vcc, s17, v2
	v_add_f32_e32 v0, v0, v6
	v_add_f32_e32 v1, v1, v7
	v_addc_co_u32_e32 v3, vcc, v4, v3, vcc
	global_store_dwordx2 v[2:3], v[0:1], off
.LBB181_155:
	s_endpgm
	.section	.rodata,"a",@progbits
	.p2align	6, 0x0
	.amdhsa_kernel _ZL26rocblas_hemvn_kernel_upperILb0ELi64ELi4ELi33ELi32ELi16EiPK19rocblas_complex_numIfEPKS3_PS1_EviT6_lT7_lT5_lS8_lS9_lS7_lT8_i
		.amdhsa_group_segment_fixed_size 9600
		.amdhsa_private_segment_fixed_size 0
		.amdhsa_kernarg_size 376
		.amdhsa_user_sgpr_count 6
		.amdhsa_user_sgpr_private_segment_buffer 1
		.amdhsa_user_sgpr_dispatch_ptr 0
		.amdhsa_user_sgpr_queue_ptr 0
		.amdhsa_user_sgpr_kernarg_segment_ptr 1
		.amdhsa_user_sgpr_dispatch_id 0
		.amdhsa_user_sgpr_flat_scratch_init 0
		.amdhsa_user_sgpr_private_segment_size 0
		.amdhsa_uses_dynamic_stack 0
		.amdhsa_system_sgpr_private_segment_wavefront_offset 0
		.amdhsa_system_sgpr_workgroup_id_x 1
		.amdhsa_system_sgpr_workgroup_id_y 0
		.amdhsa_system_sgpr_workgroup_id_z 1
		.amdhsa_system_sgpr_workgroup_info 0
		.amdhsa_system_vgpr_workitem_id 1
		.amdhsa_next_free_vgpr 157
		.amdhsa_next_free_sgpr 93
		.amdhsa_reserve_vcc 1
		.amdhsa_reserve_flat_scratch 0
		.amdhsa_float_round_mode_32 0
		.amdhsa_float_round_mode_16_64 0
		.amdhsa_float_denorm_mode_32 3
		.amdhsa_float_denorm_mode_16_64 3
		.amdhsa_dx10_clamp 1
		.amdhsa_ieee_mode 1
		.amdhsa_fp16_overflow 0
		.amdhsa_exception_fp_ieee_invalid_op 0
		.amdhsa_exception_fp_denorm_src 0
		.amdhsa_exception_fp_ieee_div_zero 0
		.amdhsa_exception_fp_ieee_overflow 0
		.amdhsa_exception_fp_ieee_underflow 0
		.amdhsa_exception_fp_ieee_inexact 0
		.amdhsa_exception_int_div_zero 0
	.end_amdhsa_kernel
	.section	.text._ZL26rocblas_hemvn_kernel_upperILb0ELi64ELi4ELi33ELi32ELi16EiPK19rocblas_complex_numIfEPKS3_PS1_EviT6_lT7_lT5_lS8_lS9_lS7_lT8_i,"axG",@progbits,_ZL26rocblas_hemvn_kernel_upperILb0ELi64ELi4ELi33ELi32ELi16EiPK19rocblas_complex_numIfEPKS3_PS1_EviT6_lT7_lT5_lS8_lS9_lS7_lT8_i,comdat
.Lfunc_end181:
	.size	_ZL26rocblas_hemvn_kernel_upperILb0ELi64ELi4ELi33ELi32ELi16EiPK19rocblas_complex_numIfEPKS3_PS1_EviT6_lT7_lT5_lS8_lS9_lS7_lT8_i, .Lfunc_end181-_ZL26rocblas_hemvn_kernel_upperILb0ELi64ELi4ELi33ELi32ELi16EiPK19rocblas_complex_numIfEPKS3_PS1_EviT6_lT7_lT5_lS8_lS9_lS7_lT8_i
                                        ; -- End function
	.set _ZL26rocblas_hemvn_kernel_upperILb0ELi64ELi4ELi33ELi32ELi16EiPK19rocblas_complex_numIfEPKS3_PS1_EviT6_lT7_lT5_lS8_lS9_lS7_lT8_i.num_vgpr, 157
	.set _ZL26rocblas_hemvn_kernel_upperILb0ELi64ELi4ELi33ELi32ELi16EiPK19rocblas_complex_numIfEPKS3_PS1_EviT6_lT7_lT5_lS8_lS9_lS7_lT8_i.num_agpr, 0
	.set _ZL26rocblas_hemvn_kernel_upperILb0ELi64ELi4ELi33ELi32ELi16EiPK19rocblas_complex_numIfEPKS3_PS1_EviT6_lT7_lT5_lS8_lS9_lS7_lT8_i.numbered_sgpr, 44
	.set _ZL26rocblas_hemvn_kernel_upperILb0ELi64ELi4ELi33ELi32ELi16EiPK19rocblas_complex_numIfEPKS3_PS1_EviT6_lT7_lT5_lS8_lS9_lS7_lT8_i.num_named_barrier, 0
	.set _ZL26rocblas_hemvn_kernel_upperILb0ELi64ELi4ELi33ELi32ELi16EiPK19rocblas_complex_numIfEPKS3_PS1_EviT6_lT7_lT5_lS8_lS9_lS7_lT8_i.private_seg_size, 0
	.set _ZL26rocblas_hemvn_kernel_upperILb0ELi64ELi4ELi33ELi32ELi16EiPK19rocblas_complex_numIfEPKS3_PS1_EviT6_lT7_lT5_lS8_lS9_lS7_lT8_i.uses_vcc, 1
	.set _ZL26rocblas_hemvn_kernel_upperILb0ELi64ELi4ELi33ELi32ELi16EiPK19rocblas_complex_numIfEPKS3_PS1_EviT6_lT7_lT5_lS8_lS9_lS7_lT8_i.uses_flat_scratch, 0
	.set _ZL26rocblas_hemvn_kernel_upperILb0ELi64ELi4ELi33ELi32ELi16EiPK19rocblas_complex_numIfEPKS3_PS1_EviT6_lT7_lT5_lS8_lS9_lS7_lT8_i.has_dyn_sized_stack, 0
	.set _ZL26rocblas_hemvn_kernel_upperILb0ELi64ELi4ELi33ELi32ELi16EiPK19rocblas_complex_numIfEPKS3_PS1_EviT6_lT7_lT5_lS8_lS9_lS7_lT8_i.has_recursion, 0
	.set _ZL26rocblas_hemvn_kernel_upperILb0ELi64ELi4ELi33ELi32ELi16EiPK19rocblas_complex_numIfEPKS3_PS1_EviT6_lT7_lT5_lS8_lS9_lS7_lT8_i.has_indirect_call, 0
	.section	.AMDGPU.csdata,"",@progbits
; Kernel info:
; codeLenInByte = 8320
; TotalNumSgprs: 48
; NumVgprs: 157
; ScratchSize: 0
; MemoryBound: 1
; FloatMode: 240
; IeeeMode: 1
; LDSByteSize: 9600 bytes/workgroup (compile time only)
; SGPRBlocks: 12
; VGPRBlocks: 39
; NumSGPRsForWavesPerEU: 97
; NumVGPRsForWavesPerEU: 157
; Occupancy: 1
; WaveLimiterHint : 1
; COMPUTE_PGM_RSRC2:SCRATCH_EN: 0
; COMPUTE_PGM_RSRC2:USER_SGPR: 6
; COMPUTE_PGM_RSRC2:TRAP_HANDLER: 0
; COMPUTE_PGM_RSRC2:TGID_X_EN: 1
; COMPUTE_PGM_RSRC2:TGID_Y_EN: 0
; COMPUTE_PGM_RSRC2:TGID_Z_EN: 1
; COMPUTE_PGM_RSRC2:TIDIG_COMP_CNT: 1
	.section	.text._ZL26rocblas_hemvn_kernel_upperILb0ELi64ELi4ELi33ELi32ELi16El19rocblas_complex_numIfEPKPKS1_PS1_EviT6_lT7_lT5_lS8_lS9_lS7_lT8_i,"axG",@progbits,_ZL26rocblas_hemvn_kernel_upperILb0ELi64ELi4ELi33ELi32ELi16El19rocblas_complex_numIfEPKPKS1_PS1_EviT6_lT7_lT5_lS8_lS9_lS7_lT8_i,comdat
	.globl	_ZL26rocblas_hemvn_kernel_upperILb0ELi64ELi4ELi33ELi32ELi16El19rocblas_complex_numIfEPKPKS1_PS1_EviT6_lT7_lT5_lS8_lS9_lS7_lT8_i ; -- Begin function _ZL26rocblas_hemvn_kernel_upperILb0ELi64ELi4ELi33ELi32ELi16El19rocblas_complex_numIfEPKPKS1_PS1_EviT6_lT7_lT5_lS8_lS9_lS7_lT8_i
	.p2align	8
	.type	_ZL26rocblas_hemvn_kernel_upperILb0ELi64ELi4ELi33ELi32ELi16El19rocblas_complex_numIfEPKPKS1_PS1_EviT6_lT7_lT5_lS8_lS9_lS7_lT8_i,@function
_ZL26rocblas_hemvn_kernel_upperILb0ELi64ELi4ELi33ELi32ELi16El19rocblas_complex_numIfEPKPKS1_PS1_EviT6_lT7_lT5_lS8_lS9_lS7_lT8_i: ; @_ZL26rocblas_hemvn_kernel_upperILb0ELi64ELi4ELi33ELi32ELi16El19rocblas_complex_numIfEPKPKS1_PS1_EviT6_lT7_lT5_lS8_lS9_lS7_lT8_i
; %bb.0:
	s_load_dwordx2 s[0:1], s[4:5], 0x84
	s_add_u32 s10, s4, 0x78
	s_addc_u32 s11, s5, 0
	s_waitcnt lgkmcnt(0)
	s_lshr_b32 s2, s0, 16
	s_and_b32 s0, s0, 0xffff
	s_and_b32 s1, s1, 0xffff
	s_mul_i32 s0, s2, s0
	s_mul_i32 s0, s0, s1
	s_cmpk_lg_i32 s0, 0x100
	s_cbranch_scc1 .LBB182_155
; %bb.1:
	s_load_dwordx2 s[0:1], s[4:5], 0x4
	s_mov_b32 s28, s7
	s_waitcnt lgkmcnt(0)
	s_or_b32 s0, s0, s1
	s_bitset0_b32 s0, 31
	s_cmp_lg_u32 s0, 0
	s_mov_b64 s[0:1], -1
	s_cbranch_scc1 .LBB182_3
; %bb.2:
	s_load_dwordx2 s[0:1], s[4:5], 0x58
	s_waitcnt lgkmcnt(0)
	v_cmp_eq_f32_e64 s[2:3], s0, 1.0
	v_cmp_eq_f32_e64 s[0:1], s1, 0
	s_and_b64 s[0:1], s[2:3], s[0:1]
	s_andn2_b64 vcc, exec, s[0:1]
	s_mov_b64 s[0:1], 0
.LBB182_3:
	s_andn2_b64 vcc, exec, s[0:1]
	s_cbranch_vccnz .LBB182_155
; %bb.4:
	s_load_dword s33, s[4:5], 0x0
	s_load_dwordx4 s[0:3], s[4:5], 0x18
	s_load_dwordx2 s[24:25], s[4:5], 0x28
	s_load_dwordx4 s[12:15], s[4:5], 0x38
	s_mov_b32 s29, 0
	s_lshl_b64 s[8:9], s[28:29], 3
	s_waitcnt lgkmcnt(0)
	s_add_u32 s0, s0, s8
	s_addc_u32 s1, s1, s9
	s_add_u32 s12, s12, s8
	s_addc_u32 s13, s13, s9
	s_load_dwordx2 s[16:17], s[12:13], 0x0
	s_load_dword s7, s[10:11], 0x0
	s_load_dwordx2 s[18:19], s[4:5], 0x48
	s_load_dwordx2 s[8:9], s[0:1], 0x0
	s_lshl_b64 s[0:1], s[14:15], 3
	s_waitcnt lgkmcnt(0)
	s_add_u32 s10, s16, s0
	s_addc_u32 s11, s17, s1
	s_lshl_b32 s26, s6, 6
	s_ashr_i32 s38, s33, 31
	s_lshr_b32 s0, s38, 26
	v_add_u32_e32 v50, s26, v0
	s_add_i32 s0, s33, s0
	v_ashrrev_i32_e32 v51, 31, v50
	s_and_b32 s13, s0, 0xffffffc0
	v_mul_lo_u32 v4, s18, v51
	v_mul_lo_u32 v5, s19, v50
	v_mad_u64_u32 v[2:3], s[0:1], s18, v50, 0
	s_add_i32 s12, s7, -1
	s_sub_i32 s29, s33, s13
	v_add3_u32 v3, v3, v4, v5
	v_lshlrev_b64 v[2:3], 3, v[2:3]
	s_cmp_eq_u32 s6, s12
	v_mov_b32_e32 v4, s11
	v_add_co_u32_e32 v16, vcc, s10, v2
	s_cselect_b32 s20, s29, 0
	v_addc_co_u32_e32 v17, vcc, v4, v3, vcc
	v_cmp_eq_u32_e64 s[0:1], 0, v1
	s_and_saveexec_b64 s[10:11], s[0:1]
	s_cbranch_execz .LBB182_9
; %bb.5:
	s_cmp_lg_u32 s20, 0
	s_cselect_b64 s[12:13], -1, 0
	v_cmp_le_i32_e32 vcc, s20, v0
	v_mov_b32_e32 v2, 0x2380
	s_and_b64 s[12:13], s[12:13], vcc
	v_lshl_add_u32 v2, v0, 3, v2
	s_and_saveexec_b64 s[14:15], s[12:13]
	s_xor_b64 s[12:13], exec, s[14:15]
; %bb.6:
	v_mov_b32_e32 v3, 0
	v_mov_b32_e32 v4, v3
	ds_write_b64 v2, v[3:4]
                                        ; implicit-def: $vgpr2
; %bb.7:
	s_andn2_saveexec_b64 s[12:13], s[12:13]
	s_cbranch_execz .LBB182_9
; %bb.8:
	flat_load_dwordx2 v[3:4], v[16:17]
	s_waitcnt vmcnt(0) lgkmcnt(0)
	ds_write_b64 v2, v[3:4]
.LBB182_9:
	s_or_b64 exec, exec, s[10:11]
	v_lshl_add_u32 v24, v1, 6, v0
	v_and_b32_e32 v2, 31, v0
	v_lshrrev_b32_e32 v9, 5, v24
	v_mov_b32_e32 v3, 0
	v_mad_u64_u32 v[3:4], s[10:11], s24, v9, v[2:3]
	s_lshl_b64 s[2:3], s[2:3], 3
	s_add_u32 s8, s8, s2
	s_addc_u32 s9, s9, s3
	v_mad_u64_u32 v[4:5], s[2:3], s25, v9, v[4:5]
	s_ashr_i32 s27, s26, 31
	s_lshl_b64 s[2:3], s[26:27], 3
	s_add_u32 s2, s8, s2
	v_lshlrev_b64 v[14:15], 3, v[3:4]
	s_addc_u32 s3, s9, s3
	v_mov_b32_e32 v3, s3
	v_add_co_u32_e32 v4, vcc, s2, v14
	s_mul_hi_u32 s2, s24, s26
	s_mul_i32 s3, s24, s27
	s_add_i32 s2, s2, s3
	s_mul_i32 s3, s25, s26
	s_add_i32 s3, s2, s3
	s_mul_i32 s2, s24, s26
	s_lshl_b64 s[2:3], s[2:3], 3
	v_addc_co_u32_e32 v3, vcc, v3, v15, vcc
	s_cmp_eq_u32 s20, 0
	v_mov_b32_e32 v6, s3
	v_add_co_u32_e32 v5, vcc, s2, v4
	s_cselect_b64 s[22:23], -1, 0
	s_cmp_lg_u32 s20, 0
	v_addc_co_u32_e32 v6, vcc, v3, v6, vcc
	s_cselect_b64 s[30:31], -1, 0
	s_and_b64 vcc, exec, s[30:31]
	v_cmp_gt_i32_e64 s[2:3], s20, v2
	v_lshlrev_b32_e32 v11, 3, v2
	v_lshlrev_b32_e32 v10, 3, v2
	s_cbranch_vccz .LBB182_27
; %bb.10:
	v_sub_co_u32_e32 v3, vcc, v5, v11
	s_ashr_i32 s21, s20, 31
	v_subbrev_co_u32_e32 v4, vcc, 0, v6, vcc
	s_lshl_b64 s[8:9], s[20:21], 3
	v_mov_b32_e32 v7, s9
	v_add_co_u32_e32 v3, vcc, s8, v3
	v_addc_co_u32_e32 v4, vcc, v4, v7, vcc
	v_add_co_u32_e32 v3, vcc, -8, v3
	v_addc_co_u32_e32 v4, vcc, -1, v4, vcc
	v_mul_u32_u24_e32 v7, 0x108, v9
	v_cndmask_b32_e64 v4, v4, v6, s[2:3]
	v_cndmask_b32_e64 v3, v3, v5, s[2:3]
	v_cmp_le_i32_e32 vcc, s20, v9
	v_add_u32_e32 v7, v10, v7
	s_and_saveexec_b64 s[10:11], vcc
	s_xor_b64 s[10:11], exec, s[10:11]
; %bb.11:
	v_mov_b32_e32 v12, 0
	v_mov_b32_e32 v13, v12
	ds_write_b64 v7, v[12:13]
; %bb.12:
	s_andn2_saveexec_b64 s[10:11], s[10:11]
	s_cbranch_execz .LBB182_14
; %bb.13:
	flat_load_dwordx2 v[12:13], v[3:4]
	s_waitcnt vmcnt(0) lgkmcnt(0)
	ds_write_b64 v7, v[12:13]
.LBB182_14:
	s_or_b64 exec, exec, s[10:11]
	v_add_u32_e32 v8, 8, v9
	v_cmp_le_i32_e32 vcc, s20, v8
	s_and_saveexec_b64 s[10:11], vcc
	s_xor_b64 s[10:11], exec, s[10:11]
; %bb.15:
	v_mov_b32_e32 v12, 0
	v_mov_b32_e32 v13, v12
	ds_write_b64 v7, v[12:13] offset:2112
; %bb.16:
	s_andn2_saveexec_b64 s[10:11], s[10:11]
	s_cbranch_execz .LBB182_18
; %bb.17:
	s_lshl_b64 s[12:13], s[24:25], 6
	v_mov_b32_e32 v8, s13
	v_add_co_u32_e32 v12, vcc, s12, v3
	v_addc_co_u32_e32 v13, vcc, v4, v8, vcc
	flat_load_dwordx2 v[12:13], v[12:13]
	s_waitcnt vmcnt(0) lgkmcnt(0)
	ds_write_b64 v7, v[12:13] offset:2112
.LBB182_18:
	s_or_b64 exec, exec, s[10:11]
	v_add_u32_e32 v8, 16, v9
	v_cmp_le_i32_e32 vcc, s20, v8
	s_and_saveexec_b64 s[10:11], vcc
	s_xor_b64 s[10:11], exec, s[10:11]
; %bb.19:
	v_mov_b32_e32 v12, 0
	v_mov_b32_e32 v13, v12
	ds_write_b64 v7, v[12:13] offset:4224
; %bb.20:
	s_andn2_saveexec_b64 s[10:11], s[10:11]
	s_cbranch_execz .LBB182_22
; %bb.21:
	s_lshl_b64 s[12:13], s[24:25], 7
	v_mov_b32_e32 v8, s13
	v_add_co_u32_e32 v12, vcc, s12, v3
	v_addc_co_u32_e32 v13, vcc, v4, v8, vcc
	flat_load_dwordx2 v[12:13], v[12:13]
	s_waitcnt vmcnt(0) lgkmcnt(0)
	ds_write_b64 v7, v[12:13] offset:4224
.LBB182_22:
	s_or_b64 exec, exec, s[10:11]
	v_add_u32_e32 v8, 24, v9
	v_cmp_le_i32_e32 vcc, s20, v8
	s_and_saveexec_b64 s[10:11], vcc
	s_xor_b64 s[10:11], exec, s[10:11]
; %bb.23:
	v_mov_b32_e32 v12, 0
	v_mov_b32_e32 v13, v12
	ds_write_b64 v7, v[12:13] offset:6336
                                        ; implicit-def: $vgpr7
; %bb.24:
	s_andn2_saveexec_b64 s[10:11], s[10:11]
	s_cbranch_execz .LBB182_26
; %bb.25:
	v_mov_b32_e32 v8, 0xc0
	v_mad_u64_u32 v[12:13], s[12:13], s24, v8, v[3:4]
	s_mul_i32 s12, s25, 0xc0
	v_add_u32_e32 v13, s12, v13
	flat_load_dwordx2 v[12:13], v[12:13]
	s_waitcnt vmcnt(0) lgkmcnt(0)
	ds_write_b64 v7, v[12:13] offset:6336
.LBB182_26:
	s_or_b64 exec, exec, s[10:11]
	v_add_co_u32_e32 v3, vcc, v3, v11
	v_addc_co_u32_e32 v4, vcc, 0, v4, vcc
	v_mov_b32_e32 v7, s9
	v_subrev_co_u32_e32 v3, vcc, s8, v3
	v_subb_co_u32_e32 v4, vcc, v4, v7, vcc
	v_add_co_u32_e32 v3, vcc, 8, v3
	v_addc_co_u32_e32 v4, vcc, 0, v4, vcc
	v_cndmask_b32_e64 v4, v4, v6, s[2:3]
	v_cndmask_b32_e64 v3, v3, v5, s[2:3]
	s_branch .LBB182_29
.LBB182_27:
                                        ; implicit-def: $vgpr3_vgpr4
	s_cbranch_execz .LBB182_29
; %bb.28:
	s_lshl_b64 s[2:3], s[24:25], 6
	v_mov_b32_e32 v13, s3
	v_add_co_u32_e32 v3, vcc, s2, v5
	v_addc_co_u32_e32 v4, vcc, v6, v13, vcc
	v_add_co_u32_e32 v7, vcc, s2, v3
	v_addc_co_u32_e32 v8, vcc, v4, v13, vcc
	;; [unrolled: 2-line block ×3, first 2 shown]
	flat_load_dwordx2 v[18:19], v[5:6]
	flat_load_dwordx2 v[20:21], v[3:4]
	;; [unrolled: 1-line block ×4, first 2 shown]
	v_mul_u32_u24_e32 v3, 0x108, v9
	v_lshl_add_u32 v3, v2, 3, v3
	s_waitcnt vmcnt(0) lgkmcnt(0)
	ds_write_b64 v3, v[18:19]
	ds_write_b64 v3, v[20:21] offset:2112
	ds_write_b64 v3, v[22:23] offset:4224
	;; [unrolled: 1-line block ×3, first 2 shown]
	v_mov_b32_e32 v3, v5
	v_mov_b32_e32 v4, v6
.LBB182_29:
	v_lshlrev_b32_e32 v18, 2, v9
	v_lshl_or_b32 v5, v2, 8, v10
	v_cmp_gt_u32_e64 s[16:17], v18, v2
	v_lshl_add_u32 v5, v18, 3, v5
	s_waitcnt lgkmcnt(0)
	s_barrier
	s_and_saveexec_b64 s[2:3], s[16:17]
	s_cbranch_execz .LBB182_31
; %bb.30:
	s_movk_i32 s8, 0x420
	v_mad_u32_u24 v6, v9, s8, v10
	ds_read_b64 v[6:7], v6
	s_waitcnt lgkmcnt(0)
	ds_write_b64 v5, v[6:7]
.LBB182_31:
	s_or_b64 exec, exec, s[2:3]
	v_or_b32_e32 v13, 1, v18
	v_cmp_ge_u32_e64 s[8:9], v18, v2
	s_and_saveexec_b64 s[2:3], s[8:9]
	s_cbranch_execz .LBB182_33
; %bb.32:
	s_movk_i32 s10, 0x108
	v_mad_u32_u24 v6, v13, s10, v10
	ds_read_b64 v[6:7], v6
	s_waitcnt lgkmcnt(0)
	ds_write_b64 v5, v[6:7] offset:8
.LBB182_33:
	s_or_b64 exec, exec, s[2:3]
	v_or_b32_e32 v6, 2, v18
	v_cmp_gt_u32_e64 s[10:11], v6, v2
	s_and_saveexec_b64 s[2:3], s[10:11]
	s_cbranch_execz .LBB182_35
; %bb.34:
	s_movk_i32 s12, 0x108
	v_mad_u32_u24 v6, v6, s12, v10
	ds_read_b64 v[6:7], v6
	s_waitcnt lgkmcnt(0)
	ds_write_b64 v5, v[6:7] offset:16
.LBB182_35:
	s_or_b64 exec, exec, s[2:3]
	v_or_b32_e32 v7, 3, v18
	v_cmp_gt_u32_e64 s[12:13], v7, v2
	v_cmp_le_u32_e32 vcc, v7, v2
                                        ; implicit-def: $vgpr6
	s_and_saveexec_b64 s[2:3], vcc
	s_xor_b64 s[2:3], exec, s[2:3]
; %bb.36:
	v_mul_u32_u24_e32 v6, 0x108, v7
                                        ; implicit-def: $vgpr7
                                        ; implicit-def: $vgpr5
; %bb.37:
	s_andn2_saveexec_b64 s[2:3], s[2:3]
	s_cbranch_execz .LBB182_39
; %bb.38:
	s_movk_i32 s14, 0x108
	v_mad_u32_u24 v6, v7, s14, v10
	ds_read_b64 v[19:20], v6
	v_mul_u32_u24_e32 v6, 0x108, v7
	s_waitcnt lgkmcnt(0)
	ds_write_b64 v5, v[19:20] offset:24
.LBB182_39:
	s_or_b64 exec, exec, s[2:3]
	s_movk_i32 s2, 0x420
	v_mad_u32_u24 v5, v9, s2, v10
	s_movk_i32 s2, 0x108
	v_mad_u32_u24 v12, v13, s2, v10
	s_waitcnt lgkmcnt(0)
	s_barrier
	v_lshlrev_b32_e32 v19, 3, v18
	ds_read_b64 v[7:8], v5
	ds_read_b128 v[20:23], v19 offset:9088
	ds_read_b128 v[25:28], v19 offset:9104
	ds_read2_b64 v[29:32], v12 offset1:33
	v_mov_b32_e32 v52, 0
	v_cmp_gt_u32_e64 s[2:3], 32, v24
	s_waitcnt lgkmcnt(2)
	v_mul_f32_e32 v5, v21, v8
	v_mul_f32_e32 v8, v20, v8
	v_fmac_f32_e32 v8, v21, v7
	s_waitcnt lgkmcnt(0)
	v_mul_f32_e32 v12, v22, v30
	v_fma_f32 v5, v20, v7, -v5
	v_add_f32_e32 v7, 0, v8
	v_mul_f32_e32 v8, v23, v30
	v_fmac_f32_e32 v12, v23, v29
	v_add_f32_e32 v5, 0, v5
	v_fma_f32 v8, v22, v29, -v8
	v_add_f32_e32 v7, v7, v12
	v_add_u32_e32 v12, v10, v6
	v_add_f32_e32 v8, v5, v8
	ds_read_b64 v[5:6], v12
	v_mul_f32_e32 v20, v26, v32
	v_fma_f32 v20, v25, v31, -v20
	v_mul_f32_e32 v21, v25, v32
	v_fmac_f32_e32 v21, v26, v31
	v_add_f32_e32 v8, v8, v20
	s_waitcnt lgkmcnt(0)
	v_mul_f32_e32 v20, v28, v6
	v_mul_f32_e32 v6, v27, v6
	v_add_f32_e32 v7, v7, v21
	v_fmac_f32_e32 v6, v28, v5
	v_add_f32_e32 v6, v7, v6
	v_mul_u32_u24_e32 v7, 33, v2
	v_fma_f32 v20, v27, v5, -v20
	v_lshlrev_b32_e32 v25, 3, v7
	v_add_f32_e32 v5, v8, v20
	v_lshl_add_u32 v26, v9, 3, v25
	v_mov_b32_e32 v53, 0
	s_barrier
	ds_write_b64 v26, v[5:6]
	s_waitcnt lgkmcnt(0)
	s_barrier
	s_and_saveexec_b64 s[14:15], s[2:3]
	s_cbranch_execz .LBB182_41
; %bb.40:
	ds_read2_b64 v[5:8], v25 offset1:7
	ds_read2_b64 v[20:23], v25 offset0:1 offset1:2
	ds_read2_b64 v[27:30], v25 offset0:3 offset1:4
	s_waitcnt lgkmcnt(1)
	v_add_f32_e32 v5, v20, v5
	v_add_f32_e32 v6, v21, v6
	;; [unrolled: 1-line block ×4, first 2 shown]
	ds_read2_b64 v[20:23], v25 offset0:5 offset1:6
	s_waitcnt lgkmcnt(1)
	v_add_f32_e32 v5, v5, v27
	v_add_f32_e32 v6, v6, v28
	;; [unrolled: 1-line block ×4, first 2 shown]
	s_waitcnt lgkmcnt(0)
	v_add_f32_e32 v5, v5, v20
	v_add_f32_e32 v6, v6, v21
	;; [unrolled: 1-line block ×6, first 2 shown]
.LBB182_41:
	s_or_b64 exec, exec, s[14:15]
	s_lshl_b64 s[14:15], s[24:25], 8
	v_mov_b32_e32 v6, s15
	v_add_co_u32_e32 v5, vcc, s14, v3
	v_addc_co_u32_e32 v6, vcc, v4, v6, vcc
	v_add_co_u32_e32 v3, vcc, 0x100, v5
	v_addc_co_u32_e32 v4, vcc, 0, v6, vcc
	s_and_b64 vcc, exec, s[30:31]
	s_barrier
	s_cbranch_vccz .LBB182_59
; %bb.42:
	v_sub_co_u32_e32 v8, vcc, v5, v11
	s_ashr_i32 s21, s20, 31
	v_subbrev_co_u32_e32 v20, vcc, 0, v6, vcc
	s_lshl_b64 s[34:35], s[20:21], 3
	v_mov_b32_e32 v21, s35
	v_add_co_u32_e32 v8, vcc, s34, v8
	v_addc_co_u32_e32 v20, vcc, v20, v21, vcc
	v_or_b32_e32 v7, 32, v2
	v_add_co_u32_e32 v21, vcc, -8, v8
	v_addc_co_u32_e32 v8, vcc, -1, v20, vcc
	v_cmp_gt_i32_e64 s[14:15], s20, v7
	s_sub_i32 s21, s20, 32
	v_mul_u32_u24_e32 v20, 0x108, v9
	v_cndmask_b32_e64 v8, v8, v4, s[14:15]
	v_cndmask_b32_e64 v7, v21, v3, s[14:15]
	v_cmp_le_i32_e32 vcc, s21, v9
	v_add_u32_e32 v20, v10, v20
	s_and_saveexec_b64 s[36:37], vcc
	s_xor_b64 s[36:37], exec, s[36:37]
; %bb.43:
	v_mov_b32_e32 v21, 0
	v_mov_b32_e32 v22, v21
	ds_write_b64 v20, v[21:22]
; %bb.44:
	s_andn2_saveexec_b64 s[36:37], s[36:37]
	s_cbranch_execz .LBB182_46
; %bb.45:
	flat_load_dwordx2 v[21:22], v[7:8]
	s_waitcnt vmcnt(0) lgkmcnt(0)
	ds_write_b64 v20, v[21:22]
.LBB182_46:
	s_or_b64 exec, exec, s[36:37]
	v_add_u32_e32 v21, 8, v9
	v_cmp_le_i32_e32 vcc, s21, v21
	s_and_saveexec_b64 s[36:37], vcc
	s_xor_b64 s[36:37], exec, s[36:37]
; %bb.47:
	v_mov_b32_e32 v21, 0
	v_mov_b32_e32 v22, v21
	ds_write_b64 v20, v[21:22] offset:2112
; %bb.48:
	s_andn2_saveexec_b64 s[36:37], s[36:37]
	s_cbranch_execz .LBB182_50
; %bb.49:
	s_lshl_b64 s[40:41], s[24:25], 6
	v_mov_b32_e32 v22, s41
	v_add_co_u32_e32 v21, vcc, s40, v7
	v_addc_co_u32_e32 v22, vcc, v8, v22, vcc
	flat_load_dwordx2 v[21:22], v[21:22]
	s_waitcnt vmcnt(0) lgkmcnt(0)
	ds_write_b64 v20, v[21:22] offset:2112
.LBB182_50:
	s_or_b64 exec, exec, s[36:37]
	v_add_u32_e32 v21, 16, v9
	v_cmp_le_i32_e32 vcc, s21, v21
	s_and_saveexec_b64 s[36:37], vcc
	s_xor_b64 s[36:37], exec, s[36:37]
; %bb.51:
	v_mov_b32_e32 v21, 0
	v_mov_b32_e32 v22, v21
	ds_write_b64 v20, v[21:22] offset:4224
; %bb.52:
	s_andn2_saveexec_b64 s[36:37], s[36:37]
	s_cbranch_execz .LBB182_54
; %bb.53:
	s_lshl_b64 s[40:41], s[24:25], 7
	v_mov_b32_e32 v22, s41
	v_add_co_u32_e32 v21, vcc, s40, v7
	v_addc_co_u32_e32 v22, vcc, v8, v22, vcc
	flat_load_dwordx2 v[21:22], v[21:22]
	s_waitcnt vmcnt(0) lgkmcnt(0)
	ds_write_b64 v20, v[21:22] offset:4224
.LBB182_54:
	s_or_b64 exec, exec, s[36:37]
	v_add_u32_e32 v21, 24, v9
	v_cmp_le_i32_e32 vcc, s21, v21
	s_and_saveexec_b64 s[36:37], vcc
	s_xor_b64 s[36:37], exec, s[36:37]
; %bb.55:
	v_mov_b32_e32 v21, 0
	v_mov_b32_e32 v22, v21
	ds_write_b64 v20, v[21:22] offset:6336
                                        ; implicit-def: $vgpr20
; %bb.56:
	s_andn2_saveexec_b64 s[36:37], s[36:37]
	s_cbranch_execz .LBB182_58
; %bb.57:
	v_mov_b32_e32 v21, 0xc0
	v_mad_u64_u32 v[21:22], s[40:41], s24, v21, v[7:8]
	s_mul_i32 s21, s25, 0xc0
	v_add_u32_e32 v22, s21, v22
	flat_load_dwordx2 v[21:22], v[21:22]
	s_waitcnt vmcnt(0) lgkmcnt(0)
	ds_write_b64 v20, v[21:22] offset:6336
.LBB182_58:
	s_or_b64 exec, exec, s[36:37]
	v_add_co_u32_e32 v7, vcc, v7, v11
	v_addc_co_u32_e32 v8, vcc, 0, v8, vcc
	v_mov_b32_e32 v20, s35
	v_subrev_co_u32_e32 v7, vcc, s34, v7
	v_subb_co_u32_e32 v8, vcc, v8, v20, vcc
	v_add_co_u32_e32 v7, vcc, 0x108, v7
	v_addc_co_u32_e32 v8, vcc, 0, v8, vcc
	v_cndmask_b32_e64 v8, v8, v4, s[14:15]
	v_cndmask_b32_e64 v7, v7, v3, s[14:15]
	v_mul_u32_u24_e32 v20, 0x420, v9
	s_branch .LBB182_61
.LBB182_59:
                                        ; implicit-def: $vgpr7_vgpr8
	v_mul_u32_u24_e32 v20, 0x420, v9
	s_cbranch_execz .LBB182_61
; %bb.60:
	s_lshl_b64 s[14:15], s[24:25], 6
	v_mov_b32_e32 v23, s15
	v_add_co_u32_e32 v7, vcc, s14, v5
	v_addc_co_u32_e32 v8, vcc, v6, v23, vcc
	v_add_co_u32_e32 v21, vcc, s14, v7
	v_addc_co_u32_e32 v22, vcc, v8, v23, vcc
	;; [unrolled: 2-line block ×3, first 2 shown]
	flat_load_dwordx2 v[29:30], v[5:6] offset:256
	flat_load_dwordx2 v[31:32], v[7:8] offset:256
	;; [unrolled: 1-line block ×4, first 2 shown]
	s_movk_i32 s14, 0x108
	v_mov_b32_e32 v8, v4
	v_mad_u32_u24 v5, v9, s14, v10
	v_mov_b32_e32 v7, v3
	s_waitcnt vmcnt(0) lgkmcnt(0)
	ds_write_b64 v5, v[29:30]
	ds_write_b64 v5, v[31:32] offset:2112
	ds_write_b64 v5, v[33:34] offset:4224
	;; [unrolled: 1-line block ×3, first 2 shown]
.LBB182_61:
	v_mul_u32_u24_e32 v4, 0x108, v13
	v_add_u32_e32 v13, v10, v20
	v_lshl_add_u32 v3, v18, 3, v25
	s_waitcnt lgkmcnt(0)
	s_barrier
	s_and_saveexec_b64 s[14:15], s[16:17]
	s_cbranch_execz .LBB182_65
; %bb.62:
	ds_read_b64 v[5:6], v13
	s_waitcnt lgkmcnt(0)
	ds_write_b64 v3, v[5:6]
	s_or_b64 exec, exec, s[14:15]
	v_add_u32_e32 v27, v10, v4
	s_and_saveexec_b64 s[14:15], s[8:9]
	s_cbranch_execnz .LBB182_66
.LBB182_63:
	s_or_b64 exec, exec, s[14:15]
	s_and_saveexec_b64 s[8:9], s[10:11]
	s_cbranch_execz .LBB182_67
.LBB182_64:
	ds_read_b64 v[4:5], v27 offset:264
	s_waitcnt lgkmcnt(0)
	ds_write_b64 v3, v[4:5] offset:16
	s_or_b64 exec, exec, s[8:9]
	v_add_u32_e32 v28, 0x2380, v19
	s_and_saveexec_b64 s[8:9], s[12:13]
	s_cbranch_execnz .LBB182_68
	s_branch .LBB182_69
.LBB182_65:
	s_or_b64 exec, exec, s[14:15]
	v_add_u32_e32 v27, v10, v4
	s_and_saveexec_b64 s[14:15], s[8:9]
	s_cbranch_execz .LBB182_63
.LBB182_66:
	ds_read_b64 v[4:5], v27
	s_waitcnt lgkmcnt(0)
	ds_write_b64 v3, v[4:5] offset:8
	s_or_b64 exec, exec, s[14:15]
	s_and_saveexec_b64 s[8:9], s[10:11]
	s_cbranch_execnz .LBB182_64
.LBB182_67:
	s_or_b64 exec, exec, s[8:9]
	v_add_u32_e32 v28, 0x2380, v19
	s_and_saveexec_b64 s[8:9], s[12:13]
	s_cbranch_execz .LBB182_69
.LBB182_68:
	ds_read_b64 v[4:5], v12
	s_waitcnt lgkmcnt(0)
	ds_write_b64 v3, v[4:5] offset:24
.LBB182_69:
	s_or_b64 exec, exec, s[8:9]
	s_waitcnt lgkmcnt(0)
	s_barrier
	ds_read_b64 v[22:23], v13
	ds_read_b128 v[3:6], v28 offset:256
	ds_read_b128 v[18:21], v28 offset:272
	ds_read_b64 v[33:34], v12
	v_cmp_eq_u32_e64 s[8:9], 1, v9
	s_waitcnt lgkmcnt(2)
	v_mul_f32_e32 v29, v4, v23
	v_fma_f32 v35, v3, v22, -v29
	ds_read2_b64 v[29:32], v27 offset1:33
	v_mul_f32_e32 v3, v3, v23
	v_fmac_f32_e32 v3, v4, v22
	v_add_f32_e32 v3, 0, v3
	v_add_f32_e32 v4, 0, v35
	s_waitcnt lgkmcnt(0)
	v_mul_f32_e32 v22, v6, v30
	v_fma_f32 v22, v5, v29, -v22
	v_mul_f32_e32 v5, v5, v30
	v_fmac_f32_e32 v5, v6, v29
	v_add_f32_e32 v3, v3, v5
	v_mul_f32_e32 v5, v19, v32
	v_mul_f32_e32 v6, v18, v32
	v_add_f32_e32 v4, v4, v22
	v_fma_f32 v5, v18, v31, -v5
	v_fmac_f32_e32 v6, v19, v31
	v_add_f32_e32 v4, v4, v5
	v_add_f32_e32 v5, v3, v6
	v_mul_f32_e32 v3, v21, v34
	v_mul_f32_e32 v6, v20, v34
	v_fma_f32 v3, v20, v33, -v3
	v_fmac_f32_e32 v6, v21, v33
	v_add_f32_e32 v3, v4, v3
	v_add_f32_e32 v4, v5, v6
	s_barrier
	ds_write_b64 v26, v[3:4]
	s_waitcnt lgkmcnt(0)
	s_barrier
	s_and_saveexec_b64 s[10:11], s[8:9]
	s_cbranch_execz .LBB182_71
; %bb.70:
	ds_read2_b64 v[3:6], v25 offset1:7
	ds_read2_b64 v[18:21], v25 offset0:1 offset1:2
	ds_read2_b64 v[29:32], v25 offset0:3 offset1:4
	s_waitcnt lgkmcnt(1)
	v_add_f32_e32 v3, v18, v3
	v_add_f32_e32 v4, v19, v4
	;; [unrolled: 1-line block ×4, first 2 shown]
	ds_read2_b64 v[18:21], v25 offset0:5 offset1:6
	s_waitcnt lgkmcnt(1)
	v_add_f32_e32 v3, v3, v29
	v_add_f32_e32 v4, v4, v30
	v_add_f32_e32 v3, v3, v31
	v_add_f32_e32 v4, v4, v32
	s_waitcnt lgkmcnt(0)
	v_add_f32_e32 v3, v3, v18
	v_add_f32_e32 v4, v4, v19
	;; [unrolled: 1-line block ×6, first 2 shown]
.LBB182_71:
	s_or_b64 exec, exec, s[10:11]
	v_add_co_u32_e32 v3, vcc, 0xffffff00, v7
	v_addc_co_u32_e32 v4, vcc, -1, v8, vcc
	s_and_b64 vcc, exec, s[30:31]
	s_barrier
	s_cbranch_vccz .LBB182_89
; %bb.72:
	v_sub_co_u32_e32 v5, vcc, v3, v11
	s_ashr_i32 s21, s20, 31
	v_subbrev_co_u32_e32 v6, vcc, 0, v4, vcc
	s_lshl_b64 s[12:13], s[20:21], 3
	v_mov_b32_e32 v7, s13
	v_add_co_u32_e32 v5, vcc, s12, v5
	v_addc_co_u32_e32 v6, vcc, v6, v7, vcc
	v_add_co_u32_e32 v5, vcc, -8, v5
	v_addc_co_u32_e32 v6, vcc, -1, v6, vcc
	v_cmp_gt_i32_e32 vcc, s20, v2
	s_sub_i32 s16, s20, 32
	v_mul_u32_u24_e32 v2, 0x108, v9
	v_cndmask_b32_e32 v6, v6, v4, vcc
	v_cndmask_b32_e32 v5, v5, v3, vcc
	v_cmp_le_i32_e64 s[10:11], s16, v9
	v_add_u32_e32 v18, v10, v2
	s_and_saveexec_b64 s[14:15], s[10:11]
	s_xor_b64 s[10:11], exec, s[14:15]
; %bb.73:
	v_mov_b32_e32 v7, 0
	v_mov_b32_e32 v8, v7
	ds_write_b64 v18, v[7:8]
; %bb.74:
	s_andn2_saveexec_b64 s[10:11], s[10:11]
	s_cbranch_execz .LBB182_76
; %bb.75:
	flat_load_dwordx2 v[7:8], v[5:6]
	s_waitcnt vmcnt(0) lgkmcnt(0)
	ds_write_b64 v18, v[7:8]
.LBB182_76:
	s_or_b64 exec, exec, s[10:11]
	v_add_u32_e32 v7, 8, v9
	v_cmp_le_i32_e64 s[10:11], s16, v7
	s_and_saveexec_b64 s[14:15], s[10:11]
	s_xor_b64 s[10:11], exec, s[14:15]
; %bb.77:
	v_mov_b32_e32 v19, 0
	v_mov_b32_e32 v20, v19
	ds_write_b64 v18, v[19:20] offset:2112
; %bb.78:
	s_andn2_saveexec_b64 s[14:15], s[10:11]
	s_cbranch_execz .LBB182_80
; %bb.79:
	s_lshl_b64 s[10:11], s[24:25], 6
	v_mov_b32_e32 v2, s11
	v_add_co_u32_e64 v19, s[10:11], s10, v5
	v_addc_co_u32_e64 v20, s[10:11], v6, v2, s[10:11]
	flat_load_dwordx2 v[19:20], v[19:20]
	s_waitcnt vmcnt(0) lgkmcnt(0)
	ds_write_b64 v18, v[19:20] offset:2112
.LBB182_80:
	s_or_b64 exec, exec, s[14:15]
	v_add_u32_e32 v2, 16, v9
	v_cmp_le_i32_e64 s[10:11], s16, v2
	s_and_saveexec_b64 s[14:15], s[10:11]
	s_xor_b64 s[10:11], exec, s[14:15]
; %bb.81:
	v_mov_b32_e32 v19, 0
	v_mov_b32_e32 v20, v19
	ds_write_b64 v18, v[19:20] offset:4224
; %bb.82:
	s_andn2_saveexec_b64 s[14:15], s[10:11]
	s_cbranch_execz .LBB182_84
; %bb.83:
	s_lshl_b64 s[10:11], s[24:25], 7
	v_mov_b32_e32 v8, s11
	v_add_co_u32_e64 v19, s[10:11], s10, v5
	v_addc_co_u32_e64 v20, s[10:11], v6, v8, s[10:11]
	flat_load_dwordx2 v[19:20], v[19:20]
	s_waitcnt vmcnt(0) lgkmcnt(0)
	ds_write_b64 v18, v[19:20] offset:4224
.LBB182_84:
	s_or_b64 exec, exec, s[14:15]
	v_add_u32_e32 v8, 24, v9
	v_cmp_le_i32_e64 s[10:11], s16, v8
	s_and_saveexec_b64 s[14:15], s[10:11]
	s_xor_b64 s[10:11], exec, s[14:15]
; %bb.85:
	v_mov_b32_e32 v19, 0
	v_mov_b32_e32 v20, v19
	ds_write_b64 v18, v[19:20] offset:6336
                                        ; implicit-def: $vgpr18
; %bb.86:
	s_andn2_saveexec_b64 s[10:11], s[10:11]
	s_cbranch_execz .LBB182_88
; %bb.87:
	v_mov_b32_e32 v19, 0xc0
	v_mad_u64_u32 v[19:20], s[14:15], s24, v19, v[5:6]
	s_mul_i32 s14, s25, 0xc0
	v_add_u32_e32 v20, s14, v20
	flat_load_dwordx2 v[19:20], v[19:20]
	s_waitcnt vmcnt(0) lgkmcnt(0)
	ds_write_b64 v18, v[19:20] offset:6336
.LBB182_88:
	s_or_b64 exec, exec, s[10:11]
	v_add_co_u32_e64 v5, s[10:11], v5, v11
	v_addc_co_u32_e64 v6, s[10:11], 0, v6, s[10:11]
	v_mov_b32_e32 v11, s13
	v_subrev_co_u32_e64 v5, s[10:11], s12, v5
	v_subb_co_u32_e64 v6, s[10:11], v6, v11, s[10:11]
	v_add_co_u32_e64 v5, s[10:11], 8, v5
	v_addc_co_u32_e64 v6, s[10:11], 0, v6, s[10:11]
	v_cndmask_b32_e32 v19, v6, v4, vcc
	v_cndmask_b32_e32 v18, v5, v3, vcc
	s_branch .LBB182_91
.LBB182_89:
                                        ; implicit-def: $vgpr18_vgpr19
                                        ; implicit-def: $vgpr7
                                        ; implicit-def: $vgpr2
                                        ; implicit-def: $vgpr8
	s_cbranch_execz .LBB182_91
; %bb.90:
	s_lshl_b64 s[10:11], s[24:25], 6
	v_mov_b32_e32 v2, s11
	v_add_co_u32_e32 v5, vcc, s10, v3
	v_addc_co_u32_e32 v6, vcc, v4, v2, vcc
	v_add_co_u32_e32 v7, vcc, s10, v5
	v_addc_co_u32_e32 v8, vcc, v6, v2, vcc
	;; [unrolled: 2-line block ×3, first 2 shown]
	flat_load_dwordx2 v[20:21], v[3:4]
	flat_load_dwordx2 v[22:23], v[5:6]
	;; [unrolled: 1-line block ×4, first 2 shown]
	s_movk_i32 s10, 0x108
	v_mov_b32_e32 v19, v4
	v_add_u32_e32 v7, 8, v9
	v_add_u32_e32 v2, 16, v9
	;; [unrolled: 1-line block ×3, first 2 shown]
	v_mad_u32_u24 v5, v9, s10, v10
	v_mov_b32_e32 v18, v3
	s_waitcnt vmcnt(0) lgkmcnt(0)
	ds_write_b64 v5, v[20:21]
	ds_write_b64 v5, v[22:23] offset:2112
	ds_write_b64 v5, v[29:30] offset:4224
	;; [unrolled: 1-line block ×3, first 2 shown]
.LBB182_91:
	v_lshlrev_b32_e32 v3, 3, v9
	v_add_u32_e32 v4, v25, v3
	v_lshlrev_b32_e32 v5, 3, v7
	s_waitcnt lgkmcnt(0)
	s_barrier
	ds_read_b64 v[29:30], v4
	ds_read_b64 v[31:32], v5 offset:9088
	ds_read_b64 v[33:34], v3 offset:9088
	ds_read_b64 v[20:21], v12
	v_add_u32_e32 v4, v25, v5
	ds_read_b64 v[35:36], v4
	v_lshlrev_b32_e32 v2, 3, v2
	s_waitcnt lgkmcnt(2)
	v_mul_f32_e32 v3, v34, v30
	v_add_u32_e32 v4, v25, v2
	v_fma_f32 v3, v33, v29, -v3
	v_lshlrev_b32_e32 v5, 3, v8
	ds_read_b64 v[37:38], v4
	ds_read_b64 v[39:40], v5 offset:9088
	ds_read_b64 v[41:42], v2 offset:9088
	s_waitcnt lgkmcnt(3)
	v_mul_f32_e32 v2, v32, v36
	v_add_f32_e32 v3, 0, v3
	v_fma_f32 v2, v31, v35, -v2
	v_add_f32_e32 v2, v3, v2
	v_add_u32_e32 v3, v25, v5
	ds_read_b64 v[43:44], v3
	ds_read_b64 v[22:23], v13
	s_waitcnt lgkmcnt(2)
	v_mul_f32_e32 v3, v42, v38
	v_fma_f32 v3, v41, v37, -v3
	v_add_f32_e32 v2, v2, v3
	s_waitcnt lgkmcnt(1)
	v_mul_f32_e32 v3, v40, v44
	v_fma_f32 v3, v39, v43, -v3
	v_add_f32_e32 v45, v2, v3
	ds_read_b128 v[10:13], v28 offset:256
	ds_read_b128 v[2:5], v28 offset:272
	ds_read2_b64 v[6:9], v27 offset1:33
	v_mul_f32_e32 v27, v33, v30
	v_fmac_f32_e32 v27, v34, v29
	v_mul_f32_e32 v28, v31, v36
	v_add_f32_e32 v27, 0, v27
	v_fmac_f32_e32 v28, v32, v35
	v_add_f32_e32 v27, v27, v28
	v_mul_f32_e32 v28, v41, v38
	v_fmac_f32_e32 v28, v42, v37
	v_add_f32_e32 v27, v27, v28
	v_mul_f32_e32 v28, v39, v44
	v_fmac_f32_e32 v28, v40, v43
	v_add_f32_e32 v46, v27, v28
	s_waitcnt lgkmcnt(0)
	s_barrier
	ds_write_b64 v26, v[45:46]
	s_waitcnt lgkmcnt(0)
	s_barrier
	s_and_saveexec_b64 s[10:11], s[8:9]
	s_cbranch_execz .LBB182_93
; %bb.92:
	ds_read2_b64 v[27:30], v25 offset1:1
	ds_read2_b64 v[31:34], v25 offset0:2 offset1:3
	ds_read2_b64 v[35:38], v25 offset0:4 offset1:5
	s_waitcnt lgkmcnt(2)
	v_add_f32_e32 v27, v52, v27
	v_add_f32_e32 v28, v53, v28
	;; [unrolled: 1-line block ×4, first 2 shown]
	s_waitcnt lgkmcnt(1)
	v_add_f32_e32 v27, v27, v31
	v_add_f32_e32 v28, v28, v32
	;; [unrolled: 1-line block ×4, first 2 shown]
	ds_read2_b64 v[27:30], v25 offset0:6 offset1:7
	s_waitcnt lgkmcnt(1)
	v_add_f32_e32 v31, v31, v35
	v_add_f32_e32 v32, v32, v36
	;; [unrolled: 1-line block ×4, first 2 shown]
	s_waitcnt lgkmcnt(0)
	v_add_f32_e32 v27, v31, v27
	v_add_f32_e32 v28, v32, v28
	;; [unrolled: 1-line block ×4, first 2 shown]
.LBB182_93:
	s_or_b64 exec, exec, s[10:11]
	v_mul_f32_e32 v27, v11, v23
	v_fma_f32 v27, v10, v22, -v27
	v_mul_f32_e32 v10, v10, v23
	v_fmac_f32_e32 v10, v11, v22
	v_mul_f32_e32 v22, v13, v7
	v_mul_f32_e32 v7, v12, v7
	v_add_f32_e32 v10, 0, v10
	v_fmac_f32_e32 v7, v13, v6
	v_add_f32_e32 v7, v10, v7
	v_mul_f32_e32 v10, v3, v9
	v_add_f32_e32 v11, 0, v27
	v_fma_f32 v22, v12, v6, -v22
	v_fma_f32 v10, v2, v8, -v10
	v_mul_f32_e32 v2, v2, v9
	v_add_f32_e32 v6, v11, v22
	v_fmac_f32_e32 v2, v3, v8
	v_add_f32_e32 v3, v6, v10
	v_add_f32_e32 v6, v7, v2
	v_mul_f32_e32 v2, v5, v21
	v_fma_f32 v2, v4, v20, -v2
	v_mul_f32_e32 v4, v4, v21
	v_fmac_f32_e32 v4, v5, v20
	v_add_f32_e32 v2, v3, v2
	v_add_f32_e32 v3, v6, v4
	s_barrier
	ds_write_b64 v26, v[2:3]
	s_waitcnt lgkmcnt(0)
	s_barrier
	s_and_saveexec_b64 s[8:9], s[2:3]
	s_cbranch_execz .LBB182_95
; %bb.94:
	ds_read2_b64 v[2:5], v25 offset1:1
	ds_read2_b64 v[6:9], v25 offset0:2 offset1:3
	ds_read2_b64 v[10:13], v25 offset0:4 offset1:5
	s_waitcnt lgkmcnt(2)
	v_add_f32_e32 v2, v52, v2
	v_add_f32_e32 v3, v53, v3
	;; [unrolled: 1-line block ×4, first 2 shown]
	s_waitcnt lgkmcnt(1)
	v_add_f32_e32 v2, v2, v6
	v_add_f32_e32 v3, v3, v7
	;; [unrolled: 1-line block ×4, first 2 shown]
	ds_read2_b64 v[2:5], v25 offset0:6 offset1:7
	s_waitcnt lgkmcnt(1)
	v_add_f32_e32 v6, v6, v10
	v_add_f32_e32 v7, v7, v11
	;; [unrolled: 1-line block ×4, first 2 shown]
	s_waitcnt lgkmcnt(0)
	v_add_f32_e32 v2, v6, v2
	v_add_f32_e32 v3, v7, v3
	;; [unrolled: 1-line block ×4, first 2 shown]
.LBB182_95:
	s_or_b64 exec, exec, s[8:9]
	s_load_dwordx2 s[2:3], s[4:5], 0x68
	s_mul_hi_u32 s4, s33, s28
	s_mul_i32 s38, s38, s28
	s_add_i32 s4, s4, s38
	s_mul_i32 s8, s33, s28
	s_mul_i32 s4, s4, s7
	s_mul_hi_u32 s5, s8, s7
	s_add_i32 s5, s5, s4
	s_mul_i32 s4, s8, s7
	s_lshl_b64 s[4:5], s[4:5], 3
	s_waitcnt lgkmcnt(0)
	s_add_u32 s4, s2, s4
	s_addc_u32 s5, s3, s5
	s_mul_hi_i32 s3, s33, s6
	s_mul_i32 s2, s33, s6
	s_lshl_b64 s[2:3], s[2:3], 3
	s_add_u32 s16, s4, s2
	s_addc_u32 s17, s5, s3
	s_add_i32 s2, s6, 1
	s_cmp_ge_u32 s2, s7
	v_lshlrev_b32_e32 v87, 3, v0
	s_barrier
	s_cbranch_scc1 .LBB182_153
; %bb.96:
	s_mul_i32 s2, s18, s27
	s_mul_hi_u32 s3, s18, s26
	s_add_i32 s2, s3, s2
	s_mul_i32 s3, s19, s26
	s_add_i32 s3, s2, s3
	s_mul_i32 s2, s18, s26
	s_lshl_b64 s[2:3], s[2:3], 3
	v_mov_b32_e32 v2, s3
	v_subrev_co_u32_e32 v89, vcc, s2, v16
	v_subb_co_u32_e32 v90, vcc, v17, v2, vcc
	v_lshrrev_b32_e32 v2, 4, v24
	v_lshlrev_b32_e32 v4, 5, v2
	v_mul_i32_i24_e32 v8, 0xffffffe8, v2
	v_and_b32_e32 v2, 48, v0
	v_and_b32_e32 v3, 15, v0
	v_lshlrev_b32_e32 v7, 5, v1
	s_movk_i32 s4, 0x218
	v_lshlrev_b32_e32 v2, 3, v2
	v_mad_u32_u24 v95, v3, s4, v4
	v_mad_u32_u24 v96, v3, s4, v2
	v_or_b32_e32 v2, 0x78, v87
	v_add_u32_e32 v4, 0x110, v7
	v_mad_u32_u24 v97, v3, s4, v2
	v_mad_u64_u32 v[2:3], s[4:5], s24, v4, 0
	v_add_u32_e32 v6, 0x108, v7
	v_add_u32_e32 v17, 0x190, v7
	v_mad_u64_u32 v[3:4], s[4:5], s25, v4, v[3:4]
	v_mad_u64_u32 v[4:5], s[4:5], s24, v6, 0
	v_sub_co_u32_e32 v9, vcc, v2, v14
	v_mov_b32_e32 v2, v5
	v_subb_co_u32_e32 v10, vcc, v3, v15, vcc
	v_mad_u64_u32 v[2:3], s[4:5], s25, v6, v[2:3]
	v_add_u32_e32 v3, 0x100, v7
	v_mad_u64_u32 v[5:6], s[4:5], s24, v3, 0
	v_sub_co_u32_e32 v11, vcc, v4, v14
	v_subb_co_u32_e32 v12, vcc, v2, v15, vcc
	v_mov_b32_e32 v2, v6
	v_mad_u64_u32 v[2:3], s[4:5], s25, v3, v[2:3]
	v_add_u32_e32 v6, 0x118, v7
	v_mad_u64_u32 v[3:4], s[4:5], s24, v6, 0
	v_sub_co_u32_e32 v13, vcc, v5, v14
	v_subb_co_u32_e32 v16, vcc, v2, v15, vcc
	v_mov_b32_e32 v2, v4
	v_mad_u64_u32 v[4:5], s[4:5], s25, v6, v[2:3]
	v_mad_u64_u32 v[5:6], s[4:5], s24, v17, 0
	v_sub_co_u32_e32 v20, vcc, v3, v14
	v_mov_b32_e32 v2, v6
	v_mad_u64_u32 v[2:3], s[4:5], s25, v17, v[2:3]
	v_add_u32_e32 v6, 0x188, v7
	v_subb_co_u32_e32 v21, vcc, v4, v15, vcc
	v_mad_u64_u32 v[3:4], s[4:5], s24, v6, 0
	v_sub_co_u32_e32 v17, vcc, v5, v14
	v_subb_co_u32_e32 v22, vcc, v2, v15, vcc
	v_mov_b32_e32 v2, v4
	v_mad_u64_u32 v[4:5], s[4:5], s25, v6, v[2:3]
	v_add_u32_e32 v23, 0x180, v7
	v_mad_u64_u32 v[5:6], s[4:5], s24, v23, 0
	s_movk_i32 s2, 0x860
	v_mad_u32_u24 v94, v1, s2, v87
	v_mov_b32_e32 v2, v6
	v_cmp_gt_u32_e64 s[2:3], 64, v24
	v_sub_co_u32_e32 v24, vcc, v3, v14
	v_mad_u64_u32 v[2:3], s[4:5], s25, v23, v[2:3]
	v_add_u32_e32 v6, 0x198, v7
	v_subb_co_u32_e32 v25, vcc, v4, v15, vcc
	v_mad_u64_u32 v[3:4], s[4:5], s24, v6, 0
	v_sub_co_u32_e32 v23, vcc, v5, v14
	v_subb_co_u32_e32 v26, vcc, v2, v15, vcc
	v_mov_b32_e32 v2, v4
	v_mad_u64_u32 v[4:5], s[4:5], s25, v6, v[2:3]
	v_add_u32_e32 v27, 0x210, v7
	v_mad_u64_u32 v[5:6], s[4:5], s24, v27, 0
	v_sub_co_u32_e32 v28, vcc, v3, v14
	v_mov_b32_e32 v2, v6
	v_mad_u64_u32 v[2:3], s[4:5], s25, v27, v[2:3]
	v_add_u32_e32 v6, 0x208, v7
	v_subb_co_u32_e32 v29, vcc, v4, v15, vcc
	v_mad_u64_u32 v[3:4], s[4:5], s24, v6, 0
	v_sub_co_u32_e32 v27, vcc, v5, v14
	v_subb_co_u32_e32 v30, vcc, v2, v15, vcc
	v_mov_b32_e32 v2, v4
	v_mad_u64_u32 v[4:5], s[4:5], s25, v6, v[2:3]
	v_add_u32_e32 v31, 0x200, v7
	v_mad_u64_u32 v[5:6], s[4:5], s24, v31, 0
	v_sub_co_u32_e32 v32, vcc, v3, v14
	v_mov_b32_e32 v2, v6
	;; [unrolled: 12-line block ×4, first 2 shown]
	v_mad_u64_u32 v[2:3], s[4:5], s25, v39, v[2:3]
	v_add_u32_e32 v6, 0x298, v7
	v_subb_co_u32_e32 v41, vcc, v4, v15, vcc
	v_mad_u64_u32 v[3:4], s[4:5], s24, v6, 0
	v_add_u32_e32 v92, 0x2180, v7
	v_sub_co_u32_e32 v7, vcc, v5, v14
	v_subb_co_u32_e32 v39, vcc, v2, v15, vcc
	v_mov_b32_e32 v2, v4
	v_mad_u64_u32 v[4:5], s[4:5], s25, v6, v[2:3]
	v_sub_co_u32_e32 v2, vcc, v3, v14
	v_subb_co_u32_e32 v3, vcc, v4, v15, vcc
	v_add_co_u32_e32 v110, vcc, v18, v9
	v_addc_co_u32_e32 v111, vcc, v19, v10, vcc
	v_add_co_u32_e32 v112, vcc, v18, v11
	v_addc_co_u32_e32 v113, vcc, v19, v12, vcc
	v_add_co_u32_e32 v114, vcc, v18, v13
	v_addc_co_u32_e32 v115, vcc, v19, v16, vcc
	v_add_co_u32_e32 v116, vcc, v18, v20
	v_addc_co_u32_e32 v117, vcc, v19, v21, vcc
	v_add_co_u32_e32 v118, vcc, v18, v17
	v_addc_co_u32_e32 v119, vcc, v19, v22, vcc
	v_add_co_u32_e32 v120, vcc, v18, v24
	v_addc_co_u32_e32 v121, vcc, v19, v25, vcc
	v_add_co_u32_e32 v122, vcc, v18, v23
	v_addc_co_u32_e32 v123, vcc, v19, v26, vcc
	v_add_co_u32_e32 v124, vcc, v18, v28
	v_addc_co_u32_e32 v125, vcc, v19, v29, vcc
	v_add_co_u32_e32 v126, vcc, v18, v27
	v_addc_co_u32_e32 v127, vcc, v19, v30, vcc
	v_add_co_u32_e32 v128, vcc, v18, v32
	v_addc_co_u32_e32 v129, vcc, v19, v33, vcc
	v_add_co_u32_e32 v130, vcc, v18, v31
	v_addc_co_u32_e32 v131, vcc, v19, v34, vcc
	v_add_co_u32_e32 v132, vcc, v18, v36
	v_addc_co_u32_e32 v133, vcc, v19, v37, vcc
	v_add_co_u32_e32 v134, vcc, v18, v35
	v_addc_co_u32_e32 v135, vcc, v19, v38, vcc
	v_add_co_u32_e32 v136, vcc, v18, v40
	v_addc_co_u32_e32 v137, vcc, v19, v41, vcc
	v_add_co_u32_e32 v138, vcc, v18, v7
	v_addc_co_u32_e32 v139, vcc, v19, v39, vcc
	v_lshlrev_b32_e32 v88, 2, v1
	v_add_co_u32_e32 v140, vcc, v18, v2
	s_add_i32 s21, s7, -2
	v_add_u32_e32 v91, 0x2180, v87
	v_add_u32_e32 v93, 0x2380, v87
	v_or_b32_e32 v98, 1, v88
	v_or_b32_e32 v99, 2, v88
	;; [unrolled: 1-line block ×3, first 2 shown]
	v_add_u32_e32 v101, 16, v88
	v_add_u32_e32 v102, 17, v88
	v_add_u32_e32 v103, 18, v88
	v_add_u32_e32 v104, 19, v88
	v_add_u32_e32 v105, 32, v88
	v_add_u32_e32 v106, 33, v88
	v_add_u32_e32 v107, 34, v88
	v_add_u32_e32 v108, 35, v88
	v_add_u32_e32 v109, 48, v88
	v_addc_co_u32_e32 v141, vcc, v19, v3, vcc
	v_add_u32_e32 v142, 49, v88
	v_add_u32_e32 v143, 50, v88
	s_add_i32 s26, s26, 64
	s_lshl_b64 s[10:11], s[24:25], 9
	v_add_u32_e32 v144, v95, v8
	v_add_u32_e32 v145, 51, v88
	v_mov_b32_e32 v54, 0
	s_cmp_eq_u32 s21, s6
	s_cselect_b32 s24, s29, 0
	s_and_saveexec_b64 s[4:5], s[0:1]
	s_cbranch_execz .LBB182_102
	s_branch .LBB182_98
.LBB182_97:                             ;   in Loop: Header=BB182_102 Depth=1
	s_mov_b32 s6, s4
	s_cmp_eq_u32 s21, s6
	s_cselect_b32 s24, s29, 0
	s_and_saveexec_b64 s[4:5], s[0:1]
	s_cbranch_execz .LBB182_102
.LBB182_98:
	s_cmp_lg_u32 s24, 0
	s_cselect_b64 s[8:9], -1, 0
	v_cmp_le_i32_e32 vcc, s24, v0
	s_and_b64 s[8:9], s[8:9], vcc
	s_and_saveexec_b64 s[12:13], s[8:9]
	s_xor_b64 s[8:9], exec, s[12:13]
; %bb.99:
	v_mov_b32_e32 v55, v54
	ds_write_b64 v91, v[54:55]
; %bb.100:
	s_andn2_saveexec_b64 s[8:9], s[8:9]
	s_cbranch_execz .LBB182_102
; %bb.101:
	s_ashr_i32 s8, s26, 31
	s_mul_hi_u32 s9, s18, s26
	s_mul_i32 s8, s18, s8
	s_add_i32 s8, s9, s8
	s_mul_i32 s9, s19, s26
	s_add_i32 s9, s8, s9
	s_mul_i32 s8, s18, s26
	s_lshl_b64 s[8:9], s[8:9], 3
	v_mov_b32_e32 v3, s9
	v_add_co_u32_e32 v2, vcc, s8, v89
	v_addc_co_u32_e32 v3, vcc, v90, v3, vcc
	flat_load_dwordx2 v[2:3], v[2:3]
	s_waitcnt vmcnt(0) lgkmcnt(0)
	ds_write_b64 v91, v[2:3]
.LBB182_102:                            ; =>This Inner Loop Header: Depth=1
	s_or_b64 exec, exec, s[4:5]
	s_cmp_eq_u32 s24, 0
	v_add_co_u32_e32 v2, vcc, v114, v87
	s_cselect_b64 s[12:13], -1, 0
	s_cmp_lg_u32 s24, 0
	v_addc_co_u32_e32 v3, vcc, 0, v115, vcc
	s_cselect_b64 s[8:9], -1, 0
	s_and_b64 vcc, exec, s[8:9]
	s_waitcnt lgkmcnt(0)
	s_barrier
	s_cbranch_vccz .LBB182_110
; %bb.103:                              ;   in Loop: Header=BB182_102 Depth=1
	v_mov_b32_e32 v57, 0
	v_mov_b32_e32 v55, 0
	;; [unrolled: 1-line block ×4, first 2 shown]
	v_cmp_gt_i32_e32 vcc, s24, v88
	s_and_saveexec_b64 s[4:5], vcc
	s_cbranch_execz .LBB182_105
; %bb.104:                              ;   in Loop: Header=BB182_102 Depth=1
	flat_load_dwordx2 v[55:56], v[2:3]
.LBB182_105:                            ;   in Loop: Header=BB182_102 Depth=1
	s_or_b64 exec, exec, s[4:5]
	v_cmp_gt_i32_e32 vcc, s24, v98
	s_and_saveexec_b64 s[4:5], vcc
	s_cbranch_execz .LBB182_107
; %bb.106:                              ;   in Loop: Header=BB182_102 Depth=1
	v_add_co_u32_e32 v4, vcc, v112, v87
	v_addc_co_u32_e32 v5, vcc, 0, v113, vcc
	flat_load_dwordx2 v[57:58], v[4:5]
.LBB182_107:                            ;   in Loop: Header=BB182_102 Depth=1
	s_or_b64 exec, exec, s[4:5]
	v_mov_b32_e32 v59, 0
	v_mov_b32_e32 v60, 0
	v_cmp_gt_i32_e32 vcc, s24, v99
	s_and_saveexec_b64 s[4:5], vcc
	s_cbranch_execz .LBB182_109
; %bb.108:                              ;   in Loop: Header=BB182_102 Depth=1
	v_add_co_u32_e32 v4, vcc, v110, v87
	v_addc_co_u32_e32 v5, vcc, 0, v111, vcc
	flat_load_dwordx2 v[59:60], v[4:5]
.LBB182_109:                            ;   in Loop: Header=BB182_102 Depth=1
	s_or_b64 exec, exec, s[4:5]
	v_cmp_gt_i32_e64 s[4:5], s24, v100
	s_branch .LBB182_112
.LBB182_110:                            ;   in Loop: Header=BB182_102 Depth=1
	s_mov_b64 s[4:5], 0
                                        ; implicit-def: $vgpr59_vgpr60
                                        ; implicit-def: $vgpr57_vgpr58
                                        ; implicit-def: $vgpr55_vgpr56
	s_cbranch_execz .LBB182_112
; %bb.111:                              ;   in Loop: Header=BB182_102 Depth=1
	s_waitcnt vmcnt(0) lgkmcnt(0)
	flat_load_dwordx2 v[55:56], v[2:3]
	v_add_co_u32_e32 v2, vcc, v112, v87
	v_addc_co_u32_e32 v3, vcc, 0, v113, vcc
	flat_load_dwordx2 v[57:58], v[2:3]
	v_add_co_u32_e32 v2, vcc, v110, v87
	v_addc_co_u32_e32 v3, vcc, 0, v111, vcc
	flat_load_dwordx2 v[59:60], v[2:3]
	s_or_b64 s[4:5], s[4:5], exec
.LBB182_112:                            ;   in Loop: Header=BB182_102 Depth=1
	v_mov_b32_e32 v61, 0
	v_mov_b32_e32 v62, 0
	s_and_saveexec_b64 s[14:15], s[4:5]
	s_cbranch_execz .LBB182_114
; %bb.113:                              ;   in Loop: Header=BB182_102 Depth=1
	v_add_co_u32_e32 v2, vcc, v116, v87
	v_addc_co_u32_e32 v3, vcc, 0, v117, vcc
	flat_load_dwordx2 v[61:62], v[2:3]
.LBB182_114:                            ;   in Loop: Header=BB182_102 Depth=1
	s_or_b64 exec, exec, s[14:15]
	ds_read_b64 v[10:11], v93
	ds_read_b128 v[6:9], v92
	ds_read_b128 v[2:5], v92 offset:16
	s_andn2_b64 vcc, exec, s[8:9]
	s_waitcnt vmcnt(0) lgkmcnt(0)
	v_mul_f32_e32 v12, v11, v56
	v_mul_f32_e32 v13, v11, v55
	;; [unrolled: 1-line block ×4, first 2 shown]
	v_fma_f32 v12, v10, v55, -v12
	v_fmac_f32_e32 v13, v10, v56
	v_fma_f32 v14, v10, v57, -v14
	v_fmac_f32_e32 v15, v10, v58
	ds_write2_b64 v94, v[12:13], v[14:15] offset1:67
	v_mul_f32_e32 v12, v11, v60
	v_mul_f32_e32 v13, v11, v59
	;; [unrolled: 1-line block ×4, first 2 shown]
	v_fma_f32 v12, v10, v59, -v12
	v_fmac_f32_e32 v13, v10, v60
	v_fma_f32 v14, v10, v61, -v14
	v_fmac_f32_e32 v15, v11, v61
	ds_write2_b64 v94, v[12:13], v[14:15] offset0:134 offset1:201
	s_waitcnt lgkmcnt(0)
	s_barrier
	ds_read2_b64 v[22:25], v95 offset1:1
	ds_read2_b64 v[18:21], v95 offset0:2 offset1:3
	v_cndmask_b32_e64 v10, 0, 1, s[8:9]
	v_cmp_ne_u32_e64 s[4:5], 1, v10
	v_add_co_u32_e64 v10, s[8:9], v122, v87
	v_addc_co_u32_e64 v11, s[8:9], 0, v123, s[8:9]
	s_waitcnt lgkmcnt(0)
	s_barrier
	s_cbranch_vccnz .LBB182_122
; %bb.115:                              ;   in Loop: Header=BB182_102 Depth=1
	v_mov_b32_e32 v65, 0
	v_mov_b32_e32 v63, 0
	;; [unrolled: 1-line block ×4, first 2 shown]
	v_cmp_gt_i32_e32 vcc, s24, v101
	s_and_saveexec_b64 s[8:9], vcc
	s_cbranch_execz .LBB182_117
; %bb.116:                              ;   in Loop: Header=BB182_102 Depth=1
	flat_load_dwordx2 v[63:64], v[10:11]
.LBB182_117:                            ;   in Loop: Header=BB182_102 Depth=1
	s_or_b64 exec, exec, s[8:9]
	v_cmp_gt_i32_e32 vcc, s24, v102
	s_and_saveexec_b64 s[8:9], vcc
	s_cbranch_execz .LBB182_119
; %bb.118:                              ;   in Loop: Header=BB182_102 Depth=1
	v_add_co_u32_e32 v12, vcc, v120, v87
	v_addc_co_u32_e32 v13, vcc, 0, v121, vcc
	flat_load_dwordx2 v[65:66], v[12:13]
.LBB182_119:                            ;   in Loop: Header=BB182_102 Depth=1
	s_or_b64 exec, exec, s[8:9]
	v_mov_b32_e32 v67, 0
	v_mov_b32_e32 v68, 0
	v_cmp_gt_i32_e32 vcc, s24, v103
	s_and_saveexec_b64 s[8:9], vcc
	s_cbranch_execz .LBB182_121
; %bb.120:                              ;   in Loop: Header=BB182_102 Depth=1
	v_add_co_u32_e32 v12, vcc, v118, v87
	v_addc_co_u32_e32 v13, vcc, 0, v119, vcc
	flat_load_dwordx2 v[67:68], v[12:13]
.LBB182_121:                            ;   in Loop: Header=BB182_102 Depth=1
	s_or_b64 exec, exec, s[8:9]
	v_cmp_gt_i32_e64 s[8:9], s24, v104
	s_branch .LBB182_124
.LBB182_122:                            ;   in Loop: Header=BB182_102 Depth=1
	s_mov_b64 s[8:9], 0
                                        ; implicit-def: $vgpr67_vgpr68
                                        ; implicit-def: $vgpr65_vgpr66
                                        ; implicit-def: $vgpr63_vgpr64
	s_cbranch_execz .LBB182_124
; %bb.123:                              ;   in Loop: Header=BB182_102 Depth=1
	s_waitcnt vmcnt(0) lgkmcnt(0)
	flat_load_dwordx2 v[63:64], v[10:11]
	v_add_co_u32_e32 v10, vcc, v120, v87
	v_addc_co_u32_e32 v11, vcc, 0, v121, vcc
	flat_load_dwordx2 v[65:66], v[10:11]
	v_add_co_u32_e32 v10, vcc, v118, v87
	v_addc_co_u32_e32 v11, vcc, 0, v119, vcc
	flat_load_dwordx2 v[67:68], v[10:11]
	s_or_b64 s[8:9], s[8:9], exec
.LBB182_124:                            ;   in Loop: Header=BB182_102 Depth=1
	v_mov_b32_e32 v69, 0
	v_mov_b32_e32 v70, 0
	s_and_saveexec_b64 s[14:15], s[8:9]
	s_cbranch_execz .LBB182_126
; %bb.125:                              ;   in Loop: Header=BB182_102 Depth=1
	v_add_co_u32_e32 v10, vcc, v124, v87
	v_addc_co_u32_e32 v11, vcc, 0, v125, vcc
	flat_load_dwordx2 v[69:70], v[10:11]
.LBB182_126:                            ;   in Loop: Header=BB182_102 Depth=1
	s_or_b64 exec, exec, s[14:15]
	ds_read_b64 v[26:27], v93
	ds_read_b128 v[14:17], v92 offset:128
	ds_read_b128 v[10:13], v92 offset:144
	s_and_b64 vcc, exec, s[4:5]
	s_waitcnt vmcnt(0) lgkmcnt(0)
	v_mul_f32_e32 v28, v27, v64
	v_mul_f32_e32 v29, v27, v63
	;; [unrolled: 1-line block ×4, first 2 shown]
	v_fma_f32 v28, v26, v63, -v28
	v_fmac_f32_e32 v29, v26, v64
	v_fma_f32 v30, v26, v65, -v30
	v_fmac_f32_e32 v31, v26, v66
	ds_write2_b64 v94, v[28:29], v[30:31] offset1:67
	v_mul_f32_e32 v28, v27, v68
	v_mul_f32_e32 v29, v27, v67
	;; [unrolled: 1-line block ×4, first 2 shown]
	v_fma_f32 v28, v26, v67, -v28
	v_fmac_f32_e32 v29, v26, v68
	v_fma_f32 v30, v26, v69, -v30
	v_fmac_f32_e32 v31, v27, v69
	ds_write2_b64 v94, v[28:29], v[30:31] offset0:134 offset1:201
	s_waitcnt lgkmcnt(0)
	s_barrier
	ds_read2_b64 v[38:41], v95 offset1:1
	ds_read2_b64 v[34:37], v95 offset0:2 offset1:3
	v_add_co_u32_e64 v26, s[8:9], v130, v87
	v_addc_co_u32_e64 v27, s[8:9], 0, v131, s[8:9]
	s_waitcnt lgkmcnt(0)
	s_barrier
	s_cbranch_vccnz .LBB182_134
; %bb.127:                              ;   in Loop: Header=BB182_102 Depth=1
	v_mov_b32_e32 v73, 0
	v_mov_b32_e32 v71, 0
	;; [unrolled: 1-line block ×4, first 2 shown]
	v_cmp_gt_i32_e32 vcc, s24, v105
	s_and_saveexec_b64 s[8:9], vcc
	s_cbranch_execz .LBB182_129
; %bb.128:                              ;   in Loop: Header=BB182_102 Depth=1
	flat_load_dwordx2 v[71:72], v[26:27]
.LBB182_129:                            ;   in Loop: Header=BB182_102 Depth=1
	s_or_b64 exec, exec, s[8:9]
	v_cmp_gt_i32_e32 vcc, s24, v106
	s_and_saveexec_b64 s[8:9], vcc
	s_cbranch_execz .LBB182_131
; %bb.130:                              ;   in Loop: Header=BB182_102 Depth=1
	v_add_co_u32_e32 v28, vcc, v128, v87
	v_addc_co_u32_e32 v29, vcc, 0, v129, vcc
	flat_load_dwordx2 v[73:74], v[28:29]
.LBB182_131:                            ;   in Loop: Header=BB182_102 Depth=1
	s_or_b64 exec, exec, s[8:9]
	v_mov_b32_e32 v75, 0
	v_mov_b32_e32 v76, 0
	v_cmp_gt_i32_e32 vcc, s24, v107
	s_and_saveexec_b64 s[8:9], vcc
	s_cbranch_execz .LBB182_133
; %bb.132:                              ;   in Loop: Header=BB182_102 Depth=1
	v_add_co_u32_e32 v28, vcc, v126, v87
	v_addc_co_u32_e32 v29, vcc, 0, v127, vcc
	flat_load_dwordx2 v[75:76], v[28:29]
.LBB182_133:                            ;   in Loop: Header=BB182_102 Depth=1
	s_or_b64 exec, exec, s[8:9]
	v_cmp_gt_i32_e64 s[8:9], s24, v108
	s_branch .LBB182_136
.LBB182_134:                            ;   in Loop: Header=BB182_102 Depth=1
	s_mov_b64 s[8:9], 0
                                        ; implicit-def: $vgpr75_vgpr76
                                        ; implicit-def: $vgpr73_vgpr74
                                        ; implicit-def: $vgpr71_vgpr72
	s_cbranch_execz .LBB182_136
; %bb.135:                              ;   in Loop: Header=BB182_102 Depth=1
	s_waitcnt vmcnt(0) lgkmcnt(0)
	flat_load_dwordx2 v[71:72], v[26:27]
	v_add_co_u32_e32 v26, vcc, v128, v87
	v_addc_co_u32_e32 v27, vcc, 0, v129, vcc
	flat_load_dwordx2 v[73:74], v[26:27]
	v_add_co_u32_e32 v26, vcc, v126, v87
	v_addc_co_u32_e32 v27, vcc, 0, v127, vcc
	flat_load_dwordx2 v[75:76], v[26:27]
	s_or_b64 s[8:9], s[8:9], exec
.LBB182_136:                            ;   in Loop: Header=BB182_102 Depth=1
	v_mov_b32_e32 v77, 0
	v_mov_b32_e32 v78, 0
	s_and_saveexec_b64 s[14:15], s[8:9]
	s_cbranch_execz .LBB182_138
; %bb.137:                              ;   in Loop: Header=BB182_102 Depth=1
	v_add_co_u32_e32 v26, vcc, v132, v87
	v_addc_co_u32_e32 v27, vcc, 0, v133, vcc
	flat_load_dwordx2 v[77:78], v[26:27]
.LBB182_138:                            ;   in Loop: Header=BB182_102 Depth=1
	s_or_b64 exec, exec, s[14:15]
	ds_read_b64 v[42:43], v93
	ds_read_b128 v[30:33], v92 offset:256
	ds_read_b128 v[26:29], v92 offset:272
	s_and_b64 vcc, exec, s[4:5]
	v_add_co_u32_e64 v85, s[4:5], v138, v87
	s_waitcnt vmcnt(0) lgkmcnt(0)
	v_mul_f32_e32 v44, v43, v72
	v_mul_f32_e32 v45, v43, v71
	;; [unrolled: 1-line block ×4, first 2 shown]
	v_fma_f32 v44, v42, v71, -v44
	v_fmac_f32_e32 v45, v42, v72
	v_fma_f32 v46, v42, v73, -v46
	v_fmac_f32_e32 v47, v42, v74
	ds_write2_b64 v94, v[44:45], v[46:47] offset1:67
	v_mul_f32_e32 v44, v43, v76
	v_mul_f32_e32 v45, v43, v75
	;; [unrolled: 1-line block ×4, first 2 shown]
	v_fma_f32 v44, v42, v75, -v44
	v_fmac_f32_e32 v45, v42, v76
	v_fma_f32 v46, v42, v77, -v46
	v_fmac_f32_e32 v47, v43, v77
	ds_write2_b64 v94, v[44:45], v[46:47] offset0:134 offset1:201
	s_waitcnt lgkmcnt(0)
	s_barrier
	ds_read2_b64 v[46:49], v95 offset1:1
	ds_read2_b64 v[42:45], v95 offset0:2 offset1:3
	v_addc_co_u32_e64 v86, s[4:5], 0, v139, s[4:5]
	s_waitcnt lgkmcnt(0)
	s_barrier
	s_cbranch_vccnz .LBB182_146
; %bb.139:                              ;   in Loop: Header=BB182_102 Depth=1
	v_mov_b32_e32 v81, 0
	v_mov_b32_e32 v79, 0
	;; [unrolled: 1-line block ×4, first 2 shown]
	v_cmp_gt_i32_e32 vcc, s24, v109
	s_and_saveexec_b64 s[4:5], vcc
	s_cbranch_execz .LBB182_141
; %bb.140:                              ;   in Loop: Header=BB182_102 Depth=1
	flat_load_dwordx2 v[79:80], v[85:86]
.LBB182_141:                            ;   in Loop: Header=BB182_102 Depth=1
	s_or_b64 exec, exec, s[4:5]
	v_cmp_gt_i32_e32 vcc, s24, v142
	s_and_saveexec_b64 s[4:5], vcc
	s_cbranch_execz .LBB182_143
; %bb.142:                              ;   in Loop: Header=BB182_102 Depth=1
	v_add_co_u32_e32 v81, vcc, v136, v87
	v_addc_co_u32_e32 v82, vcc, 0, v137, vcc
	flat_load_dwordx2 v[81:82], v[81:82]
.LBB182_143:                            ;   in Loop: Header=BB182_102 Depth=1
	s_or_b64 exec, exec, s[4:5]
	v_mov_b32_e32 v83, 0
	v_mov_b32_e32 v84, 0
	v_cmp_gt_i32_e32 vcc, s24, v143
	s_and_saveexec_b64 s[4:5], vcc
	s_cbranch_execz .LBB182_145
; %bb.144:                              ;   in Loop: Header=BB182_102 Depth=1
	v_add_co_u32_e32 v83, vcc, v134, v87
	v_addc_co_u32_e32 v84, vcc, 0, v135, vcc
	flat_load_dwordx2 v[83:84], v[83:84]
.LBB182_145:                            ;   in Loop: Header=BB182_102 Depth=1
	s_or_b64 exec, exec, s[4:5]
	v_cmp_gt_i32_e64 s[4:5], s24, v145
	s_branch .LBB182_148
.LBB182_146:                            ;   in Loop: Header=BB182_102 Depth=1
	s_mov_b64 s[4:5], 0
                                        ; implicit-def: $vgpr83_vgpr84
                                        ; implicit-def: $vgpr81_vgpr82
                                        ; implicit-def: $vgpr79_vgpr80
	s_cbranch_execz .LBB182_148
; %bb.147:                              ;   in Loop: Header=BB182_102 Depth=1
	s_waitcnt vmcnt(0) lgkmcnt(0)
	v_add_co_u32_e32 v81, vcc, v136, v87
	v_addc_co_u32_e32 v82, vcc, 0, v137, vcc
	v_add_co_u32_e32 v83, vcc, v134, v87
	v_addc_co_u32_e32 v84, vcc, 0, v135, vcc
	flat_load_dwordx2 v[79:80], v[85:86]
	s_or_b64 s[4:5], s[4:5], exec
	flat_load_dwordx2 v[81:82], v[81:82]
	s_nop 0
	flat_load_dwordx2 v[83:84], v[83:84]
.LBB182_148:                            ;   in Loop: Header=BB182_102 Depth=1
	v_mov_b32_e32 v85, 0
	v_mov_b32_e32 v86, 0
	s_and_saveexec_b64 s[8:9], s[4:5]
	s_cbranch_execz .LBB182_150
; %bb.149:                              ;   in Loop: Header=BB182_102 Depth=1
	v_add_co_u32_e32 v85, vcc, v140, v87
	v_addc_co_u32_e32 v86, vcc, 0, v141, vcc
	flat_load_dwordx2 v[85:86], v[85:86]
.LBB182_150:                            ;   in Loop: Header=BB182_102 Depth=1
	s_or_b64 exec, exec, s[8:9]
	v_add_f32_e32 v38, 0, v38
	v_add_f32_e32 v39, 0, v39
	;; [unrolled: 1-line block ×6, first 2 shown]
	ds_read_b64 v[38:39], v93
	v_add_f32_e32 v46, 0, v46
	v_add_f32_e32 v47, 0, v47
	;; [unrolled: 1-line block ×7, first 2 shown]
	s_waitcnt vmcnt(0) lgkmcnt(0)
	v_mul_f32_e32 v40, v39, v80
	v_mul_f32_e32 v41, v39, v79
	;; [unrolled: 1-line block ×4, first 2 shown]
	v_add_f32_e32 v23, 0, v23
	v_add_f32_e32 v22, v22, v24
	v_fma_f32 v40, v38, v79, -v40
	v_fmac_f32_e32 v41, v38, v80
	v_fma_f32 v46, v38, v81, -v46
	v_fmac_f32_e32 v47, v38, v82
	v_add_f32_e32 v42, v42, v44
	v_add_f32_e32 v43, v43, v45
	;; [unrolled: 1-line block ×6, first 2 shown]
	ds_read_b128 v[34:37], v92 offset:384
	ds_read_b128 v[22:25], v92 offset:400
	ds_write2_b64 v94, v[40:41], v[46:47] offset1:67
	v_mul_f32_e32 v40, v39, v84
	v_mul_f32_e32 v41, v39, v83
	;; [unrolled: 1-line block ×4, first 2 shown]
	v_fma_f32 v40, v38, v83, -v40
	v_fmac_f32_e32 v41, v38, v84
	v_fma_f32 v46, v38, v85, -v46
	v_fmac_f32_e32 v47, v39, v85
	ds_write2_b64 v94, v[40:41], v[46:47] offset0:134 offset1:201
	s_waitcnt lgkmcnt(0)
	s_barrier
	ds_read2_b64 v[38:41], v95 offset1:1
	v_add_f32_e32 v19, v48, v19
	v_add_f32_e32 v46, v18, v20
	;; [unrolled: 1-line block ×3, first 2 shown]
	ds_read2_b64 v[18:21], v95 offset0:2 offset1:3
	s_waitcnt lgkmcnt(1)
	v_add_f32_e32 v38, 0, v38
	v_add_f32_e32 v39, 0, v39
	v_cmp_gt_i32_e32 vcc, s24, v0
	v_add_f32_e32 v38, v38, v40
	v_add_f32_e32 v39, v39, v41
	s_or_b64 s[4:5], s[12:13], vcc
	s_waitcnt lgkmcnt(0)
	v_add_f32_e32 v18, v38, v18
	v_add_f32_e32 v19, v39, v19
	s_and_b64 s[8:9], s[2:3], s[4:5]
	v_add_f32_e32 v18, v18, v20
	v_add_f32_e32 v19, v19, v21
	s_barrier
	ds_write2_b64 v144, v[46:47], v[44:45] offset1:16
	ds_write2_b64 v144, v[42:43], v[18:19] offset0:32 offset1:48
	s_waitcnt lgkmcnt(0)
	s_barrier
	s_and_saveexec_b64 s[4:5], s[8:9]
	s_cbranch_execz .LBB182_152
; %bb.151:                              ;   in Loop: Header=BB182_102 Depth=1
	ds_read_b64 v[42:43], v96
	ds_read2_b64 v[18:21], v96 offset0:1 offset1:2
	ds_read2_b64 v[38:41], v96 offset0:3 offset1:4
	s_waitcnt lgkmcnt(1)
	v_add_f32_e32 v18, v18, v42
	v_add_f32_e32 v19, v19, v43
	;; [unrolled: 1-line block ×4, first 2 shown]
	ds_read2_b64 v[18:21], v96 offset0:5 offset1:6
	s_waitcnt lgkmcnt(1)
	v_add_f32_e32 v38, v42, v38
	v_add_f32_e32 v39, v43, v39
	;; [unrolled: 1-line block ×4, first 2 shown]
	s_waitcnt lgkmcnt(0)
	v_add_f32_e32 v18, v38, v18
	ds_read2_b64 v[38:41], v96 offset0:7 offset1:8
	v_add_f32_e32 v19, v42, v19
	v_add_f32_e32 v42, v18, v20
	;; [unrolled: 1-line block ×3, first 2 shown]
	ds_read2_b64 v[18:21], v96 offset0:9 offset1:10
	s_waitcnt lgkmcnt(1)
	v_add_f32_e32 v38, v42, v38
	v_add_f32_e32 v39, v43, v39
	;; [unrolled: 1-line block ×4, first 2 shown]
	s_waitcnt lgkmcnt(0)
	v_add_f32_e32 v18, v38, v18
	ds_read2_b64 v[38:41], v96 offset0:11 offset1:12
	v_add_f32_e32 v19, v42, v19
	v_add_f32_e32 v42, v18, v20
	;; [unrolled: 1-line block ×3, first 2 shown]
	ds_read2_b64 v[18:21], v96 offset0:13 offset1:14
	s_waitcnt lgkmcnt(1)
	v_add_f32_e32 v38, v42, v38
	v_add_f32_e32 v39, v43, v39
	;; [unrolled: 1-line block ×4, first 2 shown]
	ds_read_b64 v[38:39], v97
	s_waitcnt lgkmcnt(1)
	v_add_f32_e32 v18, v40, v18
	v_add_f32_e32 v19, v41, v19
	;; [unrolled: 1-line block ×3, first 2 shown]
	v_add_u32_e32 v20, s26, v0
	v_add_f32_e32 v19, v19, v21
	v_ashrrev_i32_e32 v21, 31, v20
	v_lshlrev_b64 v[20:21], 3, v[20:21]
	s_waitcnt lgkmcnt(0)
	v_add_f32_e32 v18, v18, v38
	v_mov_b32_e32 v38, s17
	v_add_co_u32_e32 v20, vcc, s16, v20
	v_add_f32_e32 v19, v19, v39
	v_addc_co_u32_e32 v21, vcc, v38, v21, vcc
	global_store_dwordx2 v[20:21], v[18:19], off
.LBB182_152:                            ;   in Loop: Header=BB182_102 Depth=1
	s_or_b64 exec, exec, s[4:5]
	v_mul_f32_e32 v18, v7, v56
	v_fma_f32 v18, v6, v55, -v18
	v_mul_f32_e32 v19, v9, v58
	v_mul_f32_e32 v7, v7, v55
	v_add_f32_e32 v18, v52, v18
	v_fma_f32 v19, v8, v57, -v19
	v_mul_f32_e32 v9, v9, v57
	v_add_f32_e32 v18, v18, v19
	v_mul_f32_e32 v19, v3, v60
	v_fmac_f32_e32 v7, v6, v56
	v_fma_f32 v19, v2, v59, -v19
	v_mul_f32_e32 v3, v3, v59
	v_add_f32_e32 v6, v53, v7
	v_fmac_f32_e32 v9, v8, v58
	v_add_f32_e32 v18, v18, v19
	v_mul_f32_e32 v19, v5, v62
	v_mul_f32_e32 v5, v5, v61
	v_add_f32_e32 v6, v6, v9
	v_fmac_f32_e32 v3, v2, v60
	v_fma_f32 v19, v4, v61, -v19
	v_add_f32_e32 v2, v6, v3
	v_fmac_f32_e32 v5, v4, v62
	v_mul_f32_e32 v3, v15, v64
	v_add_f32_e32 v18, v18, v19
	v_add_f32_e32 v2, v2, v5
	v_fma_f32 v3, v14, v63, -v3
	v_mul_f32_e32 v5, v17, v66
	v_add_f32_e32 v3, v18, v3
	v_fma_f32 v5, v16, v65, -v5
	v_mul_f32_e32 v4, v15, v63
	v_add_f32_e32 v3, v3, v5
	v_mul_f32_e32 v5, v11, v68
	v_mul_f32_e32 v6, v17, v65
	v_fma_f32 v5, v10, v67, -v5
	v_fmac_f32_e32 v4, v14, v64
	v_mul_f32_e32 v7, v11, v67
	v_add_f32_e32 v3, v3, v5
	v_mul_f32_e32 v5, v13, v70
	v_add_f32_e32 v2, v2, v4
	v_fmac_f32_e32 v6, v16, v66
	v_fma_f32 v5, v12, v69, -v5
	v_mul_f32_e32 v8, v13, v69
	v_add_f32_e32 v2, v2, v6
	v_fmac_f32_e32 v7, v10, v68
	v_add_f32_e32 v3, v3, v5
	v_add_f32_e32 v2, v2, v7
	v_fmac_f32_e32 v8, v12, v70
	v_mul_f32_e32 v5, v31, v71
	v_add_f32_e32 v2, v2, v8
	v_mul_f32_e32 v6, v33, v73
	v_fmac_f32_e32 v5, v30, v72
	v_mul_f32_e32 v7, v27, v75
	v_add_f32_e32 v2, v2, v5
	v_fmac_f32_e32 v6, v32, v74
	v_mul_f32_e32 v8, v29, v77
	v_add_f32_e32 v2, v2, v6
	v_fmac_f32_e32 v7, v26, v76
	v_add_f32_e32 v2, v2, v7
	v_fmac_f32_e32 v8, v28, v78
	v_mul_f32_e32 v5, v35, v79
	v_add_f32_e32 v2, v2, v8
	v_mul_f32_e32 v6, v37, v81
	v_fmac_f32_e32 v5, v34, v80
	v_mul_f32_e32 v7, v23, v83
	v_fmac_f32_e32 v6, v36, v82
	v_add_f32_e32 v2, v2, v5
	v_mul_f32_e32 v8, v25, v85
	v_fmac_f32_e32 v7, v22, v84
	v_add_f32_e32 v2, v2, v6
	v_fmac_f32_e32 v8, v24, v86
	v_add_f32_e32 v2, v2, v7
	v_add_f32_e32 v53, v2, v8
	v_mov_b32_e32 v2, s11
	v_add_co_u32_e32 v110, vcc, s10, v110
	v_addc_co_u32_e32 v111, vcc, v111, v2, vcc
	v_add_co_u32_e32 v112, vcc, s10, v112
	v_addc_co_u32_e32 v113, vcc, v113, v2, vcc
	;; [unrolled: 2-line block ×7, first 2 shown]
	v_add_co_u32_e32 v124, vcc, s10, v124
	v_mul_f32_e32 v4, v31, v72
	v_addc_co_u32_e32 v125, vcc, v125, v2, vcc
	v_fma_f32 v4, v30, v71, -v4
	v_add_co_u32_e32 v126, vcc, s10, v126
	v_add_f32_e32 v3, v3, v4
	v_mul_f32_e32 v4, v33, v74
	v_addc_co_u32_e32 v127, vcc, v127, v2, vcc
	v_fma_f32 v4, v32, v73, -v4
	v_add_co_u32_e32 v128, vcc, s10, v128
	v_add_f32_e32 v3, v3, v4
	;; [unrolled: 5-line block ×7, first 2 shown]
	v_mul_f32_e32 v4, v25, v86
	v_addc_co_u32_e32 v139, vcc, v139, v2, vcc
	v_fma_f32 v4, v24, v85, -v4
	s_add_i32 s4, s6, 1
	s_add_i32 s26, s26, 64
	;; [unrolled: 1-line block ×3, first 2 shown]
	v_add_co_u32_e32 v140, vcc, s10, v140
	v_add_f32_e32 v52, v3, v4
	s_cmp_ge_u32 s5, s7
	v_addc_co_u32_e32 v141, vcc, v141, v2, vcc
	s_waitcnt vmcnt(0)
	s_barrier
	s_cbranch_scc0 .LBB182_97
.LBB182_153:
	s_movk_i32 s2, 0x218
	v_cmp_gt_i32_e32 vcc, s20, v0
	v_mad_u32_u24 v1, v1, s2, v87
	s_or_b64 s[2:3], s[22:23], vcc
	s_and_b64 s[0:1], s[0:1], s[2:3]
	ds_write_b64 v1, v[52:53]
	s_waitcnt lgkmcnt(0)
	s_barrier
	s_and_saveexec_b64 s[2:3], s[0:1]
	s_cbranch_execz .LBB182_155
; %bb.154:
	ds_read2_b64 v[0:3], v87 offset1:67
	ds_read2_b64 v[4:7], v87 offset0:134 offset1:201
	s_waitcnt lgkmcnt(1)
	v_add_f32_e32 v0, v2, v0
	v_add_f32_e32 v1, v3, v1
	v_lshlrev_b64 v[2:3], 3, v[50:51]
	s_waitcnt lgkmcnt(0)
	v_add_f32_e32 v0, v4, v0
	v_add_f32_e32 v1, v5, v1
	v_mov_b32_e32 v4, s17
	v_add_co_u32_e32 v2, vcc, s16, v2
	v_add_f32_e32 v0, v0, v6
	v_add_f32_e32 v1, v1, v7
	v_addc_co_u32_e32 v3, vcc, v4, v3, vcc
	global_store_dwordx2 v[2:3], v[0:1], off
.LBB182_155:
	s_endpgm
	.section	.rodata,"a",@progbits
	.p2align	6, 0x0
	.amdhsa_kernel _ZL26rocblas_hemvn_kernel_upperILb0ELi64ELi4ELi33ELi32ELi16El19rocblas_complex_numIfEPKPKS1_PS1_EviT6_lT7_lT5_lS8_lS9_lS7_lT8_i
		.amdhsa_group_segment_fixed_size 9600
		.amdhsa_private_segment_fixed_size 0
		.amdhsa_kernarg_size 376
		.amdhsa_user_sgpr_count 6
		.amdhsa_user_sgpr_private_segment_buffer 1
		.amdhsa_user_sgpr_dispatch_ptr 0
		.amdhsa_user_sgpr_queue_ptr 0
		.amdhsa_user_sgpr_kernarg_segment_ptr 1
		.amdhsa_user_sgpr_dispatch_id 0
		.amdhsa_user_sgpr_flat_scratch_init 0
		.amdhsa_user_sgpr_private_segment_size 0
		.amdhsa_uses_dynamic_stack 0
		.amdhsa_system_sgpr_private_segment_wavefront_offset 0
		.amdhsa_system_sgpr_workgroup_id_x 1
		.amdhsa_system_sgpr_workgroup_id_y 0
		.amdhsa_system_sgpr_workgroup_id_z 1
		.amdhsa_system_sgpr_workgroup_info 0
		.amdhsa_system_vgpr_workitem_id 1
		.amdhsa_next_free_vgpr 146
		.amdhsa_next_free_sgpr 93
		.amdhsa_reserve_vcc 1
		.amdhsa_reserve_flat_scratch 0
		.amdhsa_float_round_mode_32 0
		.amdhsa_float_round_mode_16_64 0
		.amdhsa_float_denorm_mode_32 3
		.amdhsa_float_denorm_mode_16_64 3
		.amdhsa_dx10_clamp 1
		.amdhsa_ieee_mode 1
		.amdhsa_fp16_overflow 0
		.amdhsa_exception_fp_ieee_invalid_op 0
		.amdhsa_exception_fp_denorm_src 0
		.amdhsa_exception_fp_ieee_div_zero 0
		.amdhsa_exception_fp_ieee_overflow 0
		.amdhsa_exception_fp_ieee_underflow 0
		.amdhsa_exception_fp_ieee_inexact 0
		.amdhsa_exception_int_div_zero 0
	.end_amdhsa_kernel
	.section	.text._ZL26rocblas_hemvn_kernel_upperILb0ELi64ELi4ELi33ELi32ELi16El19rocblas_complex_numIfEPKPKS1_PS1_EviT6_lT7_lT5_lS8_lS9_lS7_lT8_i,"axG",@progbits,_ZL26rocblas_hemvn_kernel_upperILb0ELi64ELi4ELi33ELi32ELi16El19rocblas_complex_numIfEPKPKS1_PS1_EviT6_lT7_lT5_lS8_lS9_lS7_lT8_i,comdat
.Lfunc_end182:
	.size	_ZL26rocblas_hemvn_kernel_upperILb0ELi64ELi4ELi33ELi32ELi16El19rocblas_complex_numIfEPKPKS1_PS1_EviT6_lT7_lT5_lS8_lS9_lS7_lT8_i, .Lfunc_end182-_ZL26rocblas_hemvn_kernel_upperILb0ELi64ELi4ELi33ELi32ELi16El19rocblas_complex_numIfEPKPKS1_PS1_EviT6_lT7_lT5_lS8_lS9_lS7_lT8_i
                                        ; -- End function
	.set _ZL26rocblas_hemvn_kernel_upperILb0ELi64ELi4ELi33ELi32ELi16El19rocblas_complex_numIfEPKPKS1_PS1_EviT6_lT7_lT5_lS8_lS9_lS7_lT8_i.num_vgpr, 146
	.set _ZL26rocblas_hemvn_kernel_upperILb0ELi64ELi4ELi33ELi32ELi16El19rocblas_complex_numIfEPKPKS1_PS1_EviT6_lT7_lT5_lS8_lS9_lS7_lT8_i.num_agpr, 0
	.set _ZL26rocblas_hemvn_kernel_upperILb0ELi64ELi4ELi33ELi32ELi16El19rocblas_complex_numIfEPKPKS1_PS1_EviT6_lT7_lT5_lS8_lS9_lS7_lT8_i.numbered_sgpr, 42
	.set _ZL26rocblas_hemvn_kernel_upperILb0ELi64ELi4ELi33ELi32ELi16El19rocblas_complex_numIfEPKPKS1_PS1_EviT6_lT7_lT5_lS8_lS9_lS7_lT8_i.num_named_barrier, 0
	.set _ZL26rocblas_hemvn_kernel_upperILb0ELi64ELi4ELi33ELi32ELi16El19rocblas_complex_numIfEPKPKS1_PS1_EviT6_lT7_lT5_lS8_lS9_lS7_lT8_i.private_seg_size, 0
	.set _ZL26rocblas_hemvn_kernel_upperILb0ELi64ELi4ELi33ELi32ELi16El19rocblas_complex_numIfEPKPKS1_PS1_EviT6_lT7_lT5_lS8_lS9_lS7_lT8_i.uses_vcc, 1
	.set _ZL26rocblas_hemvn_kernel_upperILb0ELi64ELi4ELi33ELi32ELi16El19rocblas_complex_numIfEPKPKS1_PS1_EviT6_lT7_lT5_lS8_lS9_lS7_lT8_i.uses_flat_scratch, 0
	.set _ZL26rocblas_hemvn_kernel_upperILb0ELi64ELi4ELi33ELi32ELi16El19rocblas_complex_numIfEPKPKS1_PS1_EviT6_lT7_lT5_lS8_lS9_lS7_lT8_i.has_dyn_sized_stack, 0
	.set _ZL26rocblas_hemvn_kernel_upperILb0ELi64ELi4ELi33ELi32ELi16El19rocblas_complex_numIfEPKPKS1_PS1_EviT6_lT7_lT5_lS8_lS9_lS7_lT8_i.has_recursion, 0
	.set _ZL26rocblas_hemvn_kernel_upperILb0ELi64ELi4ELi33ELi32ELi16El19rocblas_complex_numIfEPKPKS1_PS1_EviT6_lT7_lT5_lS8_lS9_lS7_lT8_i.has_indirect_call, 0
	.section	.AMDGPU.csdata,"",@progbits
; Kernel info:
; codeLenInByte = 8256
; TotalNumSgprs: 46
; NumVgprs: 146
; ScratchSize: 0
; MemoryBound: 1
; FloatMode: 240
; IeeeMode: 1
; LDSByteSize: 9600 bytes/workgroup (compile time only)
; SGPRBlocks: 12
; VGPRBlocks: 36
; NumSGPRsForWavesPerEU: 97
; NumVGPRsForWavesPerEU: 146
; Occupancy: 1
; WaveLimiterHint : 1
; COMPUTE_PGM_RSRC2:SCRATCH_EN: 0
; COMPUTE_PGM_RSRC2:USER_SGPR: 6
; COMPUTE_PGM_RSRC2:TRAP_HANDLER: 0
; COMPUTE_PGM_RSRC2:TGID_X_EN: 1
; COMPUTE_PGM_RSRC2:TGID_Y_EN: 0
; COMPUTE_PGM_RSRC2:TGID_Z_EN: 1
; COMPUTE_PGM_RSRC2:TIDIG_COMP_CNT: 1
	.section	.text._ZL26rocblas_hemvn_kernel_upperILb0ELi64ELi4ELi33ELi32ELi16Ei19rocblas_complex_numIfEPKPKS1_PS1_EviT6_lT7_lT5_lS8_lS9_lS7_lT8_i,"axG",@progbits,_ZL26rocblas_hemvn_kernel_upperILb0ELi64ELi4ELi33ELi32ELi16Ei19rocblas_complex_numIfEPKPKS1_PS1_EviT6_lT7_lT5_lS8_lS9_lS7_lT8_i,comdat
	.globl	_ZL26rocblas_hemvn_kernel_upperILb0ELi64ELi4ELi33ELi32ELi16Ei19rocblas_complex_numIfEPKPKS1_PS1_EviT6_lT7_lT5_lS8_lS9_lS7_lT8_i ; -- Begin function _ZL26rocblas_hemvn_kernel_upperILb0ELi64ELi4ELi33ELi32ELi16Ei19rocblas_complex_numIfEPKPKS1_PS1_EviT6_lT7_lT5_lS8_lS9_lS7_lT8_i
	.p2align	8
	.type	_ZL26rocblas_hemvn_kernel_upperILb0ELi64ELi4ELi33ELi32ELi16Ei19rocblas_complex_numIfEPKPKS1_PS1_EviT6_lT7_lT5_lS8_lS9_lS7_lT8_i,@function
_ZL26rocblas_hemvn_kernel_upperILb0ELi64ELi4ELi33ELi32ELi16Ei19rocblas_complex_numIfEPKPKS1_PS1_EviT6_lT7_lT5_lS8_lS9_lS7_lT8_i: ; @_ZL26rocblas_hemvn_kernel_upperILb0ELi64ELi4ELi33ELi32ELi16Ei19rocblas_complex_numIfEPKPKS1_PS1_EviT6_lT7_lT5_lS8_lS9_lS7_lT8_i
; %bb.0:
	s_load_dwordx2 s[0:1], s[4:5], 0x84
	s_add_u32 s10, s4, 0x78
	s_addc_u32 s11, s5, 0
	s_waitcnt lgkmcnt(0)
	s_lshr_b32 s2, s0, 16
	s_and_b32 s0, s0, 0xffff
	s_and_b32 s1, s1, 0xffff
	s_mul_i32 s0, s2, s0
	s_mul_i32 s0, s0, s1
	s_cmpk_lg_i32 s0, 0x100
	s_cbranch_scc1 .LBB183_155
; %bb.1:
	s_load_dwordx2 s[0:1], s[4:5], 0x4
	s_mov_b32 s24, s7
	s_waitcnt lgkmcnt(0)
	s_or_b32 s0, s0, s1
	s_bitset0_b32 s0, 31
	s_cmp_lg_u32 s0, 0
	s_mov_b64 s[0:1], -1
	s_cbranch_scc1 .LBB183_3
; %bb.2:
	s_load_dwordx2 s[0:1], s[4:5], 0x58
	s_waitcnt lgkmcnt(0)
	v_cmp_eq_f32_e64 s[2:3], s0, 1.0
	v_cmp_eq_f32_e64 s[0:1], s1, 0
	s_and_b64 s[0:1], s[2:3], s[0:1]
	s_andn2_b64 vcc, exec, s[0:1]
	s_mov_b64 s[0:1], 0
.LBB183_3:
	s_andn2_b64 vcc, exec, s[0:1]
	s_cbranch_vccnz .LBB183_155
; %bb.4:
	s_load_dwordx4 s[0:3], s[4:5], 0x18
	s_load_dwordx4 s[12:15], s[4:5], 0x38
	s_load_dword s33, s[4:5], 0x48
	s_mov_b32 s25, 0
	s_lshl_b64 s[8:9], s[24:25], 3
	s_waitcnt lgkmcnt(0)
	s_add_u32 s0, s0, s8
	s_addc_u32 s1, s1, s9
	s_add_u32 s12, s12, s8
	s_addc_u32 s13, s13, s9
	s_load_dwordx2 s[16:17], s[12:13], 0x0
	s_load_dword s40, s[4:5], 0x0
	s_load_dword s7, s[10:11], 0x0
	s_load_dwordx2 s[8:9], s[0:1], 0x0
	s_lshl_b64 s[0:1], s[14:15], 3
	s_waitcnt lgkmcnt(0)
	s_add_u32 s0, s16, s0
	s_addc_u32 s1, s17, s1
	s_lshl_b32 s26, s6, 6
	v_add_u32_e32 v50, s26, v0
	v_mul_lo_u32 v2, s33, v50
	s_ashr_i32 s41, s40, 31
	s_lshr_b32 s11, s41, 26
	s_add_i32 s11, s40, s11
	v_ashrrev_i32_e32 v3, 31, v2
	s_andn2_b32 s11, s11, 63
	v_lshlrev_b64 v[2:3], 3, v[2:3]
	s_add_i32 s10, s7, -1
	s_sub_i32 s25, s40, s11
	s_cmp_eq_u32 s6, s10
	v_mov_b32_e32 v4, s1
	v_add_co_u32_e32 v16, vcc, s0, v2
	s_cselect_b32 s18, s25, 0
	v_addc_co_u32_e32 v17, vcc, v4, v3, vcc
	v_cmp_eq_u32_e64 s[0:1], 0, v1
	s_and_saveexec_b64 s[10:11], s[0:1]
	s_cbranch_execz .LBB183_9
; %bb.5:
	s_cmp_lg_u32 s18, 0
	s_cselect_b64 s[12:13], -1, 0
	v_cmp_le_i32_e32 vcc, s18, v0
	v_mov_b32_e32 v2, 0x2380
	s_and_b64 s[12:13], s[12:13], vcc
	v_lshl_add_u32 v2, v0, 3, v2
	s_and_saveexec_b64 s[14:15], s[12:13]
	s_xor_b64 s[12:13], exec, s[14:15]
; %bb.6:
	v_mov_b32_e32 v3, 0
	v_mov_b32_e32 v4, v3
	ds_write_b64 v2, v[3:4]
                                        ; implicit-def: $vgpr2
; %bb.7:
	s_andn2_saveexec_b64 s[12:13], s[12:13]
	s_cbranch_execz .LBB183_9
; %bb.8:
	flat_load_dwordx2 v[3:4], v[16:17]
	s_waitcnt vmcnt(0) lgkmcnt(0)
	ds_write_b64 v2, v[3:4]
.LBB183_9:
	s_or_b64 exec, exec, s[10:11]
	s_load_dword s22, s[4:5], 0x28
	s_lshl_b64 s[2:3], s[2:3], 3
	v_lshl_add_u32 v24, v1, 6, v0
	s_add_u32 s8, s8, s2
	v_and_b32_e32 v2, 31, v0
	v_lshrrev_b32_e32 v9, 5, v24
	s_addc_u32 s9, s9, s3
	s_waitcnt lgkmcnt(0)
	v_mad_u64_u32 v[3:4], s[2:3], s22, v9, v[2:3]
	s_ashr_i32 s27, s26, 31
	s_lshl_b64 s[2:3], s[26:27], 3
	v_ashrrev_i32_e32 v4, 31, v3
	v_lshlrev_b64 v[14:15], 3, v[3:4]
	s_add_u32 s2, s8, s2
	s_addc_u32 s3, s9, s3
	v_add_co_u32_e32 v4, vcc, s2, v14
	s_mul_i32 s2, s22, s26
	v_mov_b32_e32 v3, s3
	s_ashr_i32 s3, s2, 31
	s_lshl_b64 s[2:3], s[2:3], 3
	v_addc_co_u32_e32 v5, vcc, v3, v15, vcc
	s_cmp_eq_u32 s18, 0
	v_mov_b32_e32 v6, s3
	v_add_co_u32_e32 v3, vcc, s2, v4
	s_cselect_b64 s[20:21], -1, 0
	s_cmp_lg_u32 s18, 0
	v_addc_co_u32_e32 v4, vcc, v5, v6, vcc
	s_cselect_b64 s[34:35], -1, 0
	s_and_b64 vcc, exec, s[34:35]
	v_cmp_gt_i32_e64 s[2:3], s18, v2
	v_lshlrev_b32_e32 v10, 3, v2
	s_cbranch_vccz .LBB183_27
; %bb.10:
	v_sub_co_u32_e32 v5, vcc, v3, v10
	s_ashr_i32 s19, s18, 31
	v_subbrev_co_u32_e32 v6, vcc, 0, v4, vcc
	s_lshl_b64 s[8:9], s[18:19], 3
	v_mov_b32_e32 v7, s9
	v_add_co_u32_e32 v5, vcc, s8, v5
	v_addc_co_u32_e32 v6, vcc, v6, v7, vcc
	v_add_co_u32_e32 v5, vcc, -8, v5
	v_addc_co_u32_e32 v6, vcc, -1, v6, vcc
	v_mul_u32_u24_e32 v7, 0x108, v9
	v_cndmask_b32_e64 v6, v6, v4, s[2:3]
	v_cndmask_b32_e64 v5, v5, v3, s[2:3]
	v_cmp_le_i32_e32 vcc, s18, v9
	v_add_u32_e32 v7, v10, v7
	s_and_saveexec_b64 s[10:11], vcc
	s_xor_b64 s[10:11], exec, s[10:11]
; %bb.11:
	v_mov_b32_e32 v11, 0
	v_mov_b32_e32 v12, v11
	ds_write_b64 v7, v[11:12]
; %bb.12:
	s_andn2_saveexec_b64 s[10:11], s[10:11]
	s_cbranch_execz .LBB183_14
; %bb.13:
	flat_load_dwordx2 v[11:12], v[5:6]
	s_waitcnt vmcnt(0) lgkmcnt(0)
	ds_write_b64 v7, v[11:12]
.LBB183_14:
	s_or_b64 exec, exec, s[10:11]
	v_add_u32_e32 v8, 8, v9
	v_cmp_le_i32_e32 vcc, s18, v8
	s_and_saveexec_b64 s[10:11], vcc
	s_xor_b64 s[10:11], exec, s[10:11]
; %bb.15:
	v_mov_b32_e32 v11, 0
	v_mov_b32_e32 v12, v11
	ds_write_b64 v7, v[11:12] offset:2112
; %bb.16:
	s_andn2_saveexec_b64 s[10:11], s[10:11]
	s_cbranch_execz .LBB183_18
; %bb.17:
	s_lshl_b32 s12, s22, 3
	s_ashr_i32 s13, s12, 31
	s_lshl_b64 s[12:13], s[12:13], 3
	v_mov_b32_e32 v8, s13
	v_add_co_u32_e32 v11, vcc, s12, v5
	v_addc_co_u32_e32 v12, vcc, v6, v8, vcc
	flat_load_dwordx2 v[11:12], v[11:12]
	s_waitcnt vmcnt(0) lgkmcnt(0)
	ds_write_b64 v7, v[11:12] offset:2112
.LBB183_18:
	s_or_b64 exec, exec, s[10:11]
	v_add_u32_e32 v8, 16, v9
	v_cmp_le_i32_e32 vcc, s18, v8
	s_and_saveexec_b64 s[10:11], vcc
	s_xor_b64 s[10:11], exec, s[10:11]
; %bb.19:
	v_mov_b32_e32 v11, 0
	v_mov_b32_e32 v12, v11
	ds_write_b64 v7, v[11:12] offset:4224
; %bb.20:
	s_andn2_saveexec_b64 s[10:11], s[10:11]
	s_cbranch_execz .LBB183_22
; %bb.21:
	s_lshl_b32 s12, s22, 4
	s_ashr_i32 s13, s12, 31
	s_lshl_b64 s[12:13], s[12:13], 3
	v_mov_b32_e32 v8, s13
	v_add_co_u32_e32 v11, vcc, s12, v5
	v_addc_co_u32_e32 v12, vcc, v6, v8, vcc
	flat_load_dwordx2 v[11:12], v[11:12]
	s_waitcnt vmcnt(0) lgkmcnt(0)
	ds_write_b64 v7, v[11:12] offset:4224
.LBB183_22:
	s_or_b64 exec, exec, s[10:11]
	v_add_u32_e32 v8, 24, v9
	v_cmp_le_i32_e32 vcc, s18, v8
	s_and_saveexec_b64 s[10:11], vcc
	s_xor_b64 s[10:11], exec, s[10:11]
; %bb.23:
	v_mov_b32_e32 v11, 0
	v_mov_b32_e32 v12, v11
	ds_write_b64 v7, v[11:12] offset:6336
                                        ; implicit-def: $vgpr7
; %bb.24:
	s_andn2_saveexec_b64 s[10:11], s[10:11]
	s_cbranch_execz .LBB183_26
; %bb.25:
	s_mul_i32 s12, s22, 24
	s_ashr_i32 s13, s12, 31
	s_lshl_b64 s[12:13], s[12:13], 3
	v_mov_b32_e32 v8, s13
	v_add_co_u32_e32 v11, vcc, s12, v5
	v_addc_co_u32_e32 v12, vcc, v6, v8, vcc
	flat_load_dwordx2 v[11:12], v[11:12]
	s_waitcnt vmcnt(0) lgkmcnt(0)
	ds_write_b64 v7, v[11:12] offset:6336
.LBB183_26:
	s_or_b64 exec, exec, s[10:11]
	v_add_co_u32_e32 v5, vcc, v5, v10
	v_addc_co_u32_e32 v6, vcc, 0, v6, vcc
	v_mov_b32_e32 v7, s9
	v_subrev_co_u32_e32 v5, vcc, s8, v5
	v_subb_co_u32_e32 v6, vcc, v6, v7, vcc
	v_add_co_u32_e32 v5, vcc, 8, v5
	v_addc_co_u32_e32 v6, vcc, 0, v6, vcc
	v_cndmask_b32_e64 v6, v6, v4, s[2:3]
	v_cndmask_b32_e64 v5, v5, v3, s[2:3]
	s_branch .LBB183_29
.LBB183_27:
                                        ; implicit-def: $vgpr5_vgpr6
	s_cbranch_execz .LBB183_29
; %bb.28:
	s_lshl_b32 s2, s22, 3
	s_ashr_i32 s3, s2, 31
	s_lshl_b64 s[2:3], s[2:3], 3
	v_mov_b32_e32 v6, s3
	v_add_co_u32_e32 v5, vcc, s2, v3
	s_ashr_i32 s23, s22, 31
	v_addc_co_u32_e32 v6, vcc, v4, v6, vcc
	s_lshl_b64 s[2:3], s[22:23], 6
	v_mov_b32_e32 v12, s3
	v_add_co_u32_e32 v7, vcc, s2, v5
	v_addc_co_u32_e32 v8, vcc, v6, v12, vcc
	v_add_co_u32_e32 v11, vcc, s2, v7
	v_addc_co_u32_e32 v12, vcc, v8, v12, vcc
	flat_load_dwordx2 v[18:19], v[3:4]
	flat_load_dwordx2 v[20:21], v[5:6]
	;; [unrolled: 1-line block ×4, first 2 shown]
	v_mul_u32_u24_e32 v5, 0x108, v9
	v_lshl_add_u32 v5, v2, 3, v5
	s_waitcnt vmcnt(0) lgkmcnt(0)
	ds_write_b64 v5, v[18:19]
	ds_write_b64 v5, v[20:21] offset:2112
	ds_write_b64 v5, v[22:23] offset:4224
	;; [unrolled: 1-line block ×3, first 2 shown]
	v_mov_b32_e32 v6, v4
	v_mov_b32_e32 v5, v3
.LBB183_29:
	v_lshlrev_b32_e32 v13, 2, v9
	v_lshl_or_b32 v3, v2, 8, v10
	v_cmp_gt_u32_e64 s[16:17], v13, v2
	v_lshl_add_u32 v3, v13, 3, v3
	s_waitcnt lgkmcnt(0)
	s_barrier
	s_and_saveexec_b64 s[2:3], s[16:17]
	s_cbranch_execz .LBB183_31
; %bb.30:
	s_movk_i32 s8, 0x420
	v_mad_u32_u24 v4, v9, s8, v10
	ds_read_b64 v[7:8], v4
	s_waitcnt lgkmcnt(0)
	ds_write_b64 v3, v[7:8]
.LBB183_31:
	s_or_b64 exec, exec, s[2:3]
	v_or_b32_e32 v12, 1, v13
	v_cmp_ge_u32_e64 s[8:9], v13, v2
	s_and_saveexec_b64 s[2:3], s[8:9]
	s_cbranch_execz .LBB183_33
; %bb.32:
	s_movk_i32 s10, 0x108
	v_mad_u32_u24 v4, v12, s10, v10
	ds_read_b64 v[7:8], v4
	s_waitcnt lgkmcnt(0)
	ds_write_b64 v3, v[7:8] offset:8
.LBB183_33:
	s_or_b64 exec, exec, s[2:3]
	v_or_b32_e32 v4, 2, v13
	v_cmp_gt_u32_e64 s[10:11], v4, v2
	s_and_saveexec_b64 s[2:3], s[10:11]
	s_cbranch_execz .LBB183_35
; %bb.34:
	s_movk_i32 s12, 0x108
	v_mad_u32_u24 v4, v4, s12, v10
	ds_read_b64 v[7:8], v4
	s_waitcnt lgkmcnt(0)
	ds_write_b64 v3, v[7:8] offset:16
.LBB183_35:
	s_or_b64 exec, exec, s[2:3]
	v_or_b32_e32 v7, 3, v13
	v_cmp_gt_u32_e64 s[12:13], v7, v2
	v_cmp_le_u32_e32 vcc, v7, v2
                                        ; implicit-def: $vgpr4
	s_and_saveexec_b64 s[2:3], vcc
	s_xor_b64 s[2:3], exec, s[2:3]
; %bb.36:
	v_mul_u32_u24_e32 v4, 0x108, v7
                                        ; implicit-def: $vgpr7
                                        ; implicit-def: $vgpr3
; %bb.37:
	s_andn2_saveexec_b64 s[2:3], s[2:3]
	s_cbranch_execz .LBB183_39
; %bb.38:
	s_movk_i32 s14, 0x108
	v_mad_u32_u24 v4, v7, s14, v10
	ds_read_b64 v[18:19], v4
	v_mul_u32_u24_e32 v4, 0x108, v7
	s_waitcnt lgkmcnt(0)
	ds_write_b64 v3, v[18:19] offset:24
.LBB183_39:
	s_or_b64 exec, exec, s[2:3]
	s_movk_i32 s2, 0x420
	v_mad_u32_u24 v3, v9, s2, v10
	s_movk_i32 s2, 0x108
	v_mad_u32_u24 v11, v12, s2, v10
	s_waitcnt lgkmcnt(0)
	s_barrier
	v_lshlrev_b32_e32 v18, 3, v13
	ds_read_b64 v[7:8], v3
	ds_read_b128 v[19:22], v18 offset:9088
	ds_read_b128 v[25:28], v18 offset:9104
	ds_read2_b64 v[29:32], v11 offset1:33
	v_mov_b32_e32 v51, 0
	v_cmp_gt_u32_e64 s[2:3], 32, v24
	s_waitcnt lgkmcnt(2)
	v_mul_f32_e32 v3, v20, v8
	v_mul_f32_e32 v8, v19, v8
	v_fmac_f32_e32 v8, v20, v7
	s_waitcnt lgkmcnt(0)
	v_mul_f32_e32 v11, v21, v30
	v_fma_f32 v3, v19, v7, -v3
	v_add_f32_e32 v7, 0, v8
	v_mul_f32_e32 v8, v22, v30
	v_fmac_f32_e32 v11, v22, v29
	v_add_f32_e32 v3, 0, v3
	v_fma_f32 v8, v21, v29, -v8
	v_add_f32_e32 v7, v7, v11
	v_add_u32_e32 v11, v10, v4
	v_add_f32_e32 v8, v3, v8
	ds_read_b64 v[3:4], v11
	v_mul_f32_e32 v19, v26, v32
	v_fma_f32 v19, v25, v31, -v19
	v_mul_f32_e32 v20, v25, v32
	v_fmac_f32_e32 v20, v26, v31
	v_add_f32_e32 v8, v8, v19
	s_waitcnt lgkmcnt(0)
	v_mul_f32_e32 v19, v28, v4
	v_mul_f32_e32 v4, v27, v4
	v_add_f32_e32 v7, v7, v20
	v_fmac_f32_e32 v4, v28, v3
	v_add_f32_e32 v4, v7, v4
	v_mul_u32_u24_e32 v7, 33, v2
	v_fma_f32 v19, v27, v3, -v19
	v_lshlrev_b32_e32 v25, 3, v7
	v_add_f32_e32 v3, v8, v19
	v_lshl_add_u32 v26, v9, 3, v25
	v_mov_b32_e32 v52, 0
	s_barrier
	ds_write_b64 v26, v[3:4]
	s_waitcnt lgkmcnt(0)
	s_barrier
	s_and_saveexec_b64 s[14:15], s[2:3]
	s_cbranch_execz .LBB183_41
; %bb.40:
	ds_read2_b64 v[19:22], v25 offset1:7
	ds_read2_b64 v[27:30], v25 offset0:1 offset1:2
	ds_read2_b64 v[31:34], v25 offset0:3 offset1:4
	s_waitcnt lgkmcnt(1)
	v_add_f32_e32 v3, v27, v19
	v_add_f32_e32 v4, v28, v20
	;; [unrolled: 1-line block ×4, first 2 shown]
	ds_read2_b64 v[27:30], v25 offset0:5 offset1:6
	s_waitcnt lgkmcnt(1)
	v_add_f32_e32 v3, v3, v31
	v_add_f32_e32 v4, v4, v32
	;; [unrolled: 1-line block ×4, first 2 shown]
	s_waitcnt lgkmcnt(0)
	v_add_f32_e32 v3, v3, v27
	v_add_f32_e32 v4, v4, v28
	;; [unrolled: 1-line block ×6, first 2 shown]
.LBB183_41:
	s_or_b64 exec, exec, s[14:15]
	s_lshl_b32 s28, s22, 5
	s_ashr_i32 s29, s28, 31
	s_lshl_b64 s[30:31], s[28:29], 3
	v_mov_b32_e32 v3, s31
	v_add_co_u32_e32 v5, vcc, s30, v5
	v_addc_co_u32_e32 v6, vcc, v6, v3, vcc
	v_add_co_u32_e32 v3, vcc, 0x100, v5
	v_addc_co_u32_e32 v4, vcc, 0, v6, vcc
	s_and_b64 vcc, exec, s[34:35]
	s_barrier
	s_cbranch_vccz .LBB183_59
; %bb.42:
	v_sub_co_u32_e32 v8, vcc, v5, v10
	s_ashr_i32 s19, s18, 31
	v_subbrev_co_u32_e32 v19, vcc, 0, v6, vcc
	s_lshl_b64 s[36:37], s[18:19], 3
	v_mov_b32_e32 v20, s37
	v_add_co_u32_e32 v8, vcc, s36, v8
	v_addc_co_u32_e32 v19, vcc, v19, v20, vcc
	v_or_b32_e32 v7, 32, v2
	v_add_co_u32_e32 v20, vcc, -8, v8
	v_addc_co_u32_e32 v8, vcc, -1, v19, vcc
	v_cmp_gt_i32_e64 s[14:15], s18, v7
	s_sub_i32 s19, s18, 32
	v_mul_u32_u24_e32 v19, 0x108, v9
	v_cndmask_b32_e64 v8, v8, v4, s[14:15]
	v_cndmask_b32_e64 v7, v20, v3, s[14:15]
	v_cmp_le_i32_e32 vcc, s19, v9
	v_add_u32_e32 v19, v10, v19
	s_and_saveexec_b64 s[38:39], vcc
	s_xor_b64 s[38:39], exec, s[38:39]
; %bb.43:
	v_mov_b32_e32 v20, 0
	v_mov_b32_e32 v21, v20
	ds_write_b64 v19, v[20:21]
; %bb.44:
	s_andn2_saveexec_b64 s[38:39], s[38:39]
	s_cbranch_execz .LBB183_46
; %bb.45:
	flat_load_dwordx2 v[20:21], v[7:8]
	s_waitcnt vmcnt(0) lgkmcnt(0)
	ds_write_b64 v19, v[20:21]
.LBB183_46:
	s_or_b64 exec, exec, s[38:39]
	v_add_u32_e32 v20, 8, v9
	v_cmp_le_i32_e32 vcc, s19, v20
	s_and_saveexec_b64 s[38:39], vcc
	s_xor_b64 s[38:39], exec, s[38:39]
; %bb.47:
	v_mov_b32_e32 v20, 0
	v_mov_b32_e32 v21, v20
	ds_write_b64 v19, v[20:21] offset:2112
; %bb.48:
	s_andn2_saveexec_b64 s[38:39], s[38:39]
	s_cbranch_execz .LBB183_50
; %bb.49:
	s_lshl_b32 s42, s22, 3
	s_ashr_i32 s43, s42, 31
	s_lshl_b64 s[42:43], s[42:43], 3
	v_mov_b32_e32 v21, s43
	v_add_co_u32_e32 v20, vcc, s42, v7
	v_addc_co_u32_e32 v21, vcc, v8, v21, vcc
	flat_load_dwordx2 v[20:21], v[20:21]
	s_waitcnt vmcnt(0) lgkmcnt(0)
	ds_write_b64 v19, v[20:21] offset:2112
.LBB183_50:
	s_or_b64 exec, exec, s[38:39]
	v_add_u32_e32 v20, 16, v9
	v_cmp_le_i32_e32 vcc, s19, v20
	s_and_saveexec_b64 s[38:39], vcc
	s_xor_b64 s[38:39], exec, s[38:39]
; %bb.51:
	v_mov_b32_e32 v20, 0
	v_mov_b32_e32 v21, v20
	ds_write_b64 v19, v[20:21] offset:4224
; %bb.52:
	s_andn2_saveexec_b64 s[38:39], s[38:39]
	s_cbranch_execz .LBB183_54
; %bb.53:
	s_lshl_b32 s42, s22, 4
	s_ashr_i32 s43, s42, 31
	s_lshl_b64 s[42:43], s[42:43], 3
	v_mov_b32_e32 v21, s43
	v_add_co_u32_e32 v20, vcc, s42, v7
	v_addc_co_u32_e32 v21, vcc, v8, v21, vcc
	flat_load_dwordx2 v[20:21], v[20:21]
	s_waitcnt vmcnt(0) lgkmcnt(0)
	ds_write_b64 v19, v[20:21] offset:4224
.LBB183_54:
	s_or_b64 exec, exec, s[38:39]
	v_add_u32_e32 v20, 24, v9
	v_cmp_le_i32_e32 vcc, s19, v20
	s_and_saveexec_b64 s[38:39], vcc
	s_xor_b64 s[38:39], exec, s[38:39]
; %bb.55:
	v_mov_b32_e32 v20, 0
	v_mov_b32_e32 v21, v20
	ds_write_b64 v19, v[20:21] offset:6336
                                        ; implicit-def: $vgpr19
; %bb.56:
	s_andn2_saveexec_b64 s[38:39], s[38:39]
	s_cbranch_execz .LBB183_58
; %bb.57:
	s_mul_i32 s42, s22, 24
	s_ashr_i32 s43, s42, 31
	s_lshl_b64 s[42:43], s[42:43], 3
	v_mov_b32_e32 v21, s43
	v_add_co_u32_e32 v20, vcc, s42, v7
	v_addc_co_u32_e32 v21, vcc, v8, v21, vcc
	flat_load_dwordx2 v[20:21], v[20:21]
	s_waitcnt vmcnt(0) lgkmcnt(0)
	ds_write_b64 v19, v[20:21] offset:6336
.LBB183_58:
	s_or_b64 exec, exec, s[38:39]
	v_add_co_u32_e32 v7, vcc, v7, v10
	v_addc_co_u32_e32 v8, vcc, 0, v8, vcc
	v_mov_b32_e32 v19, s37
	v_subrev_co_u32_e32 v7, vcc, s36, v7
	v_subb_co_u32_e32 v8, vcc, v8, v19, vcc
	v_add_co_u32_e32 v7, vcc, 0x108, v7
	v_addc_co_u32_e32 v8, vcc, 0, v8, vcc
	v_cndmask_b32_e64 v8, v8, v4, s[14:15]
	v_cndmask_b32_e64 v7, v7, v3, s[14:15]
	v_mul_u32_u24_e32 v19, 0x420, v9
	s_branch .LBB183_61
.LBB183_59:
                                        ; implicit-def: $vgpr7_vgpr8
	v_mul_u32_u24_e32 v19, 0x420, v9
	s_cbranch_execz .LBB183_61
; %bb.60:
	s_lshl_b32 s14, s22, 3
	s_ashr_i32 s15, s14, 31
	s_lshl_b64 s[14:15], s[14:15], 3
	v_mov_b32_e32 v8, s15
	v_add_co_u32_e32 v7, vcc, s14, v5
	s_ashr_i32 s23, s22, 31
	v_addc_co_u32_e32 v8, vcc, v6, v8, vcc
	s_lshl_b64 s[14:15], s[22:23], 6
	v_mov_b32_e32 v23, s15
	v_add_co_u32_e32 v20, vcc, s14, v7
	v_addc_co_u32_e32 v21, vcc, v8, v23, vcc
	v_add_co_u32_e32 v22, vcc, s14, v20
	v_addc_co_u32_e32 v23, vcc, v21, v23, vcc
	flat_load_dwordx2 v[27:28], v[5:6] offset:256
	flat_load_dwordx2 v[29:30], v[7:8] offset:256
	;; [unrolled: 1-line block ×4, first 2 shown]
	s_movk_i32 s14, 0x108
	v_mov_b32_e32 v8, v4
	v_mad_u32_u24 v5, v9, s14, v10
	v_mov_b32_e32 v7, v3
	s_waitcnt vmcnt(0) lgkmcnt(0)
	ds_write_b64 v5, v[27:28]
	ds_write_b64 v5, v[29:30] offset:2112
	ds_write_b64 v5, v[31:32] offset:4224
	;; [unrolled: 1-line block ×3, first 2 shown]
.LBB183_61:
	v_mul_u32_u24_e32 v4, 0x108, v12
	v_add_u32_e32 v12, v10, v19
	v_lshl_add_u32 v3, v13, 3, v25
	s_waitcnt lgkmcnt(0)
	s_barrier
	s_and_saveexec_b64 s[14:15], s[16:17]
	s_cbranch_execz .LBB183_65
; %bb.62:
	ds_read_b64 v[5:6], v12
	s_waitcnt lgkmcnt(0)
	ds_write_b64 v3, v[5:6]
	s_or_b64 exec, exec, s[14:15]
	v_add_u32_e32 v27, v10, v4
	s_and_saveexec_b64 s[14:15], s[8:9]
	s_cbranch_execnz .LBB183_66
.LBB183_63:
	s_or_b64 exec, exec, s[14:15]
	s_and_saveexec_b64 s[8:9], s[10:11]
	s_cbranch_execz .LBB183_67
.LBB183_64:
	ds_read_b64 v[4:5], v27 offset:264
	s_waitcnt lgkmcnt(0)
	ds_write_b64 v3, v[4:5] offset:16
	s_or_b64 exec, exec, s[8:9]
	v_add_u32_e32 v28, 0x2380, v18
	s_and_saveexec_b64 s[8:9], s[12:13]
	s_cbranch_execnz .LBB183_68
	s_branch .LBB183_69
.LBB183_65:
	s_or_b64 exec, exec, s[14:15]
	v_add_u32_e32 v27, v10, v4
	s_and_saveexec_b64 s[14:15], s[8:9]
	s_cbranch_execz .LBB183_63
.LBB183_66:
	ds_read_b64 v[4:5], v27
	s_waitcnt lgkmcnt(0)
	ds_write_b64 v3, v[4:5] offset:8
	s_or_b64 exec, exec, s[14:15]
	s_and_saveexec_b64 s[8:9], s[10:11]
	s_cbranch_execnz .LBB183_64
.LBB183_67:
	s_or_b64 exec, exec, s[8:9]
	v_add_u32_e32 v28, 0x2380, v18
	s_and_saveexec_b64 s[8:9], s[12:13]
	s_cbranch_execz .LBB183_69
.LBB183_68:
	ds_read_b64 v[4:5], v11
	s_waitcnt lgkmcnt(0)
	ds_write_b64 v3, v[4:5] offset:24
.LBB183_69:
	s_or_b64 exec, exec, s[8:9]
	s_waitcnt lgkmcnt(0)
	s_barrier
	ds_read_b64 v[22:23], v12
	ds_read_b128 v[3:6], v28 offset:256
	ds_read_b128 v[18:21], v28 offset:272
	ds_read_b64 v[33:34], v11
	ds_read2_b64 v[29:32], v27 offset1:33
	v_cmp_eq_u32_e64 s[8:9], 1, v9
	s_waitcnt lgkmcnt(3)
	v_mul_f32_e32 v13, v4, v23
	v_fma_f32 v13, v3, v22, -v13
	v_mul_f32_e32 v3, v3, v23
	v_fmac_f32_e32 v3, v4, v22
	v_add_f32_e32 v4, 0, v13
	s_waitcnt lgkmcnt(0)
	v_mul_f32_e32 v13, v6, v30
	v_fma_f32 v13, v5, v29, -v13
	v_mul_f32_e32 v5, v5, v30
	v_add_f32_e32 v3, 0, v3
	v_fmac_f32_e32 v5, v6, v29
	v_add_f32_e32 v3, v3, v5
	v_mul_f32_e32 v5, v19, v32
	v_mul_f32_e32 v6, v18, v32
	v_add_f32_e32 v4, v4, v13
	v_fma_f32 v5, v18, v31, -v5
	v_fmac_f32_e32 v6, v19, v31
	v_add_f32_e32 v4, v4, v5
	v_add_f32_e32 v5, v3, v6
	v_mul_f32_e32 v3, v21, v34
	v_mul_f32_e32 v6, v20, v34
	v_fma_f32 v3, v20, v33, -v3
	v_fmac_f32_e32 v6, v21, v33
	v_add_f32_e32 v3, v4, v3
	v_add_f32_e32 v4, v5, v6
	s_barrier
	ds_write_b64 v26, v[3:4]
	s_waitcnt lgkmcnt(0)
	s_barrier
	s_and_saveexec_b64 s[10:11], s[8:9]
	s_cbranch_execz .LBB183_71
; %bb.70:
	ds_read2_b64 v[3:6], v25 offset1:7
	ds_read2_b64 v[18:21], v25 offset0:1 offset1:2
	ds_read2_b64 v[29:32], v25 offset0:3 offset1:4
	s_waitcnt lgkmcnt(1)
	v_add_f32_e32 v3, v18, v3
	v_add_f32_e32 v4, v19, v4
	;; [unrolled: 1-line block ×4, first 2 shown]
	ds_read2_b64 v[18:21], v25 offset0:5 offset1:6
	s_waitcnt lgkmcnt(1)
	v_add_f32_e32 v3, v3, v29
	v_add_f32_e32 v4, v4, v30
	;; [unrolled: 1-line block ×4, first 2 shown]
	s_waitcnt lgkmcnt(0)
	v_add_f32_e32 v3, v3, v18
	v_add_f32_e32 v4, v4, v19
	;; [unrolled: 1-line block ×6, first 2 shown]
.LBB183_71:
	s_or_b64 exec, exec, s[10:11]
	v_add_co_u32_e32 v3, vcc, 0xffffff00, v7
	v_addc_co_u32_e32 v4, vcc, -1, v8, vcc
	s_and_b64 vcc, exec, s[34:35]
	s_barrier
	s_cbranch_vccz .LBB183_89
; %bb.72:
	v_sub_co_u32_e32 v5, vcc, v3, v10
	s_ashr_i32 s19, s18, 31
	v_subbrev_co_u32_e32 v6, vcc, 0, v4, vcc
	s_lshl_b64 s[12:13], s[18:19], 3
	v_mov_b32_e32 v7, s13
	v_add_co_u32_e32 v5, vcc, s12, v5
	v_addc_co_u32_e32 v6, vcc, v6, v7, vcc
	v_add_co_u32_e32 v5, vcc, -8, v5
	v_addc_co_u32_e32 v6, vcc, -1, v6, vcc
	v_cmp_gt_i32_e32 vcc, s18, v2
	s_sub_i32 s16, s18, 32
	v_mul_u32_u24_e32 v2, 0x108, v9
	v_cndmask_b32_e32 v6, v6, v4, vcc
	v_cndmask_b32_e32 v5, v5, v3, vcc
	v_cmp_le_i32_e64 s[10:11], s16, v9
	v_add_u32_e32 v13, v10, v2
	s_and_saveexec_b64 s[14:15], s[10:11]
	s_xor_b64 s[10:11], exec, s[14:15]
; %bb.73:
	v_mov_b32_e32 v7, 0
	v_mov_b32_e32 v8, v7
	ds_write_b64 v13, v[7:8]
; %bb.74:
	s_andn2_saveexec_b64 s[10:11], s[10:11]
	s_cbranch_execz .LBB183_76
; %bb.75:
	flat_load_dwordx2 v[7:8], v[5:6]
	s_waitcnt vmcnt(0) lgkmcnt(0)
	ds_write_b64 v13, v[7:8]
.LBB183_76:
	s_or_b64 exec, exec, s[10:11]
	v_add_u32_e32 v2, 8, v9
	v_cmp_le_i32_e64 s[10:11], s16, v2
	s_and_saveexec_b64 s[14:15], s[10:11]
	s_xor_b64 s[10:11], exec, s[14:15]
; %bb.77:
	v_mov_b32_e32 v7, 0
	v_mov_b32_e32 v8, v7
	ds_write_b64 v13, v[7:8] offset:2112
; %bb.78:
	s_andn2_saveexec_b64 s[14:15], s[10:11]
	s_cbranch_execz .LBB183_80
; %bb.79:
	s_lshl_b32 s10, s22, 3
	s_ashr_i32 s11, s10, 31
	s_lshl_b64 s[10:11], s[10:11], 3
	v_mov_b32_e32 v8, s11
	v_add_co_u32_e64 v7, s[10:11], s10, v5
	v_addc_co_u32_e64 v8, s[10:11], v6, v8, s[10:11]
	flat_load_dwordx2 v[7:8], v[7:8]
	s_waitcnt vmcnt(0) lgkmcnt(0)
	ds_write_b64 v13, v[7:8] offset:2112
.LBB183_80:
	s_or_b64 exec, exec, s[14:15]
	v_add_u32_e32 v7, 16, v9
	v_cmp_le_i32_e64 s[10:11], s16, v7
	s_and_saveexec_b64 s[14:15], s[10:11]
	s_xor_b64 s[10:11], exec, s[14:15]
; %bb.81:
	v_mov_b32_e32 v18, 0
	v_mov_b32_e32 v19, v18
	ds_write_b64 v13, v[18:19] offset:4224
; %bb.82:
	s_andn2_saveexec_b64 s[14:15], s[10:11]
	s_cbranch_execz .LBB183_84
; %bb.83:
	s_lshl_b32 s10, s22, 4
	s_ashr_i32 s11, s10, 31
	s_lshl_b64 s[10:11], s[10:11], 3
	v_mov_b32_e32 v8, s11
	v_add_co_u32_e64 v18, s[10:11], s10, v5
	v_addc_co_u32_e64 v19, s[10:11], v6, v8, s[10:11]
	flat_load_dwordx2 v[18:19], v[18:19]
	s_waitcnt vmcnt(0) lgkmcnt(0)
	ds_write_b64 v13, v[18:19] offset:4224
.LBB183_84:
	s_or_b64 exec, exec, s[14:15]
	v_add_u32_e32 v8, 24, v9
	v_cmp_le_i32_e64 s[10:11], s16, v8
	s_and_saveexec_b64 s[14:15], s[10:11]
	s_xor_b64 s[10:11], exec, s[14:15]
; %bb.85:
	v_mov_b32_e32 v18, 0
	v_mov_b32_e32 v19, v18
	ds_write_b64 v13, v[18:19] offset:6336
                                        ; implicit-def: $vgpr13
; %bb.86:
	s_andn2_saveexec_b64 s[14:15], s[10:11]
	s_cbranch_execz .LBB183_88
; %bb.87:
	s_mul_i32 s10, s22, 24
	s_ashr_i32 s11, s10, 31
	s_lshl_b64 s[10:11], s[10:11], 3
	v_mov_b32_e32 v19, s11
	v_add_co_u32_e64 v18, s[10:11], s10, v5
	v_addc_co_u32_e64 v19, s[10:11], v6, v19, s[10:11]
	flat_load_dwordx2 v[18:19], v[18:19]
	s_waitcnt vmcnt(0) lgkmcnt(0)
	ds_write_b64 v13, v[18:19] offset:6336
.LBB183_88:
	s_or_b64 exec, exec, s[14:15]
	v_add_co_u32_e64 v5, s[10:11], v5, v10
	v_addc_co_u32_e64 v6, s[10:11], 0, v6, s[10:11]
	v_mov_b32_e32 v13, s13
	v_subrev_co_u32_e64 v5, s[10:11], s12, v5
	v_subb_co_u32_e64 v6, s[10:11], v6, v13, s[10:11]
	v_add_co_u32_e64 v5, s[10:11], 8, v5
	v_addc_co_u32_e64 v6, s[10:11], 0, v6, s[10:11]
	v_cndmask_b32_e32 v19, v6, v4, vcc
	v_cndmask_b32_e32 v18, v5, v3, vcc
	s_branch .LBB183_91
.LBB183_89:
                                        ; implicit-def: $vgpr18_vgpr19
                                        ; implicit-def: $vgpr2
                                        ; implicit-def: $vgpr7
                                        ; implicit-def: $vgpr8
	s_cbranch_execz .LBB183_91
; %bb.90:
	s_lshl_b32 s10, s22, 3
	s_ashr_i32 s11, s10, 31
	s_lshl_b64 s[10:11], s[10:11], 3
	v_mov_b32_e32 v2, s11
	v_add_co_u32_e32 v5, vcc, s10, v3
	s_ashr_i32 s23, s22, 31
	v_addc_co_u32_e32 v6, vcc, v4, v2, vcc
	s_lshl_b64 s[10:11], s[22:23], 6
	v_mov_b32_e32 v2, s11
	v_add_co_u32_e32 v7, vcc, s10, v5
	v_addc_co_u32_e32 v8, vcc, v6, v2, vcc
	v_add_co_u32_e32 v18, vcc, s10, v7
	v_addc_co_u32_e32 v19, vcc, v8, v2, vcc
	flat_load_dwordx2 v[20:21], v[3:4]
	flat_load_dwordx2 v[22:23], v[5:6]
	;; [unrolled: 1-line block ×4, first 2 shown]
	s_movk_i32 s10, 0x108
	v_mov_b32_e32 v19, v4
	v_add_u32_e32 v2, 8, v9
	v_add_u32_e32 v7, 16, v9
	v_add_u32_e32 v8, 24, v9
	v_mad_u32_u24 v5, v9, s10, v10
	v_mov_b32_e32 v18, v3
	s_waitcnt vmcnt(0) lgkmcnt(0)
	ds_write_b64 v5, v[20:21]
	ds_write_b64 v5, v[22:23] offset:2112
	ds_write_b64 v5, v[29:30] offset:4224
	;; [unrolled: 1-line block ×3, first 2 shown]
.LBB183_91:
	v_lshlrev_b32_e32 v3, 3, v9
	v_add_u32_e32 v4, v25, v3
	v_lshlrev_b32_e32 v2, 3, v2
	s_waitcnt lgkmcnt(0)
	s_barrier
	ds_read_b64 v[29:30], v4
	ds_read_b64 v[31:32], v2 offset:9088
	ds_read_b64 v[33:34], v3 offset:9088
	ds_read_b64 v[20:21], v11
	v_add_u32_e32 v2, v25, v2
	ds_read_b64 v[35:36], v2
	v_lshlrev_b32_e32 v2, 3, v7
	s_waitcnt lgkmcnt(2)
	v_mul_f32_e32 v3, v34, v30
	v_add_u32_e32 v4, v25, v2
	v_fma_f32 v3, v33, v29, -v3
	v_lshlrev_b32_e32 v5, 3, v8
	ds_read_b64 v[37:38], v4
	ds_read_b64 v[39:40], v5 offset:9088
	ds_read_b64 v[41:42], v2 offset:9088
	s_waitcnt lgkmcnt(3)
	v_mul_f32_e32 v2, v32, v36
	v_add_f32_e32 v3, 0, v3
	v_fma_f32 v2, v31, v35, -v2
	v_add_f32_e32 v2, v3, v2
	v_add_u32_e32 v3, v25, v5
	ds_read_b64 v[43:44], v3
	ds_read_b64 v[22:23], v12
	s_waitcnt lgkmcnt(2)
	v_mul_f32_e32 v3, v42, v38
	v_fma_f32 v3, v41, v37, -v3
	v_add_f32_e32 v2, v2, v3
	s_waitcnt lgkmcnt(1)
	v_mul_f32_e32 v3, v40, v44
	v_fma_f32 v3, v39, v43, -v3
	v_add_f32_e32 v45, v2, v3
	ds_read_b128 v[10:13], v28 offset:256
	ds_read_b128 v[2:5], v28 offset:272
	v_mul_f32_e32 v28, v33, v30
	v_fmac_f32_e32 v28, v34, v29
	ds_read2_b64 v[6:9], v27 offset1:33
	v_add_f32_e32 v27, 0, v28
	v_mul_f32_e32 v28, v31, v36
	v_fmac_f32_e32 v28, v32, v35
	v_add_f32_e32 v27, v27, v28
	v_mul_f32_e32 v28, v41, v38
	v_fmac_f32_e32 v28, v42, v37
	;; [unrolled: 3-line block ×3, first 2 shown]
	v_add_f32_e32 v46, v27, v28
	s_waitcnt lgkmcnt(0)
	s_barrier
	ds_write_b64 v26, v[45:46]
	s_waitcnt lgkmcnt(0)
	s_barrier
	s_and_saveexec_b64 s[10:11], s[8:9]
	s_cbranch_execz .LBB183_93
; %bb.92:
	ds_read2_b64 v[27:30], v25 offset1:1
	ds_read2_b64 v[31:34], v25 offset0:2 offset1:3
	ds_read2_b64 v[35:38], v25 offset0:4 offset1:5
	s_waitcnt lgkmcnt(2)
	v_add_f32_e32 v27, v51, v27
	v_add_f32_e32 v28, v52, v28
	;; [unrolled: 1-line block ×4, first 2 shown]
	s_waitcnt lgkmcnt(1)
	v_add_f32_e32 v27, v27, v31
	v_add_f32_e32 v28, v28, v32
	;; [unrolled: 1-line block ×4, first 2 shown]
	ds_read2_b64 v[27:30], v25 offset0:6 offset1:7
	s_waitcnt lgkmcnt(1)
	v_add_f32_e32 v31, v31, v35
	v_add_f32_e32 v32, v32, v36
	;; [unrolled: 1-line block ×4, first 2 shown]
	s_waitcnt lgkmcnt(0)
	v_add_f32_e32 v27, v31, v27
	v_add_f32_e32 v28, v32, v28
	;; [unrolled: 1-line block ×4, first 2 shown]
.LBB183_93:
	s_or_b64 exec, exec, s[10:11]
	v_mul_f32_e32 v27, v11, v23
	v_fma_f32 v27, v10, v22, -v27
	v_mul_f32_e32 v10, v10, v23
	v_fmac_f32_e32 v10, v11, v22
	v_mul_f32_e32 v22, v13, v7
	v_mul_f32_e32 v7, v12, v7
	v_add_f32_e32 v10, 0, v10
	v_fmac_f32_e32 v7, v13, v6
	v_add_f32_e32 v7, v10, v7
	v_mul_f32_e32 v10, v3, v9
	v_add_f32_e32 v11, 0, v27
	v_fma_f32 v22, v12, v6, -v22
	v_fma_f32 v10, v2, v8, -v10
	v_mul_f32_e32 v2, v2, v9
	v_add_f32_e32 v6, v11, v22
	v_fmac_f32_e32 v2, v3, v8
	v_add_f32_e32 v3, v6, v10
	v_add_f32_e32 v6, v7, v2
	v_mul_f32_e32 v2, v5, v21
	v_fma_f32 v2, v4, v20, -v2
	v_mul_f32_e32 v4, v4, v21
	v_fmac_f32_e32 v4, v5, v20
	v_add_f32_e32 v2, v3, v2
	v_add_f32_e32 v3, v6, v4
	s_barrier
	ds_write_b64 v26, v[2:3]
	s_waitcnt lgkmcnt(0)
	s_barrier
	s_and_saveexec_b64 s[8:9], s[2:3]
	s_cbranch_execz .LBB183_95
; %bb.94:
	ds_read2_b64 v[2:5], v25 offset1:1
	ds_read2_b64 v[6:9], v25 offset0:2 offset1:3
	ds_read2_b64 v[10:13], v25 offset0:4 offset1:5
	s_waitcnt lgkmcnt(2)
	v_add_f32_e32 v2, v51, v2
	v_add_f32_e32 v3, v52, v3
	v_add_f32_e32 v2, v2, v4
	v_add_f32_e32 v3, v3, v5
	s_waitcnt lgkmcnt(1)
	v_add_f32_e32 v2, v2, v6
	v_add_f32_e32 v3, v3, v7
	;; [unrolled: 1-line block ×4, first 2 shown]
	ds_read2_b64 v[2:5], v25 offset0:6 offset1:7
	s_waitcnt lgkmcnt(1)
	v_add_f32_e32 v6, v6, v10
	v_add_f32_e32 v7, v7, v11
	;; [unrolled: 1-line block ×4, first 2 shown]
	s_waitcnt lgkmcnt(0)
	v_add_f32_e32 v2, v6, v2
	v_add_f32_e32 v3, v7, v3
	;; [unrolled: 1-line block ×4, first 2 shown]
.LBB183_95:
	s_or_b64 exec, exec, s[8:9]
	s_load_dwordx2 s[2:3], s[4:5], 0x68
	s_mul_hi_u32 s4, s40, s24
	s_mul_i32 s41, s41, s24
	s_add_i32 s4, s4, s41
	s_mul_i32 s8, s40, s24
	s_mul_i32 s4, s4, s7
	s_mul_hi_u32 s5, s8, s7
	s_add_i32 s5, s5, s4
	s_mul_i32 s4, s8, s7
	s_lshl_b64 s[4:5], s[4:5], 3
	s_waitcnt lgkmcnt(0)
	s_add_u32 s4, s2, s4
	s_addc_u32 s5, s3, s5
	s_mul_hi_i32 s3, s40, s6
	s_mul_i32 s2, s40, s6
	s_lshl_b64 s[2:3], s[2:3], 3
	s_add_u32 s19, s4, s2
	s_addc_u32 s24, s5, s3
	s_add_i32 s8, s6, 1
	s_cmp_ge_u32 s8, s7
	v_lshlrev_b32_e32 v88, 3, v0
	s_barrier
	s_cbranch_scc1 .LBB183_153
; %bb.96:
	v_lshlrev_b32_e32 v89, 2, v1
	s_mul_i32 s2, s33, s26
	v_mad_u64_u32 v[2:3], s[4:5], s22, v89, v[0:1]
	s_ashr_i32 s3, s2, 31
	s_lshl_b64 s[2:3], s[2:3], 3
	v_subrev_co_u32_e32 v90, vcc, s2, v16
	s_lshl_b32 s27, s33, 6
	s_lshl_b32 s2, s22, 4
	s_ashr_i32 s23, s22, 31
	s_lshl_b32 s14, s22, 1
	s_mul_i32 s16, s22, 3
	s_mul_i32 s33, s33, s8
	v_mov_b32_e32 v4, s3
	v_ashrrev_i32_e32 v3, 31, v2
	s_add_i32 s26, s7, -2
	s_ashr_i32 s3, s2, 31
	s_ashr_i32 s15, s14, 31
	;; [unrolled: 1-line block ×3, first 2 shown]
	s_lshl_b64 s[4:5], s[22:23], 3
	s_lshl_b32 s10, s33, 6
	s_lshl_b64 s[8:9], s[22:23], 4
	v_subb_co_u32_e32 v91, vcc, v17, v4, vcc
	s_add_u32 s11, s8, s30
	v_lshlrev_b64 v[4:5], 3, v[2:3]
	s_addc_u32 s23, s9, s31
	s_lshl_b64 s[12:13], s[2:3], 5
	v_mov_b32_e32 v6, s23
	v_add_co_u32_e32 v7, vcc, s11, v4
	s_add_u32 s33, s4, s30
	v_addc_co_u32_e32 v6, vcc, v6, v5, vcc
	s_addc_u32 s36, s5, s31
	v_mov_b32_e32 v8, s36
	v_add_co_u32_e32 v9, vcc, s33, v4
	v_addc_co_u32_e32 v8, vcc, v8, v5, vcc
	s_lshl_b64 s[14:15], s[14:15], 3
	v_mov_b32_e32 v10, s31
	v_add_co_u32_e32 v11, vcc, s30, v4
	s_add_u32 s34, s30, s14
	v_addc_co_u32_e32 v10, vcc, v10, v5, vcc
	s_addc_u32 s35, s31, s15
	s_lshl_b64 s[16:17], s[16:17], 3
	v_mov_b32_e32 v12, s35
	v_add_co_u32_e32 v13, vcc, s34, v4
	s_add_u32 s34, s30, s16
	v_addc_co_u32_e32 v12, vcc, v12, v5, vcc
	s_addc_u32 s35, s31, s17
	v_mov_b32_e32 v16, s35
	v_add_co_u32_e32 v17, vcc, s34, v4
	s_lshl_b64 s[34:35], s[2:3], 3
	s_add_u32 s37, s11, s34
	v_addc_co_u32_e32 v16, vcc, v16, v5, vcc
	s_addc_u32 s38, s23, s35
	v_mov_b32_e32 v20, s38
	v_add_co_u32_e32 v21, vcc, s37, v4
	s_add_u32 s33, s33, s34
	v_addc_co_u32_e32 v20, vcc, v20, v5, vcc
	s_addc_u32 s36, s36, s35
	v_add_co_u32_e32 v23, vcc, s33, v4
	s_add_u32 s33, s30, s34
	v_mov_b32_e32 v22, s36
	s_addc_u32 s34, s31, s35
	v_addc_co_u32_e32 v22, vcc, v22, v5, vcc
	s_add_u32 s35, s33, s14
	v_mov_b32_e32 v25, s34
	v_add_co_u32_e32 v26, vcc, s33, v4
	s_addc_u32 s36, s34, s15
	v_addc_co_u32_e32 v25, vcc, v25, v5, vcc
	s_add_u32 s33, s33, s16
	v_mov_b32_e32 v27, s36
	v_add_co_u32_e32 v28, vcc, s35, v4
	s_addc_u32 s34, s34, s17
	v_addc_co_u32_e32 v27, vcc, v27, v5, vcc
	v_mov_b32_e32 v29, s34
	s_lshl_b64 s[34:35], s[2:3], 4
	v_add_co_u32_e32 v30, vcc, s33, v4
	s_add_u32 s3, s11, s34
	v_addc_co_u32_e32 v29, vcc, v29, v5, vcc
	s_addc_u32 s11, s23, s35
	v_mov_b32_e32 v31, s11
	v_add_co_u32_e32 v32, vcc, s3, v4
	s_add_u32 s3, s34, s30
	v_addc_co_u32_e32 v31, vcc, v31, v5, vcc
	s_addc_u32 s11, s35, s31
	s_add_u32 s23, s3, s4
	v_mov_b32_e32 v34, s29
	v_add_co_u32_e32 v2, vcc, s28, v2
	s_addc_u32 s30, s11, s5
	v_addc_co_u32_e32 v3, vcc, v34, v3, vcc
	v_mov_b32_e32 v33, s30
	v_add_co_u32_e32 v34, vcc, s23, v4
	v_addc_co_u32_e32 v33, vcc, v33, v5, vcc
	v_mov_b32_e32 v35, s11
	v_add_co_u32_e32 v36, vcc, s3, v4
	s_add_u32 s23, s3, s14
	v_addc_co_u32_e32 v35, vcc, v35, v5, vcc
	s_addc_u32 s28, s11, s15
	v_mov_b32_e32 v37, s28
	v_add_co_u32_e32 v38, vcc, s23, v4
	v_addc_co_u32_e32 v37, vcc, v37, v5, vcc
	s_add_u32 s3, s3, s16
	s_addc_u32 s11, s11, s17
	v_add_co_u32_e32 v40, vcc, s3, v4
	s_mul_i32 s3, s22, 0x180
	v_mov_b32_e32 v39, s11
	s_mul_hi_i32 s11, s2, 24
	s_add_u32 s8, s3, s8
	v_lshlrev_b64 v[2:3], 3, v[2:3]
	s_addc_u32 s3, s11, s9
	v_addc_co_u32_e32 v39, vcc, v39, v5, vcc
	v_mov_b32_e32 v41, s3
	v_mad_i64_i32 v[4:5], s[2:3], s2, 24, v[2:3]
	v_add_co_u32_e32 v2, vcc, s8, v2
	v_addc_co_u32_e32 v3, vcc, v41, v3, vcc
	v_mov_b32_e32 v41, s5
	v_add_co_u32_e32 v42, vcc, s4, v4
	v_addc_co_u32_e32 v41, vcc, v5, v41, vcc
	v_mov_b32_e32 v43, s15
	;; [unrolled: 3-line block ×3, first 2 shown]
	v_add_co_u32_e32 v46, vcc, s16, v4
	v_addc_co_u32_e32 v45, vcc, v5, v45, vcc
	v_add_co_u32_e32 v92, vcc, v18, v4
	v_addc_co_u32_e32 v93, vcc, v19, v5, vcc
	;; [unrolled: 2-line block ×19, first 2 shown]
	v_lshrrev_b32_e32 v2, 4, v24
	v_add_co_u32_e32 v128, vcc, v18, v44
	s_movk_i32 s4, 0x218
	v_and_b32_e32 v3, 15, v0
	v_lshlrev_b32_e32 v4, 5, v2
	v_addc_co_u32_e32 v129, vcc, v19, v43, vcc
	v_mad_u32_u24 v132, v3, s4, v4
	v_and_b32_e32 v4, 48, v0
	v_add_co_u32_e32 v130, vcc, v18, v46
	v_lshlrev_b32_e32 v4, 3, v4
	v_addc_co_u32_e32 v131, vcc, v19, v45, vcc
	v_mad_u32_u24 v133, v3, s4, v4
	v_or_b32_e32 v4, 0x78, v88
	v_mad_u32_u24 v134, v3, s4, v4
	v_sub_co_u32_e32 v135, vcc, 0, v14
	v_mov_b32_e32 v3, 0x2180
	s_movk_i32 s4, 0x860
	v_mul_i32_i24_e32 v2, 0xffffffe8, v2
	v_cmp_gt_u32_e64 s[2:3], 64, v24
	v_subb_co_u32_e32 v136, vcc, 0, v15, vcc
	v_lshl_add_u32 v137, v1, 5, v3
	v_add_u32_e32 v138, v132, v2
	v_add_u32_e32 v139, 0x2180, v88
	;; [unrolled: 1-line block ×3, first 2 shown]
	v_mad_u32_u24 v141, v1, s4, v88
	v_or_b32_e32 v142, 1, v89
	v_or_b32_e32 v143, 2, v89
	;; [unrolled: 1-line block ×3, first 2 shown]
	v_add_u32_e32 v145, 16, v89
	v_add_u32_e32 v146, 17, v89
	;; [unrolled: 1-line block ×13, first 2 shown]
	v_mov_b32_e32 v55, 0
	s_cmp_eq_u32 s26, s6
	s_cselect_b32 s22, s25, 0
	s_and_saveexec_b64 s[4:5], s[0:1]
	s_cbranch_execz .LBB183_102
	s_branch .LBB183_98
.LBB183_97:                             ;   in Loop: Header=BB183_102 Depth=1
	s_mov_b32 s6, s4
	s_cmp_eq_u32 s26, s6
	s_cselect_b32 s22, s25, 0
	s_and_saveexec_b64 s[4:5], s[0:1]
	s_cbranch_execz .LBB183_102
.LBB183_98:
	s_cmp_lg_u32 s22, 0
	s_cselect_b64 s[8:9], -1, 0
	v_cmp_le_i32_e32 vcc, s22, v0
	s_and_b64 s[8:9], s[8:9], vcc
	s_and_saveexec_b64 s[14:15], s[8:9]
	s_xor_b64 s[8:9], exec, s[14:15]
; %bb.99:
	v_mov_b32_e32 v56, v55
	ds_write_b64 v139, v[55:56]
; %bb.100:
	s_andn2_saveexec_b64 s[8:9], s[8:9]
	s_cbranch_execz .LBB183_102
; %bb.101:
	s_ashr_i32 s11, s10, 31
	s_lshl_b64 s[8:9], s[10:11], 3
	v_mov_b32_e32 v3, s9
	v_add_co_u32_e32 v2, vcc, s8, v90
	v_addc_co_u32_e32 v3, vcc, v91, v3, vcc
	flat_load_dwordx2 v[2:3], v[2:3]
	s_waitcnt vmcnt(0) lgkmcnt(0)
	ds_write_b64 v139, v[2:3]
.LBB183_102:                            ; =>This Inner Loop Header: Depth=1
	s_or_b64 exec, exec, s[4:5]
	s_cmp_eq_u32 s22, 0
	v_add_co_u32_e32 v2, vcc, v98, v135
	s_cselect_b64 s[14:15], -1, 0
	s_cmp_lg_u32 s22, 0
	v_addc_co_u32_e32 v3, vcc, v99, v136, vcc
	s_cselect_b64 s[8:9], -1, 0
	s_and_b64 vcc, exec, s[8:9]
	s_waitcnt lgkmcnt(0)
	s_barrier
	s_cbranch_vccz .LBB183_110
; %bb.103:                              ;   in Loop: Header=BB183_102 Depth=1
	v_mov_b32_e32 v58, 0
	v_mov_b32_e32 v56, 0
	;; [unrolled: 1-line block ×4, first 2 shown]
	v_cmp_gt_i32_e32 vcc, s22, v89
	s_and_saveexec_b64 s[4:5], vcc
	s_cbranch_execz .LBB183_105
; %bb.104:                              ;   in Loop: Header=BB183_102 Depth=1
	flat_load_dwordx2 v[56:57], v[2:3]
.LBB183_105:                            ;   in Loop: Header=BB183_102 Depth=1
	s_or_b64 exec, exec, s[4:5]
	v_cmp_gt_i32_e32 vcc, s22, v142
	s_and_saveexec_b64 s[4:5], vcc
	s_cbranch_execz .LBB183_107
; %bb.106:                              ;   in Loop: Header=BB183_102 Depth=1
	v_add_co_u32_e32 v4, vcc, v96, v135
	v_addc_co_u32_e32 v5, vcc, v97, v136, vcc
	flat_load_dwordx2 v[58:59], v[4:5]
.LBB183_107:                            ;   in Loop: Header=BB183_102 Depth=1
	s_or_b64 exec, exec, s[4:5]
	v_mov_b32_e32 v60, 0
	v_mov_b32_e32 v61, 0
	v_cmp_gt_i32_e32 vcc, s22, v143
	s_and_saveexec_b64 s[4:5], vcc
	s_cbranch_execz .LBB183_109
; %bb.108:                              ;   in Loop: Header=BB183_102 Depth=1
	v_add_co_u32_e32 v4, vcc, v100, v135
	v_addc_co_u32_e32 v5, vcc, v101, v136, vcc
	flat_load_dwordx2 v[60:61], v[4:5]
.LBB183_109:                            ;   in Loop: Header=BB183_102 Depth=1
	s_or_b64 exec, exec, s[4:5]
	v_cmp_gt_i32_e64 s[4:5], s22, v144
	s_branch .LBB183_112
.LBB183_110:                            ;   in Loop: Header=BB183_102 Depth=1
	s_mov_b64 s[4:5], 0
                                        ; implicit-def: $vgpr60_vgpr61
                                        ; implicit-def: $vgpr58_vgpr59
                                        ; implicit-def: $vgpr56_vgpr57
	s_cbranch_execz .LBB183_112
; %bb.111:                              ;   in Loop: Header=BB183_102 Depth=1
	s_waitcnt vmcnt(0) lgkmcnt(0)
	flat_load_dwordx2 v[56:57], v[2:3]
	v_add_co_u32_e32 v2, vcc, v96, v135
	v_addc_co_u32_e32 v3, vcc, v97, v136, vcc
	flat_load_dwordx2 v[58:59], v[2:3]
	v_add_co_u32_e32 v2, vcc, v94, v135
	v_addc_co_u32_e32 v3, vcc, v95, v136, vcc
	flat_load_dwordx2 v[60:61], v[2:3]
	s_or_b64 s[4:5], s[4:5], exec
.LBB183_112:                            ;   in Loop: Header=BB183_102 Depth=1
	v_mov_b32_e32 v62, 0
	v_mov_b32_e32 v63, 0
	s_and_saveexec_b64 s[16:17], s[4:5]
	s_cbranch_execz .LBB183_114
; %bb.113:                              ;   in Loop: Header=BB183_102 Depth=1
	v_add_co_u32_e32 v2, vcc, v102, v135
	v_addc_co_u32_e32 v3, vcc, v103, v136, vcc
	flat_load_dwordx2 v[62:63], v[2:3]
.LBB183_114:                            ;   in Loop: Header=BB183_102 Depth=1
	s_or_b64 exec, exec, s[16:17]
	ds_read_b64 v[10:11], v140
	ds_read_b128 v[6:9], v137
	ds_read_b128 v[2:5], v137 offset:16
	s_andn2_b64 vcc, exec, s[8:9]
	s_waitcnt vmcnt(0) lgkmcnt(0)
	v_mul_f32_e32 v12, v11, v57
	v_mul_f32_e32 v13, v11, v56
	;; [unrolled: 1-line block ×4, first 2 shown]
	v_fma_f32 v12, v10, v56, -v12
	v_fmac_f32_e32 v13, v10, v57
	v_fma_f32 v14, v10, v58, -v14
	v_fmac_f32_e32 v15, v10, v59
	ds_write2_b64 v141, v[12:13], v[14:15] offset1:67
	v_mul_f32_e32 v12, v11, v61
	v_mul_f32_e32 v13, v11, v60
	;; [unrolled: 1-line block ×4, first 2 shown]
	v_fma_f32 v12, v10, v60, -v12
	v_fmac_f32_e32 v13, v10, v61
	v_fma_f32 v14, v10, v62, -v14
	v_fmac_f32_e32 v15, v11, v62
	ds_write2_b64 v141, v[12:13], v[14:15] offset0:134 offset1:201
	s_waitcnt lgkmcnt(0)
	s_barrier
	ds_read2_b64 v[22:25], v132 offset1:1
	ds_read2_b64 v[18:21], v132 offset0:2 offset1:3
	v_cndmask_b32_e64 v10, 0, 1, s[8:9]
	v_cmp_ne_u32_e64 s[4:5], 1, v10
	v_add_co_u32_e64 v10, s[8:9], v108, v135
	v_addc_co_u32_e64 v11, s[8:9], v109, v136, s[8:9]
	s_waitcnt lgkmcnt(0)
	s_barrier
	s_cbranch_vccnz .LBB183_122
; %bb.115:                              ;   in Loop: Header=BB183_102 Depth=1
	v_mov_b32_e32 v66, 0
	v_mov_b32_e32 v64, 0
	;; [unrolled: 1-line block ×4, first 2 shown]
	v_cmp_gt_i32_e32 vcc, s22, v145
	s_and_saveexec_b64 s[8:9], vcc
	s_cbranch_execz .LBB183_117
; %bb.116:                              ;   in Loop: Header=BB183_102 Depth=1
	flat_load_dwordx2 v[64:65], v[10:11]
.LBB183_117:                            ;   in Loop: Header=BB183_102 Depth=1
	s_or_b64 exec, exec, s[8:9]
	v_cmp_gt_i32_e32 vcc, s22, v146
	s_and_saveexec_b64 s[8:9], vcc
	s_cbranch_execz .LBB183_119
; %bb.118:                              ;   in Loop: Header=BB183_102 Depth=1
	v_add_co_u32_e32 v12, vcc, v106, v135
	v_addc_co_u32_e32 v13, vcc, v107, v136, vcc
	flat_load_dwordx2 v[66:67], v[12:13]
.LBB183_119:                            ;   in Loop: Header=BB183_102 Depth=1
	s_or_b64 exec, exec, s[8:9]
	v_mov_b32_e32 v68, 0
	v_mov_b32_e32 v69, 0
	v_cmp_gt_i32_e32 vcc, s22, v147
	s_and_saveexec_b64 s[8:9], vcc
	s_cbranch_execz .LBB183_121
; %bb.120:                              ;   in Loop: Header=BB183_102 Depth=1
	v_add_co_u32_e32 v12, vcc, v110, v135
	v_addc_co_u32_e32 v13, vcc, v111, v136, vcc
	flat_load_dwordx2 v[68:69], v[12:13]
.LBB183_121:                            ;   in Loop: Header=BB183_102 Depth=1
	s_or_b64 exec, exec, s[8:9]
	v_cmp_gt_i32_e64 s[8:9], s22, v148
	s_branch .LBB183_124
.LBB183_122:                            ;   in Loop: Header=BB183_102 Depth=1
	s_mov_b64 s[8:9], 0
                                        ; implicit-def: $vgpr68_vgpr69
                                        ; implicit-def: $vgpr66_vgpr67
                                        ; implicit-def: $vgpr64_vgpr65
	s_cbranch_execz .LBB183_124
; %bb.123:                              ;   in Loop: Header=BB183_102 Depth=1
	s_waitcnt vmcnt(0) lgkmcnt(0)
	flat_load_dwordx2 v[64:65], v[10:11]
	v_add_co_u32_e32 v10, vcc, v106, v135
	v_addc_co_u32_e32 v11, vcc, v107, v136, vcc
	flat_load_dwordx2 v[66:67], v[10:11]
	v_add_co_u32_e32 v10, vcc, v104, v135
	v_addc_co_u32_e32 v11, vcc, v105, v136, vcc
	flat_load_dwordx2 v[68:69], v[10:11]
	s_or_b64 s[8:9], s[8:9], exec
.LBB183_124:                            ;   in Loop: Header=BB183_102 Depth=1
	v_mov_b32_e32 v70, 0
	v_mov_b32_e32 v71, 0
	s_and_saveexec_b64 s[16:17], s[8:9]
	s_cbranch_execz .LBB183_126
; %bb.125:                              ;   in Loop: Header=BB183_102 Depth=1
	v_add_co_u32_e32 v10, vcc, v112, v135
	v_addc_co_u32_e32 v11, vcc, v113, v136, vcc
	flat_load_dwordx2 v[70:71], v[10:11]
.LBB183_126:                            ;   in Loop: Header=BB183_102 Depth=1
	s_or_b64 exec, exec, s[16:17]
	ds_read_b64 v[26:27], v140
	ds_read_b128 v[14:17], v137 offset:128
	ds_read_b128 v[10:13], v137 offset:144
	s_and_b64 vcc, exec, s[4:5]
	s_waitcnt vmcnt(0) lgkmcnt(0)
	v_mul_f32_e32 v28, v27, v65
	v_mul_f32_e32 v29, v27, v64
	;; [unrolled: 1-line block ×4, first 2 shown]
	v_fma_f32 v28, v26, v64, -v28
	v_fmac_f32_e32 v29, v26, v65
	v_fma_f32 v30, v26, v66, -v30
	v_fmac_f32_e32 v31, v26, v67
	ds_write2_b64 v141, v[28:29], v[30:31] offset1:67
	v_mul_f32_e32 v28, v27, v69
	v_mul_f32_e32 v29, v27, v68
	;; [unrolled: 1-line block ×4, first 2 shown]
	v_fma_f32 v28, v26, v68, -v28
	v_fmac_f32_e32 v29, v26, v69
	v_fma_f32 v30, v26, v70, -v30
	v_fmac_f32_e32 v31, v27, v70
	ds_write2_b64 v141, v[28:29], v[30:31] offset0:134 offset1:201
	s_waitcnt lgkmcnt(0)
	s_barrier
	ds_read2_b64 v[38:41], v132 offset1:1
	ds_read2_b64 v[34:37], v132 offset0:2 offset1:3
	v_add_co_u32_e64 v26, s[8:9], v118, v135
	v_addc_co_u32_e64 v27, s[8:9], v119, v136, s[8:9]
	s_waitcnt lgkmcnt(0)
	s_barrier
	s_cbranch_vccnz .LBB183_134
; %bb.127:                              ;   in Loop: Header=BB183_102 Depth=1
	v_mov_b32_e32 v74, 0
	v_mov_b32_e32 v72, 0
	;; [unrolled: 1-line block ×4, first 2 shown]
	v_cmp_gt_i32_e32 vcc, s22, v149
	s_and_saveexec_b64 s[8:9], vcc
	s_cbranch_execz .LBB183_129
; %bb.128:                              ;   in Loop: Header=BB183_102 Depth=1
	flat_load_dwordx2 v[72:73], v[26:27]
.LBB183_129:                            ;   in Loop: Header=BB183_102 Depth=1
	s_or_b64 exec, exec, s[8:9]
	v_cmp_gt_i32_e32 vcc, s22, v150
	s_and_saveexec_b64 s[8:9], vcc
	s_cbranch_execz .LBB183_131
; %bb.130:                              ;   in Loop: Header=BB183_102 Depth=1
	v_add_co_u32_e32 v28, vcc, v116, v135
	v_addc_co_u32_e32 v29, vcc, v117, v136, vcc
	flat_load_dwordx2 v[74:75], v[28:29]
.LBB183_131:                            ;   in Loop: Header=BB183_102 Depth=1
	s_or_b64 exec, exec, s[8:9]
	v_mov_b32_e32 v76, 0
	v_mov_b32_e32 v77, 0
	v_cmp_gt_i32_e32 vcc, s22, v151
	s_and_saveexec_b64 s[8:9], vcc
	s_cbranch_execz .LBB183_133
; %bb.132:                              ;   in Loop: Header=BB183_102 Depth=1
	v_add_co_u32_e32 v28, vcc, v120, v135
	v_addc_co_u32_e32 v29, vcc, v121, v136, vcc
	flat_load_dwordx2 v[76:77], v[28:29]
.LBB183_133:                            ;   in Loop: Header=BB183_102 Depth=1
	s_or_b64 exec, exec, s[8:9]
	v_cmp_gt_i32_e64 s[8:9], s22, v152
	s_branch .LBB183_136
.LBB183_134:                            ;   in Loop: Header=BB183_102 Depth=1
	s_mov_b64 s[8:9], 0
                                        ; implicit-def: $vgpr76_vgpr77
                                        ; implicit-def: $vgpr74_vgpr75
                                        ; implicit-def: $vgpr72_vgpr73
	s_cbranch_execz .LBB183_136
; %bb.135:                              ;   in Loop: Header=BB183_102 Depth=1
	s_waitcnt vmcnt(0) lgkmcnt(0)
	flat_load_dwordx2 v[72:73], v[26:27]
	v_add_co_u32_e32 v26, vcc, v116, v135
	v_addc_co_u32_e32 v27, vcc, v117, v136, vcc
	flat_load_dwordx2 v[74:75], v[26:27]
	v_add_co_u32_e32 v26, vcc, v114, v135
	v_addc_co_u32_e32 v27, vcc, v115, v136, vcc
	flat_load_dwordx2 v[76:77], v[26:27]
	s_or_b64 s[8:9], s[8:9], exec
.LBB183_136:                            ;   in Loop: Header=BB183_102 Depth=1
	v_mov_b32_e32 v78, 0
	v_mov_b32_e32 v79, 0
	s_and_saveexec_b64 s[16:17], s[8:9]
	s_cbranch_execz .LBB183_138
; %bb.137:                              ;   in Loop: Header=BB183_102 Depth=1
	v_add_co_u32_e32 v26, vcc, v122, v135
	v_addc_co_u32_e32 v27, vcc, v123, v136, vcc
	flat_load_dwordx2 v[78:79], v[26:27]
.LBB183_138:                            ;   in Loop: Header=BB183_102 Depth=1
	s_or_b64 exec, exec, s[16:17]
	ds_read_b64 v[42:43], v140
	ds_read_b128 v[30:33], v137 offset:256
	ds_read_b128 v[26:29], v137 offset:272
	s_and_b64 vcc, exec, s[4:5]
	v_add_co_u32_e64 v86, s[4:5], v92, v135
	s_waitcnt vmcnt(0) lgkmcnt(0)
	v_mul_f32_e32 v44, v43, v73
	v_mul_f32_e32 v45, v43, v72
	;; [unrolled: 1-line block ×4, first 2 shown]
	v_fma_f32 v44, v42, v72, -v44
	v_fmac_f32_e32 v45, v42, v73
	v_fma_f32 v46, v42, v74, -v46
	v_fmac_f32_e32 v47, v42, v75
	ds_write2_b64 v141, v[44:45], v[46:47] offset1:67
	v_mul_f32_e32 v44, v43, v77
	v_mul_f32_e32 v45, v43, v76
	;; [unrolled: 1-line block ×4, first 2 shown]
	v_fma_f32 v44, v42, v76, -v44
	v_fmac_f32_e32 v45, v42, v77
	v_fma_f32 v46, v42, v78, -v46
	v_fmac_f32_e32 v47, v43, v78
	ds_write2_b64 v141, v[44:45], v[46:47] offset0:134 offset1:201
	s_waitcnt lgkmcnt(0)
	s_barrier
	ds_read2_b64 v[46:49], v132 offset1:1
	ds_read2_b64 v[42:45], v132 offset0:2 offset1:3
	v_addc_co_u32_e64 v87, s[4:5], v93, v136, s[4:5]
	s_waitcnt lgkmcnt(0)
	s_barrier
	s_cbranch_vccnz .LBB183_146
; %bb.139:                              ;   in Loop: Header=BB183_102 Depth=1
	v_mov_b32_e32 v82, 0
	v_mov_b32_e32 v80, 0
	;; [unrolled: 1-line block ×4, first 2 shown]
	v_cmp_gt_i32_e32 vcc, s22, v153
	s_and_saveexec_b64 s[4:5], vcc
	s_cbranch_execz .LBB183_141
; %bb.140:                              ;   in Loop: Header=BB183_102 Depth=1
	flat_load_dwordx2 v[80:81], v[86:87]
.LBB183_141:                            ;   in Loop: Header=BB183_102 Depth=1
	s_or_b64 exec, exec, s[4:5]
	v_cmp_gt_i32_e32 vcc, s22, v154
	s_and_saveexec_b64 s[4:5], vcc
	s_cbranch_execz .LBB183_143
; %bb.142:                              ;   in Loop: Header=BB183_102 Depth=1
	v_add_co_u32_e32 v82, vcc, v126, v135
	v_addc_co_u32_e32 v83, vcc, v127, v136, vcc
	flat_load_dwordx2 v[82:83], v[82:83]
.LBB183_143:                            ;   in Loop: Header=BB183_102 Depth=1
	s_or_b64 exec, exec, s[4:5]
	v_mov_b32_e32 v84, 0
	v_mov_b32_e32 v85, 0
	v_cmp_gt_i32_e32 vcc, s22, v155
	s_and_saveexec_b64 s[4:5], vcc
	s_cbranch_execz .LBB183_145
; %bb.144:                              ;   in Loop: Header=BB183_102 Depth=1
	v_add_co_u32_e32 v84, vcc, v128, v135
	v_addc_co_u32_e32 v85, vcc, v129, v136, vcc
	flat_load_dwordx2 v[84:85], v[84:85]
.LBB183_145:                            ;   in Loop: Header=BB183_102 Depth=1
	s_or_b64 exec, exec, s[4:5]
	v_cmp_gt_i32_e64 s[4:5], s22, v156
	s_branch .LBB183_148
.LBB183_146:                            ;   in Loop: Header=BB183_102 Depth=1
	s_mov_b64 s[4:5], 0
                                        ; implicit-def: $vgpr84_vgpr85
                                        ; implicit-def: $vgpr82_vgpr83
                                        ; implicit-def: $vgpr80_vgpr81
	s_cbranch_execz .LBB183_148
; %bb.147:                              ;   in Loop: Header=BB183_102 Depth=1
	s_waitcnt vmcnt(0) lgkmcnt(0)
	v_add_co_u32_e32 v82, vcc, v126, v135
	v_addc_co_u32_e32 v83, vcc, v127, v136, vcc
	v_add_co_u32_e32 v84, vcc, v124, v135
	v_addc_co_u32_e32 v85, vcc, v125, v136, vcc
	flat_load_dwordx2 v[80:81], v[86:87]
	s_or_b64 s[4:5], s[4:5], exec
	flat_load_dwordx2 v[82:83], v[82:83]
	s_nop 0
	flat_load_dwordx2 v[84:85], v[84:85]
.LBB183_148:                            ;   in Loop: Header=BB183_102 Depth=1
	v_mov_b32_e32 v86, 0
	v_mov_b32_e32 v87, 0
	s_and_saveexec_b64 s[8:9], s[4:5]
	s_cbranch_execz .LBB183_150
; %bb.149:                              ;   in Loop: Header=BB183_102 Depth=1
	v_add_co_u32_e32 v86, vcc, v130, v135
	v_addc_co_u32_e32 v87, vcc, v131, v136, vcc
	flat_load_dwordx2 v[86:87], v[86:87]
.LBB183_150:                            ;   in Loop: Header=BB183_102 Depth=1
	s_or_b64 exec, exec, s[8:9]
	v_add_f32_e32 v38, 0, v38
	v_add_f32_e32 v39, 0, v39
	;; [unrolled: 1-line block ×6, first 2 shown]
	ds_read_b64 v[38:39], v140
	v_add_f32_e32 v46, 0, v46
	v_add_f32_e32 v47, 0, v47
	;; [unrolled: 1-line block ×7, first 2 shown]
	s_waitcnt vmcnt(0) lgkmcnt(0)
	v_mul_f32_e32 v40, v39, v81
	v_mul_f32_e32 v41, v39, v80
	;; [unrolled: 1-line block ×4, first 2 shown]
	v_add_f32_e32 v23, 0, v23
	v_add_f32_e32 v22, v22, v24
	v_fma_f32 v40, v38, v80, -v40
	v_fmac_f32_e32 v41, v38, v81
	v_fma_f32 v46, v38, v82, -v46
	v_fmac_f32_e32 v47, v38, v83
	v_add_f32_e32 v42, v42, v44
	v_add_f32_e32 v43, v43, v45
	;; [unrolled: 1-line block ×6, first 2 shown]
	ds_read_b128 v[34:37], v137 offset:384
	ds_read_b128 v[22:25], v137 offset:400
	ds_write2_b64 v141, v[40:41], v[46:47] offset1:67
	v_mul_f32_e32 v40, v39, v85
	v_mul_f32_e32 v41, v39, v84
	;; [unrolled: 1-line block ×4, first 2 shown]
	v_fma_f32 v40, v38, v84, -v40
	v_fmac_f32_e32 v41, v38, v85
	v_fma_f32 v46, v38, v86, -v46
	v_fmac_f32_e32 v47, v39, v86
	ds_write2_b64 v141, v[40:41], v[46:47] offset0:134 offset1:201
	s_waitcnt lgkmcnt(0)
	s_barrier
	ds_read2_b64 v[38:41], v132 offset1:1
	v_add_f32_e32 v19, v48, v19
	v_add_f32_e32 v46, v18, v20
	;; [unrolled: 1-line block ×3, first 2 shown]
	ds_read2_b64 v[18:21], v132 offset0:2 offset1:3
	s_waitcnt lgkmcnt(1)
	v_add_f32_e32 v38, 0, v38
	v_add_f32_e32 v39, 0, v39
	v_cmp_gt_i32_e32 vcc, s22, v0
	v_add_f32_e32 v38, v38, v40
	v_add_f32_e32 v39, v39, v41
	s_or_b64 s[4:5], s[14:15], vcc
	s_waitcnt lgkmcnt(0)
	v_add_f32_e32 v18, v38, v18
	v_add_f32_e32 v19, v39, v19
	s_and_b64 s[8:9], s[2:3], s[4:5]
	v_add_f32_e32 v18, v18, v20
	v_add_f32_e32 v19, v19, v21
	s_barrier
	ds_write2_b64 v138, v[46:47], v[44:45] offset1:16
	ds_write2_b64 v138, v[42:43], v[18:19] offset0:32 offset1:48
	s_waitcnt lgkmcnt(0)
	s_barrier
	s_and_saveexec_b64 s[4:5], s[8:9]
	s_cbranch_execz .LBB183_152
; %bb.151:                              ;   in Loop: Header=BB183_102 Depth=1
	ds_read_b64 v[42:43], v133
	ds_read2_b64 v[18:21], v133 offset0:1 offset1:2
	ds_read2_b64 v[38:41], v133 offset0:3 offset1:4
	v_ashrrev_i32_e32 v54, 31, v53
	s_waitcnt lgkmcnt(1)
	v_add_f32_e32 v18, v18, v42
	v_add_f32_e32 v19, v19, v43
	;; [unrolled: 1-line block ×4, first 2 shown]
	ds_read2_b64 v[18:21], v133 offset0:5 offset1:6
	s_waitcnt lgkmcnt(1)
	v_add_f32_e32 v38, v42, v38
	v_add_f32_e32 v39, v43, v39
	;; [unrolled: 1-line block ×4, first 2 shown]
	s_waitcnt lgkmcnt(0)
	v_add_f32_e32 v18, v38, v18
	ds_read2_b64 v[38:41], v133 offset0:7 offset1:8
	v_add_f32_e32 v19, v42, v19
	v_add_f32_e32 v42, v18, v20
	;; [unrolled: 1-line block ×3, first 2 shown]
	ds_read2_b64 v[18:21], v133 offset0:9 offset1:10
	s_waitcnt lgkmcnt(1)
	v_add_f32_e32 v38, v42, v38
	v_add_f32_e32 v39, v43, v39
	;; [unrolled: 1-line block ×4, first 2 shown]
	s_waitcnt lgkmcnt(0)
	v_add_f32_e32 v18, v38, v18
	ds_read2_b64 v[38:41], v133 offset0:11 offset1:12
	v_add_f32_e32 v19, v42, v19
	v_add_f32_e32 v42, v18, v20
	;; [unrolled: 1-line block ×3, first 2 shown]
	ds_read2_b64 v[18:21], v133 offset0:13 offset1:14
	s_waitcnt lgkmcnt(1)
	v_add_f32_e32 v38, v42, v38
	v_add_f32_e32 v39, v43, v39
	;; [unrolled: 1-line block ×4, first 2 shown]
	ds_read_b64 v[38:39], v134
	s_waitcnt lgkmcnt(1)
	v_add_f32_e32 v18, v40, v18
	v_add_f32_e32 v19, v41, v19
	;; [unrolled: 1-line block ×4, first 2 shown]
	v_lshlrev_b64 v[20:21], 3, v[53:54]
	s_waitcnt lgkmcnt(0)
	v_add_f32_e32 v18, v18, v38
	v_mov_b32_e32 v38, s24
	v_add_co_u32_e32 v20, vcc, s19, v20
	v_add_f32_e32 v19, v19, v39
	v_addc_co_u32_e32 v21, vcc, v38, v21, vcc
	global_store_dwordx2 v[20:21], v[18:19], off
.LBB183_152:                            ;   in Loop: Header=BB183_102 Depth=1
	s_or_b64 exec, exec, s[4:5]
	v_mul_f32_e32 v18, v7, v57
	v_fma_f32 v18, v6, v56, -v18
	v_mul_f32_e32 v19, v9, v59
	v_mul_f32_e32 v7, v7, v56
	v_add_f32_e32 v18, v51, v18
	v_fma_f32 v19, v8, v58, -v19
	v_mul_f32_e32 v9, v9, v58
	v_add_f32_e32 v18, v18, v19
	v_mul_f32_e32 v19, v3, v61
	v_fmac_f32_e32 v7, v6, v57
	v_fma_f32 v19, v2, v60, -v19
	v_mul_f32_e32 v3, v3, v60
	v_add_f32_e32 v6, v52, v7
	v_fmac_f32_e32 v9, v8, v59
	v_add_f32_e32 v18, v18, v19
	v_mul_f32_e32 v19, v5, v63
	v_mul_f32_e32 v5, v5, v62
	v_add_f32_e32 v6, v6, v9
	v_fmac_f32_e32 v3, v2, v61
	v_fma_f32 v19, v4, v62, -v19
	v_add_f32_e32 v2, v6, v3
	v_fmac_f32_e32 v5, v4, v63
	v_mul_f32_e32 v3, v15, v65
	v_add_f32_e32 v18, v18, v19
	v_add_f32_e32 v2, v2, v5
	v_fma_f32 v3, v14, v64, -v3
	v_mul_f32_e32 v5, v17, v67
	v_add_f32_e32 v3, v18, v3
	v_fma_f32 v5, v16, v66, -v5
	v_mul_f32_e32 v4, v15, v64
	v_add_f32_e32 v3, v3, v5
	v_mul_f32_e32 v5, v11, v69
	v_mul_f32_e32 v6, v17, v66
	v_fma_f32 v5, v10, v68, -v5
	v_fmac_f32_e32 v4, v14, v65
	v_mul_f32_e32 v7, v11, v68
	v_add_f32_e32 v3, v3, v5
	v_mul_f32_e32 v5, v13, v71
	v_add_f32_e32 v2, v2, v4
	v_fmac_f32_e32 v6, v16, v67
	v_fma_f32 v5, v12, v70, -v5
	v_mul_f32_e32 v8, v13, v70
	v_add_f32_e32 v2, v2, v6
	v_fmac_f32_e32 v7, v10, v69
	v_add_f32_e32 v3, v3, v5
	v_add_f32_e32 v2, v2, v7
	v_fmac_f32_e32 v8, v12, v71
	v_mul_f32_e32 v5, v31, v72
	v_add_f32_e32 v2, v2, v8
	v_mul_f32_e32 v6, v33, v74
	v_fmac_f32_e32 v5, v30, v73
	v_mul_f32_e32 v7, v27, v76
	v_add_f32_e32 v2, v2, v5
	v_fmac_f32_e32 v6, v32, v75
	v_mul_f32_e32 v8, v29, v78
	v_add_f32_e32 v2, v2, v6
	v_fmac_f32_e32 v7, v26, v77
	v_add_f32_e32 v2, v2, v7
	v_fmac_f32_e32 v8, v28, v79
	v_mul_f32_e32 v5, v35, v80
	v_add_f32_e32 v2, v2, v8
	v_mul_f32_e32 v6, v37, v82
	v_fmac_f32_e32 v5, v34, v81
	v_mul_f32_e32 v7, v23, v84
	v_fmac_f32_e32 v6, v36, v83
	v_add_f32_e32 v2, v2, v5
	v_mul_f32_e32 v8, v25, v86
	v_fmac_f32_e32 v7, v22, v85
	v_add_f32_e32 v2, v2, v6
	v_fmac_f32_e32 v8, v24, v87
	v_add_f32_e32 v2, v2, v7
	v_add_f32_e32 v52, v2, v8
	v_mov_b32_e32 v2, s13
	v_add_co_u32_e32 v94, vcc, s12, v94
	v_addc_co_u32_e32 v95, vcc, v95, v2, vcc
	v_add_co_u32_e32 v96, vcc, s12, v96
	v_addc_co_u32_e32 v97, vcc, v97, v2, vcc
	;; [unrolled: 2-line block ×11, first 2 shown]
	v_add_co_u32_e32 v116, vcc, s12, v116
	v_mul_f32_e32 v4, v31, v73
	v_addc_co_u32_e32 v117, vcc, v117, v2, vcc
	v_fma_f32 v4, v30, v72, -v4
	v_add_co_u32_e32 v118, vcc, s12, v118
	v_add_f32_e32 v3, v3, v4
	v_mul_f32_e32 v4, v33, v75
	v_addc_co_u32_e32 v119, vcc, v119, v2, vcc
	v_fma_f32 v4, v32, v74, -v4
	v_add_co_u32_e32 v120, vcc, s12, v120
	v_add_f32_e32 v3, v3, v4
	;; [unrolled: 5-line block ×7, first 2 shown]
	v_mul_f32_e32 v4, v25, v87
	v_addc_co_u32_e32 v129, vcc, v129, v2, vcc
	v_fma_f32 v4, v24, v86, -v4
	s_add_i32 s4, s6, 1
	s_add_i32 s10, s10, s27
	;; [unrolled: 1-line block ×3, first 2 shown]
	v_add_co_u32_e32 v130, vcc, s12, v130
	v_add_f32_e32 v51, v3, v4
	v_add_u32_e32 v53, 64, v53
	s_cmp_ge_u32 s5, s7
	v_addc_co_u32_e32 v131, vcc, v131, v2, vcc
	s_waitcnt vmcnt(0)
	s_barrier
	s_cbranch_scc0 .LBB183_97
.LBB183_153:
	s_movk_i32 s2, 0x218
	v_cmp_gt_i32_e32 vcc, s18, v0
	v_mad_u32_u24 v1, v1, s2, v88
	s_or_b64 s[2:3], s[20:21], vcc
	s_and_b64 s[0:1], s[0:1], s[2:3]
	ds_write_b64 v1, v[51:52]
	s_waitcnt lgkmcnt(0)
	s_barrier
	s_and_saveexec_b64 s[2:3], s[0:1]
	s_cbranch_execz .LBB183_155
; %bb.154:
	ds_read2_b64 v[0:3], v88 offset1:67
	ds_read2_b64 v[4:7], v88 offset0:134 offset1:201
	v_ashrrev_i32_e32 v51, 31, v50
	s_waitcnt lgkmcnt(1)
	v_add_f32_e32 v0, v2, v0
	v_add_f32_e32 v1, v3, v1
	v_lshlrev_b64 v[2:3], 3, v[50:51]
	s_waitcnt lgkmcnt(0)
	v_add_f32_e32 v0, v4, v0
	v_add_f32_e32 v1, v5, v1
	v_mov_b32_e32 v4, s24
	v_add_co_u32_e32 v2, vcc, s19, v2
	v_add_f32_e32 v0, v0, v6
	v_add_f32_e32 v1, v1, v7
	v_addc_co_u32_e32 v3, vcc, v4, v3, vcc
	global_store_dwordx2 v[2:3], v[0:1], off
.LBB183_155:
	s_endpgm
	.section	.rodata,"a",@progbits
	.p2align	6, 0x0
	.amdhsa_kernel _ZL26rocblas_hemvn_kernel_upperILb0ELi64ELi4ELi33ELi32ELi16Ei19rocblas_complex_numIfEPKPKS1_PS1_EviT6_lT7_lT5_lS8_lS9_lS7_lT8_i
		.amdhsa_group_segment_fixed_size 9600
		.amdhsa_private_segment_fixed_size 0
		.amdhsa_kernarg_size 376
		.amdhsa_user_sgpr_count 6
		.amdhsa_user_sgpr_private_segment_buffer 1
		.amdhsa_user_sgpr_dispatch_ptr 0
		.amdhsa_user_sgpr_queue_ptr 0
		.amdhsa_user_sgpr_kernarg_segment_ptr 1
		.amdhsa_user_sgpr_dispatch_id 0
		.amdhsa_user_sgpr_flat_scratch_init 0
		.amdhsa_user_sgpr_private_segment_size 0
		.amdhsa_uses_dynamic_stack 0
		.amdhsa_system_sgpr_private_segment_wavefront_offset 0
		.amdhsa_system_sgpr_workgroup_id_x 1
		.amdhsa_system_sgpr_workgroup_id_y 0
		.amdhsa_system_sgpr_workgroup_id_z 1
		.amdhsa_system_sgpr_workgroup_info 0
		.amdhsa_system_vgpr_workitem_id 1
		.amdhsa_next_free_vgpr 157
		.amdhsa_next_free_sgpr 93
		.amdhsa_reserve_vcc 1
		.amdhsa_reserve_flat_scratch 0
		.amdhsa_float_round_mode_32 0
		.amdhsa_float_round_mode_16_64 0
		.amdhsa_float_denorm_mode_32 3
		.amdhsa_float_denorm_mode_16_64 3
		.amdhsa_dx10_clamp 1
		.amdhsa_ieee_mode 1
		.amdhsa_fp16_overflow 0
		.amdhsa_exception_fp_ieee_invalid_op 0
		.amdhsa_exception_fp_denorm_src 0
		.amdhsa_exception_fp_ieee_div_zero 0
		.amdhsa_exception_fp_ieee_overflow 0
		.amdhsa_exception_fp_ieee_underflow 0
		.amdhsa_exception_fp_ieee_inexact 0
		.amdhsa_exception_int_div_zero 0
	.end_amdhsa_kernel
	.section	.text._ZL26rocblas_hemvn_kernel_upperILb0ELi64ELi4ELi33ELi32ELi16Ei19rocblas_complex_numIfEPKPKS1_PS1_EviT6_lT7_lT5_lS8_lS9_lS7_lT8_i,"axG",@progbits,_ZL26rocblas_hemvn_kernel_upperILb0ELi64ELi4ELi33ELi32ELi16Ei19rocblas_complex_numIfEPKPKS1_PS1_EviT6_lT7_lT5_lS8_lS9_lS7_lT8_i,comdat
.Lfunc_end183:
	.size	_ZL26rocblas_hemvn_kernel_upperILb0ELi64ELi4ELi33ELi32ELi16Ei19rocblas_complex_numIfEPKPKS1_PS1_EviT6_lT7_lT5_lS8_lS9_lS7_lT8_i, .Lfunc_end183-_ZL26rocblas_hemvn_kernel_upperILb0ELi64ELi4ELi33ELi32ELi16Ei19rocblas_complex_numIfEPKPKS1_PS1_EviT6_lT7_lT5_lS8_lS9_lS7_lT8_i
                                        ; -- End function
	.set _ZL26rocblas_hemvn_kernel_upperILb0ELi64ELi4ELi33ELi32ELi16Ei19rocblas_complex_numIfEPKPKS1_PS1_EviT6_lT7_lT5_lS8_lS9_lS7_lT8_i.num_vgpr, 157
	.set _ZL26rocblas_hemvn_kernel_upperILb0ELi64ELi4ELi33ELi32ELi16Ei19rocblas_complex_numIfEPKPKS1_PS1_EviT6_lT7_lT5_lS8_lS9_lS7_lT8_i.num_agpr, 0
	.set _ZL26rocblas_hemvn_kernel_upperILb0ELi64ELi4ELi33ELi32ELi16Ei19rocblas_complex_numIfEPKPKS1_PS1_EviT6_lT7_lT5_lS8_lS9_lS7_lT8_i.numbered_sgpr, 44
	.set _ZL26rocblas_hemvn_kernel_upperILb0ELi64ELi4ELi33ELi32ELi16Ei19rocblas_complex_numIfEPKPKS1_PS1_EviT6_lT7_lT5_lS8_lS9_lS7_lT8_i.num_named_barrier, 0
	.set _ZL26rocblas_hemvn_kernel_upperILb0ELi64ELi4ELi33ELi32ELi16Ei19rocblas_complex_numIfEPKPKS1_PS1_EviT6_lT7_lT5_lS8_lS9_lS7_lT8_i.private_seg_size, 0
	.set _ZL26rocblas_hemvn_kernel_upperILb0ELi64ELi4ELi33ELi32ELi16Ei19rocblas_complex_numIfEPKPKS1_PS1_EviT6_lT7_lT5_lS8_lS9_lS7_lT8_i.uses_vcc, 1
	.set _ZL26rocblas_hemvn_kernel_upperILb0ELi64ELi4ELi33ELi32ELi16Ei19rocblas_complex_numIfEPKPKS1_PS1_EviT6_lT7_lT5_lS8_lS9_lS7_lT8_i.uses_flat_scratch, 0
	.set _ZL26rocblas_hemvn_kernel_upperILb0ELi64ELi4ELi33ELi32ELi16Ei19rocblas_complex_numIfEPKPKS1_PS1_EviT6_lT7_lT5_lS8_lS9_lS7_lT8_i.has_dyn_sized_stack, 0
	.set _ZL26rocblas_hemvn_kernel_upperILb0ELi64ELi4ELi33ELi32ELi16Ei19rocblas_complex_numIfEPKPKS1_PS1_EviT6_lT7_lT5_lS8_lS9_lS7_lT8_i.has_recursion, 0
	.set _ZL26rocblas_hemvn_kernel_upperILb0ELi64ELi4ELi33ELi32ELi16Ei19rocblas_complex_numIfEPKPKS1_PS1_EviT6_lT7_lT5_lS8_lS9_lS7_lT8_i.has_indirect_call, 0
	.section	.AMDGPU.csdata,"",@progbits
; Kernel info:
; codeLenInByte = 8256
; TotalNumSgprs: 48
; NumVgprs: 157
; ScratchSize: 0
; MemoryBound: 1
; FloatMode: 240
; IeeeMode: 1
; LDSByteSize: 9600 bytes/workgroup (compile time only)
; SGPRBlocks: 12
; VGPRBlocks: 39
; NumSGPRsForWavesPerEU: 97
; NumVGPRsForWavesPerEU: 157
; Occupancy: 1
; WaveLimiterHint : 1
; COMPUTE_PGM_RSRC2:SCRATCH_EN: 0
; COMPUTE_PGM_RSRC2:USER_SGPR: 6
; COMPUTE_PGM_RSRC2:TRAP_HANDLER: 0
; COMPUTE_PGM_RSRC2:TGID_X_EN: 1
; COMPUTE_PGM_RSRC2:TGID_Y_EN: 0
; COMPUTE_PGM_RSRC2:TGID_Z_EN: 1
; COMPUTE_PGM_RSRC2:TIDIG_COMP_CNT: 1
	.section	.text._ZL26rocblas_hemvn_kernel_lowerILb0ELi64ELi4ELi33ELi32ELi16ElPK19rocblas_complex_numIfEPKS3_PS1_EviT6_lT7_lT5_lS8_lS9_lS7_lT8_i,"axG",@progbits,_ZL26rocblas_hemvn_kernel_lowerILb0ELi64ELi4ELi33ELi32ELi16ElPK19rocblas_complex_numIfEPKS3_PS1_EviT6_lT7_lT5_lS8_lS9_lS7_lT8_i,comdat
	.globl	_ZL26rocblas_hemvn_kernel_lowerILb0ELi64ELi4ELi33ELi32ELi16ElPK19rocblas_complex_numIfEPKS3_PS1_EviT6_lT7_lT5_lS8_lS9_lS7_lT8_i ; -- Begin function _ZL26rocblas_hemvn_kernel_lowerILb0ELi64ELi4ELi33ELi32ELi16ElPK19rocblas_complex_numIfEPKS3_PS1_EviT6_lT7_lT5_lS8_lS9_lS7_lT8_i
	.p2align	8
	.type	_ZL26rocblas_hemvn_kernel_lowerILb0ELi64ELi4ELi33ELi32ELi16ElPK19rocblas_complex_numIfEPKS3_PS1_EviT6_lT7_lT5_lS8_lS9_lS7_lT8_i,@function
_ZL26rocblas_hemvn_kernel_lowerILb0ELi64ELi4ELi33ELi32ELi16ElPK19rocblas_complex_numIfEPKS3_PS1_EviT6_lT7_lT5_lS8_lS9_lS7_lT8_i: ; @_ZL26rocblas_hemvn_kernel_lowerILb0ELi64ELi4ELi33ELi32ELi16ElPK19rocblas_complex_numIfEPKS3_PS1_EviT6_lT7_lT5_lS8_lS9_lS7_lT8_i
; %bb.0:
	s_load_dwordx2 s[0:1], s[4:5], 0x84
	s_add_u32 s16, s4, 0x78
	s_addc_u32 s17, s5, 0
	s_waitcnt lgkmcnt(0)
	s_lshr_b32 s2, s0, 16
	s_and_b32 s0, s0, 0xffff
	s_and_b32 s1, s1, 0xffff
	s_mul_i32 s0, s2, s0
	s_mul_i32 s0, s0, s1
	s_cmpk_lg_i32 s0, 0x100
	s_cbranch_scc1 .LBB184_104
; %bb.1:
	s_load_dwordx8 s[8:15], s[4:5], 0x8
	s_mov_b32 s26, s7
	s_mov_b32 s27, 0
	s_waitcnt lgkmcnt(0)
	s_mul_i32 s0, s11, s7
	s_mul_hi_u32 s1, s10, s7
	s_add_i32 s1, s1, s0
	s_mul_i32 s0, s10, s7
	s_lshl_b64 s[0:1], s[0:1], 3
	s_add_u32 s8, s8, s0
	s_addc_u32 s9, s9, s1
	s_load_dwordx2 s[10:11], s[8:9], 0x0
	s_load_dwordx2 s[28:29], s[4:5], 0x68
	s_load_dwordx4 s[0:3], s[4:5], 0x58
	s_mov_b64 s[8:9], -1
	s_waitcnt lgkmcnt(0)
	s_or_b32 s7, s10, s11
	s_bitset0_b32 s7, 31
	s_cmp_lg_u32 s7, 0
	s_cbranch_scc1 .LBB184_3
; %bb.2:
	s_mul_i32 s3, s3, s26
	s_mul_hi_u32 s7, s2, s26
	s_add_i32 s3, s7, s3
	s_mul_i32 s2, s2, s26
	s_lshl_b64 s[2:3], s[2:3], 3
	s_add_u32 s0, s0, s2
	s_addc_u32 s1, s1, s3
	s_load_dwordx2 s[2:3], s[0:1], 0x0
	s_mov_b64 s[8:9], 0
	s_waitcnt lgkmcnt(0)
	v_cmp_eq_f32_e64 s[0:1], s2, 1.0
	v_cmp_eq_f32_e64 s[2:3], s3, 0
	s_and_b64 s[0:1], s[0:1], s[2:3]
	s_andn2_b64 vcc, exec, s[0:1]
.LBB184_3:
	s_andn2_b64 vcc, exec, s[8:9]
	s_cbranch_vccnz .LBB184_104
; %bb.4:
	s_load_dword s7, s[16:17], 0x0
	s_load_dwordx4 s[0:3], s[4:5], 0x38
	s_load_dwordx2 s[20:21], s[4:5], 0x48
	s_lshl_b64 s[8:9], s[26:27], 3
	s_add_u32 s10, s12, s8
	s_addc_u32 s11, s13, s9
	s_waitcnt lgkmcnt(0)
	s_add_u32 s0, s0, s8
	s_addc_u32 s1, s1, s9
	s_load_dwordx2 s[12:13], s[0:1], 0x0
	s_load_dwordx2 s[24:25], s[4:5], 0x28
	s_load_dword s27, s[4:5], 0x0
	s_load_dwordx2 s[8:9], s[10:11], 0x0
	s_lshl_b64 s[0:1], s[2:3], 3
	s_waitcnt lgkmcnt(0)
	s_add_u32 s2, s12, s0
	s_addc_u32 s3, s13, s1
	s_lshl_b32 s34, s6, 6
	s_ashr_i32 s33, s27, 31
	s_lshr_b32 s0, s33, 26
	v_add_u32_e32 v34, s34, v0
	s_add_i32 s0, s27, s0
	v_ashrrev_i32_e32 v35, 31, v34
	s_and_b32 s5, s0, 0xffffffc0
	v_mul_lo_u32 v4, s20, v35
	v_mul_lo_u32 v5, s21, v34
	v_mad_u64_u32 v[2:3], s[0:1], s20, v34, 0
	s_add_i32 s4, s7, -1
	s_sub_i32 s0, s27, s5
	v_add3_u32 v3, v3, v4, v5
	v_lshlrev_b64 v[2:3], 3, v[2:3]
	s_cmp_eq_u32 s6, s4
	v_mov_b32_e32 v4, s3
	v_add_co_u32_e32 v18, vcc, s2, v2
	s_cselect_b32 s30, s0, 0
	v_addc_co_u32_e32 v19, vcc, v4, v3, vcc
	v_cmp_ne_u32_e64 s[0:1], 0, v1
	v_cmp_eq_u32_e64 s[2:3], 0, v1
	s_and_saveexec_b64 s[4:5], s[2:3]
	s_cbranch_execz .LBB184_9
; %bb.5:
	s_cmp_lg_u32 s30, 0
	s_cselect_b64 s[10:11], -1, 0
	v_cmp_le_i32_e32 vcc, s30, v0
	v_mov_b32_e32 v2, 0x2380
	s_and_b64 s[10:11], s[10:11], vcc
	v_lshl_add_u32 v2, v0, 3, v2
	s_and_saveexec_b64 s[12:13], s[10:11]
	s_xor_b64 s[10:11], exec, s[12:13]
; %bb.6:
	v_mov_b32_e32 v3, 0
	v_mov_b32_e32 v4, v3
	ds_write_b64 v2, v[3:4]
                                        ; implicit-def: $vgpr2
; %bb.7:
	s_andn2_saveexec_b64 s[10:11], s[10:11]
	s_cbranch_execz .LBB184_9
; %bb.8:
	flat_load_dwordx2 v[3:4], v[18:19]
	s_waitcnt vmcnt(0) lgkmcnt(0)
	ds_write_b64 v2, v[3:4]
.LBB184_9:
	s_or_b64 exec, exec, s[4:5]
	v_lshl_add_u32 v24, v1, 6, v0
	v_and_b32_e32 v2, 31, v0
	v_lshrrev_b32_e32 v7, 5, v24
	v_mov_b32_e32 v3, 0
	v_mad_u64_u32 v[3:4], s[10:11], s24, v7, v[2:3]
	s_lshl_b64 s[4:5], s[14:15], 3
	s_add_u32 s8, s8, s4
	s_addc_u32 s9, s9, s5
	v_mad_u64_u32 v[4:5], s[4:5], s25, v7, v[4:5]
	s_ashr_i32 s35, s34, 31
	s_lshl_b64 s[4:5], s[34:35], 3
	s_add_u32 s4, s8, s4
	v_lshlrev_b64 v[20:21], 3, v[3:4]
	s_addc_u32 s5, s9, s5
	v_mov_b32_e32 v3, s5
	v_add_co_u32_e32 v4, vcc, s4, v20
	s_mul_hi_u32 s4, s24, s34
	s_mul_i32 s5, s24, s35
	s_add_i32 s4, s4, s5
	s_mul_i32 s5, s25, s34
	s_add_i32 s5, s4, s5
	s_mul_i32 s4, s24, s34
	v_addc_co_u32_e32 v5, vcc, v3, v21, vcc
	s_lshl_b64 s[36:37], s[4:5], 3
	v_mov_b32_e32 v6, s37
	v_add_co_u32_e32 v3, vcc, s36, v4
	s_cmp_lg_u32 s30, 0
	v_addc_co_u32_e32 v4, vcc, v5, v6, vcc
	s_cselect_b64 s[38:39], -1, 0
	s_cmp_eq_u32 s30, 0
	s_cselect_b64 s[16:17], -1, 0
	s_mov_b64 s[4:5], -1
	s_and_b64 vcc, exec, s[38:39]
	s_cbranch_vccnz .LBB184_11
; %bb.10:
	s_lshl_b64 s[4:5], s[24:25], 6
	v_mov_b32_e32 v11, s5
	v_add_co_u32_e32 v5, vcc, s4, v3
	v_addc_co_u32_e32 v6, vcc, v4, v11, vcc
	v_add_co_u32_e32 v8, vcc, s4, v5
	v_addc_co_u32_e32 v9, vcc, v6, v11, vcc
	;; [unrolled: 2-line block ×3, first 2 shown]
	flat_load_dwordx2 v[12:13], v[3:4]
	flat_load_dwordx2 v[14:15], v[5:6]
	;; [unrolled: 1-line block ×4, first 2 shown]
	v_mul_u32_u24_e32 v5, 0x108, v7
	v_lshl_add_u32 v5, v2, 3, v5
	s_mov_b64 s[4:5], 0
	s_waitcnt vmcnt(0) lgkmcnt(0)
	ds_write_b64 v5, v[12:13]
	ds_write_b64 v5, v[14:15] offset:2112
	ds_write_b64 v5, v[16:17] offset:4224
	;; [unrolled: 1-line block ×3, first 2 shown]
.LBB184_11:
	s_andn2_b64 vcc, exec, s[4:5]
	v_lshlrev_b32_e32 v8, 3, v2
	s_cbranch_vccnz .LBB184_29
; %bb.12:
	v_lshlrev_b32_e32 v9, 3, v2
	v_sub_co_u32_e32 v5, vcc, v3, v9
	s_ashr_i32 s31, s30, 31
	v_subbrev_co_u32_e32 v6, vcc, 0, v4, vcc
	s_lshl_b64 s[8:9], s[30:31], 3
	v_mov_b32_e32 v10, s9
	v_add_co_u32_e32 v5, vcc, s8, v5
	v_addc_co_u32_e32 v6, vcc, v6, v10, vcc
	v_add_co_u32_e32 v5, vcc, -8, v5
	v_addc_co_u32_e32 v6, vcc, -1, v6, vcc
	v_cmp_gt_i32_e32 vcc, s30, v2
	v_cndmask_b32_e32 v6, v6, v4, vcc
	v_cndmask_b32_e32 v5, v5, v3, vcc
	v_cmp_le_i32_e64 s[4:5], s30, v7
	v_mul_u32_u24_e32 v10, 0x108, v7
	s_and_saveexec_b64 s[10:11], s[4:5]
	s_xor_b64 s[4:5], exec, s[10:11]
; %bb.13:
	v_mov_b32_e32 v11, 0
	v_add_u32_e32 v13, v8, v10
	v_mov_b32_e32 v12, v11
	ds_write_b64 v13, v[11:12]
; %bb.14:
	s_andn2_saveexec_b64 s[4:5], s[4:5]
	s_cbranch_execz .LBB184_16
; %bb.15:
	flat_load_dwordx2 v[11:12], v[5:6]
	v_add_u32_e32 v13, v8, v10
	s_waitcnt vmcnt(0) lgkmcnt(0)
	ds_write_b64 v13, v[11:12]
.LBB184_16:
	s_or_b64 exec, exec, s[4:5]
	v_add_u32_e32 v11, 8, v7
	v_cmp_le_i32_e64 s[4:5], s30, v11
	s_and_saveexec_b64 s[10:11], s[4:5]
	s_xor_b64 s[4:5], exec, s[10:11]
; %bb.17:
	v_mov_b32_e32 v11, 0
	v_add_u32_e32 v13, v10, v8
	v_mov_b32_e32 v12, v11
	ds_write_b64 v13, v[11:12] offset:2112
; %bb.18:
	s_andn2_saveexec_b64 s[10:11], s[4:5]
	s_cbranch_execz .LBB184_20
; %bb.19:
	s_lshl_b64 s[4:5], s[24:25], 6
	v_mov_b32_e32 v12, s5
	v_add_co_u32_e64 v11, s[4:5], s4, v5
	v_addc_co_u32_e64 v12, s[4:5], v6, v12, s[4:5]
	flat_load_dwordx2 v[11:12], v[11:12]
	v_add_u32_e32 v13, v10, v8
	s_waitcnt vmcnt(0) lgkmcnt(0)
	ds_write_b64 v13, v[11:12] offset:2112
.LBB184_20:
	s_or_b64 exec, exec, s[10:11]
	v_add_u32_e32 v11, 16, v7
	v_cmp_le_i32_e64 s[4:5], s30, v11
	s_and_saveexec_b64 s[10:11], s[4:5]
	s_xor_b64 s[4:5], exec, s[10:11]
; %bb.21:
	v_mov_b32_e32 v11, 0
	v_add_u32_e32 v13, v10, v8
	v_mov_b32_e32 v12, v11
	ds_write_b64 v13, v[11:12] offset:4224
; %bb.22:
	s_andn2_saveexec_b64 s[10:11], s[4:5]
	s_cbranch_execz .LBB184_24
; %bb.23:
	s_lshl_b64 s[4:5], s[24:25], 7
	v_mov_b32_e32 v12, s5
	v_add_co_u32_e64 v11, s[4:5], s4, v5
	v_addc_co_u32_e64 v12, s[4:5], v6, v12, s[4:5]
	flat_load_dwordx2 v[11:12], v[11:12]
	v_add_u32_e32 v13, v10, v8
	s_waitcnt vmcnt(0) lgkmcnt(0)
	ds_write_b64 v13, v[11:12] offset:4224
.LBB184_24:
	s_or_b64 exec, exec, s[10:11]
	v_add_u32_e32 v11, 24, v7
	v_cmp_le_i32_e64 s[4:5], s30, v11
	s_and_saveexec_b64 s[10:11], s[4:5]
	s_xor_b64 s[4:5], exec, s[10:11]
; %bb.25:
	v_add_u32_e32 v12, v10, v8
	v_mov_b32_e32 v10, 0
	v_mov_b32_e32 v11, v10
	ds_write_b64 v12, v[10:11] offset:6336
                                        ; implicit-def: $vgpr10
; %bb.26:
	s_andn2_saveexec_b64 s[4:5], s[4:5]
	s_cbranch_execz .LBB184_28
; %bb.27:
	v_mov_b32_e32 v11, 0xc0
	v_mad_u64_u32 v[11:12], s[10:11], s24, v11, v[5:6]
	s_mul_i32 s10, s25, 0xc0
	v_add_u32_e32 v10, v10, v8
	v_add_u32_e32 v12, s10, v12
	flat_load_dwordx2 v[11:12], v[11:12]
	s_waitcnt vmcnt(0) lgkmcnt(0)
	ds_write_b64 v10, v[11:12] offset:6336
.LBB184_28:
	s_or_b64 exec, exec, s[4:5]
	v_add_co_u32_e64 v5, s[4:5], v5, v9
	v_addc_co_u32_e64 v6, s[4:5], 0, v6, s[4:5]
	v_mov_b32_e32 v9, s9
	v_subrev_co_u32_e64 v5, s[4:5], s8, v5
	v_subb_co_u32_e64 v6, s[4:5], v6, v9, s[4:5]
	v_add_co_u32_e64 v5, s[4:5], 8, v5
	v_addc_co_u32_e64 v6, s[4:5], 0, v6, s[4:5]
	v_cndmask_b32_e32 v4, v6, v4, vcc
	v_cndmask_b32_e32 v3, v5, v3, vcc
.LBB184_29:
	v_lshlrev_b32_e32 v5, 2, v7
	v_lshl_or_b32 v6, v2, 8, v8
	v_cmp_lt_u32_e64 s[18:19], v5, v2
	s_waitcnt lgkmcnt(0)
	s_barrier
	s_and_saveexec_b64 s[4:5], s[18:19]
	s_cbranch_execz .LBB184_31
; %bb.30:
	s_movk_i32 s8, 0x420
	v_mad_u32_u24 v9, v7, s8, v8
	ds_read_b64 v[9:10], v9
	v_lshl_add_u32 v11, v5, 3, v6
	s_waitcnt lgkmcnt(0)
	ds_write_b64 v11, v[9:10]
.LBB184_31:
	s_or_b64 exec, exec, s[4:5]
	v_or_b32_e32 v9, 1, v5
	v_cmp_lt_u32_e64 s[8:9], v9, v2
	s_and_saveexec_b64 s[4:5], s[8:9]
	s_cbranch_execz .LBB184_33
; %bb.32:
	s_movk_i32 s10, 0x108
	v_mad_u32_u24 v10, v9, s10, v8
	ds_read_b64 v[10:11], v10
	v_lshl_add_u32 v12, v5, 3, v6
	s_waitcnt lgkmcnt(0)
	ds_write_b64 v12, v[10:11] offset:8
.LBB184_33:
	s_or_b64 exec, exec, s[4:5]
	v_or_b32_e32 v10, 2, v5
	v_cmp_lt_u32_e64 s[10:11], v10, v2
	s_and_saveexec_b64 s[4:5], s[10:11]
	s_cbranch_execz .LBB184_35
; %bb.34:
	s_movk_i32 s12, 0x108
	v_mad_u32_u24 v10, v10, s12, v8
	ds_read_b64 v[10:11], v10
	v_lshl_add_u32 v12, v5, 3, v6
	s_waitcnt lgkmcnt(0)
	ds_write_b64 v12, v[10:11] offset:16
.LBB184_35:
	s_or_b64 exec, exec, s[4:5]
	v_or_b32_e32 v11, 3, v5
	v_cmp_lt_u32_e64 s[12:13], v11, v2
	v_cmp_ge_u32_e32 vcc, v11, v2
                                        ; implicit-def: $vgpr10
	s_and_saveexec_b64 s[4:5], vcc
	s_xor_b64 s[4:5], exec, s[4:5]
; %bb.36:
	v_mul_u32_u24_e32 v10, 0x108, v11
                                        ; implicit-def: $vgpr6
                                        ; implicit-def: $vgpr11
; %bb.37:
	s_andn2_saveexec_b64 s[4:5], s[4:5]
	s_cbranch_execz .LBB184_39
; %bb.38:
	s_movk_i32 s14, 0x108
	v_mad_u32_u24 v10, v11, s14, v8
	ds_read_b64 v[12:13], v10
	v_lshl_add_u32 v6, v5, 3, v6
	v_mul_u32_u24_e32 v10, 0x108, v11
	s_waitcnt lgkmcnt(0)
	ds_write_b64 v6, v[12:13] offset:24
.LBB184_39:
	s_or_b64 exec, exec, s[4:5]
	s_movk_i32 s4, 0x420
	v_mad_u32_u24 v11, v7, s4, v8
	s_waitcnt lgkmcnt(0)
	s_barrier
	v_lshlrev_b32_e32 v6, 3, v5
	ds_read_b64 v[15:16], v11
	ds_read_b128 v[11:14], v6 offset:9088
	ds_read_b128 v[25:28], v6 offset:9104
	s_movk_i32 s4, 0x108
	v_mov_b32_e32 v36, 0
	v_mov_b32_e32 v37, 0
	s_waitcnt lgkmcnt(1)
	v_mul_f32_e32 v17, v12, v16
	v_fma_f32 v17, v11, v15, -v17
	v_mul_f32_e32 v11, v11, v16
	v_mad_u32_u24 v16, v9, s4, v8
	ds_read2_b64 v[29:32], v16 offset1:33
	v_fmac_f32_e32 v11, v12, v15
	v_add_f32_e32 v12, 0, v17
	v_add_f32_e32 v11, 0, v11
	v_cmp_gt_u32_e64 s[4:5], 32, v24
	s_waitcnt lgkmcnt(0)
	v_mul_f32_e32 v15, v14, v30
	v_fma_f32 v15, v13, v29, -v15
	v_mul_f32_e32 v13, v13, v30
	v_fmac_f32_e32 v13, v14, v29
	v_add_f32_e32 v14, v12, v15
	v_add_u32_e32 v12, v8, v10
	v_add_f32_e32 v13, v11, v13
	ds_read_b64 v[10:11], v12
	v_mul_f32_e32 v15, v26, v32
	v_fma_f32 v15, v25, v31, -v15
	v_mul_f32_e32 v16, v25, v32
	v_fmac_f32_e32 v16, v26, v31
	v_add_f32_e32 v14, v14, v15
	s_waitcnt lgkmcnt(0)
	v_mul_f32_e32 v15, v28, v11
	v_mul_f32_e32 v11, v27, v11
	v_add_f32_e32 v13, v13, v16
	v_fmac_f32_e32 v11, v28, v10
	v_add_f32_e32 v11, v13, v11
	v_mul_u32_u24_e32 v13, 33, v2
	v_fma_f32 v15, v27, v10, -v15
	v_lshlrev_b32_e32 v25, 3, v13
	v_add_f32_e32 v10, v14, v15
	v_lshl_add_u32 v26, v7, 3, v25
	s_barrier
	ds_write_b64 v26, v[10:11]
	s_waitcnt lgkmcnt(0)
	s_barrier
	s_and_saveexec_b64 s[14:15], s[4:5]
	s_cbranch_execz .LBB184_41
; %bb.40:
	ds_read2_b64 v[13:16], v25 offset1:7
	ds_read2_b64 v[27:30], v25 offset0:1 offset1:2
	ds_read2_b64 v[36:39], v25 offset0:3 offset1:4
	s_waitcnt lgkmcnt(1)
	v_add_f32_e32 v10, v27, v13
	v_add_f32_e32 v11, v28, v14
	;; [unrolled: 1-line block ×4, first 2 shown]
	ds_read2_b64 v[27:30], v25 offset0:5 offset1:6
	s_waitcnt lgkmcnt(1)
	v_add_f32_e32 v10, v10, v36
	v_add_f32_e32 v11, v11, v37
	;; [unrolled: 1-line block ×4, first 2 shown]
	s_waitcnt lgkmcnt(0)
	v_add_f32_e32 v10, v10, v27
	v_add_f32_e32 v11, v11, v28
	;; [unrolled: 1-line block ×6, first 2 shown]
.LBB184_41:
	s_or_b64 exec, exec, s[14:15]
	s_lshl_b64 s[22:23], s[24:25], 8
	v_mov_b32_e32 v10, s23
	v_add_co_u32_e32 v3, vcc, s22, v3
	v_addc_co_u32_e32 v4, vcc, v4, v10, vcc
	v_add_co_u32_e32 v10, vcc, 0x100, v3
	v_addc_co_u32_e32 v11, vcc, 0, v4, vcc
	v_cndmask_b32_e64 v13, 0, 1, s[16:17]
	v_cmp_ne_u32_e64 s[14:15], 1, v13
	s_andn2_b64 vcc, exec, s[16:17]
	s_mov_b64 s[16:17], -1
	s_barrier
	s_cbranch_vccnz .LBB184_43
; %bb.42:
	s_lshl_b64 s[16:17], s[24:25], 6
	v_mov_b32_e32 v17, s17
	v_add_co_u32_e32 v13, vcc, s16, v3
	v_addc_co_u32_e32 v14, vcc, v4, v17, vcc
	v_add_co_u32_e32 v15, vcc, s16, v13
	v_addc_co_u32_e32 v16, vcc, v14, v17, vcc
	;; [unrolled: 2-line block ×3, first 2 shown]
	flat_load_dwordx2 v[27:28], v[3:4] offset:256
	flat_load_dwordx2 v[29:30], v[13:14] offset:256
	;; [unrolled: 1-line block ×4, first 2 shown]
	s_movk_i32 s16, 0x108
	v_mad_u32_u24 v13, v7, s16, v8
	s_mov_b64 s[16:17], 0
	s_waitcnt vmcnt(0) lgkmcnt(0)
	ds_write_b64 v13, v[27:28]
	ds_write_b64 v13, v[29:30] offset:2112
	ds_write_b64 v13, v[31:32] offset:4224
	;; [unrolled: 1-line block ×3, first 2 shown]
.LBB184_43:
	s_andn2_b64 vcc, exec, s[16:17]
	s_cbranch_vccnz .LBB184_61
; %bb.44:
	v_lshlrev_b32_e32 v13, 3, v2
	v_sub_co_u32_e32 v3, vcc, v3, v13
	s_ashr_i32 s31, s30, 31
	v_subbrev_co_u32_e32 v4, vcc, 0, v4, vcc
	s_lshl_b64 s[40:41], s[30:31], 3
	v_mov_b32_e32 v15, s41
	v_add_co_u32_e32 v3, vcc, s40, v3
	v_addc_co_u32_e32 v4, vcc, v4, v15, vcc
	v_or_b32_e32 v14, 32, v2
	v_add_co_u32_e32 v3, vcc, -8, v3
	v_addc_co_u32_e32 v4, vcc, -1, v4, vcc
	v_cmp_gt_i32_e64 s[16:17], s30, v14
	s_sub_i32 s31, s30, 32
	v_cndmask_b32_e64 v4, v4, v11, s[16:17]
	v_cndmask_b32_e64 v3, v3, v10, s[16:17]
	v_cmp_le_i32_e32 vcc, s31, v7
	v_mul_u32_u24_e32 v14, 0x108, v7
	s_and_saveexec_b64 s[42:43], vcc
	s_xor_b64 s[42:43], exec, s[42:43]
; %bb.45:
	v_mov_b32_e32 v15, 0
	v_add_u32_e32 v17, v8, v14
	v_mov_b32_e32 v16, v15
	ds_write_b64 v17, v[15:16]
; %bb.46:
	s_andn2_saveexec_b64 s[42:43], s[42:43]
	s_cbranch_execz .LBB184_48
; %bb.47:
	flat_load_dwordx2 v[15:16], v[3:4]
	v_add_u32_e32 v17, v8, v14
	s_waitcnt vmcnt(0) lgkmcnt(0)
	ds_write_b64 v17, v[15:16]
.LBB184_48:
	s_or_b64 exec, exec, s[42:43]
	v_add_u32_e32 v15, 8, v7
	v_cmp_le_i32_e32 vcc, s31, v15
	s_and_saveexec_b64 s[42:43], vcc
	s_xor_b64 s[42:43], exec, s[42:43]
; %bb.49:
	v_mov_b32_e32 v15, 0
	v_add_u32_e32 v17, v14, v8
	v_mov_b32_e32 v16, v15
	ds_write_b64 v17, v[15:16] offset:2112
; %bb.50:
	s_andn2_saveexec_b64 s[42:43], s[42:43]
	s_cbranch_execz .LBB184_52
; %bb.51:
	s_lshl_b64 s[44:45], s[24:25], 6
	v_mov_b32_e32 v16, s45
	v_add_co_u32_e32 v15, vcc, s44, v3
	v_addc_co_u32_e32 v16, vcc, v4, v16, vcc
	flat_load_dwordx2 v[15:16], v[15:16]
	v_add_u32_e32 v17, v14, v8
	s_waitcnt vmcnt(0) lgkmcnt(0)
	ds_write_b64 v17, v[15:16] offset:2112
.LBB184_52:
	s_or_b64 exec, exec, s[42:43]
	v_add_u32_e32 v15, 16, v7
	v_cmp_le_i32_e32 vcc, s31, v15
	s_and_saveexec_b64 s[42:43], vcc
	s_xor_b64 s[42:43], exec, s[42:43]
; %bb.53:
	v_mov_b32_e32 v15, 0
	v_add_u32_e32 v17, v14, v8
	v_mov_b32_e32 v16, v15
	ds_write_b64 v17, v[15:16] offset:4224
; %bb.54:
	s_andn2_saveexec_b64 s[42:43], s[42:43]
	s_cbranch_execz .LBB184_56
; %bb.55:
	s_lshl_b64 s[44:45], s[24:25], 7
	v_mov_b32_e32 v16, s45
	v_add_co_u32_e32 v15, vcc, s44, v3
	v_addc_co_u32_e32 v16, vcc, v4, v16, vcc
	flat_load_dwordx2 v[15:16], v[15:16]
	v_add_u32_e32 v17, v14, v8
	s_waitcnt vmcnt(0) lgkmcnt(0)
	ds_write_b64 v17, v[15:16] offset:4224
.LBB184_56:
	s_or_b64 exec, exec, s[42:43]
	v_add_u32_e32 v15, 24, v7
	v_cmp_le_i32_e32 vcc, s31, v15
	s_and_saveexec_b64 s[42:43], vcc
	s_xor_b64 s[42:43], exec, s[42:43]
; %bb.57:
	v_add_u32_e32 v16, v14, v8
	v_mov_b32_e32 v14, 0
	v_mov_b32_e32 v15, v14
	ds_write_b64 v16, v[14:15] offset:6336
                                        ; implicit-def: $vgpr14
; %bb.58:
	s_andn2_saveexec_b64 s[42:43], s[42:43]
	s_cbranch_execz .LBB184_60
; %bb.59:
	v_mov_b32_e32 v15, 0xc0
	v_mad_u64_u32 v[15:16], s[44:45], s24, v15, v[3:4]
	s_mul_i32 s31, s25, 0xc0
	v_add_u32_e32 v14, v14, v8
	v_add_u32_e32 v16, s31, v16
	flat_load_dwordx2 v[15:16], v[15:16]
	s_waitcnt vmcnt(0) lgkmcnt(0)
	ds_write_b64 v14, v[15:16] offset:6336
.LBB184_60:
	s_or_b64 exec, exec, s[42:43]
	v_add_co_u32_e32 v3, vcc, v3, v13
	v_addc_co_u32_e32 v4, vcc, 0, v4, vcc
	v_mov_b32_e32 v13, s41
	v_subrev_co_u32_e32 v3, vcc, s40, v3
	v_subb_co_u32_e32 v4, vcc, v4, v13, vcc
	v_add_co_u32_e32 v3, vcc, 0x108, v3
	v_addc_co_u32_e32 v4, vcc, 0, v4, vcc
	v_cndmask_b32_e64 v11, v4, v11, s[16:17]
	v_cndmask_b32_e64 v10, v3, v10, s[16:17]
.LBB184_61:
	v_mul_u32_u24_e32 v4, 0x420, v7
	v_add_u32_e32 v6, 0x2380, v6
	v_mul_u32_u24_e32 v3, 0x108, v9
	s_lshl_b64 s[16:17], s[24:25], 5
	v_add_u32_e32 v4, v8, v4
	s_waitcnt lgkmcnt(0)
	s_barrier
	s_and_saveexec_b64 s[40:41], s[18:19]
	s_cbranch_execnz .LBB184_70
; %bb.62:
	s_or_b64 exec, exec, s[40:41]
	v_add_u32_e32 v3, v8, v3
	s_and_saveexec_b64 s[18:19], s[8:9]
	s_cbranch_execnz .LBB184_71
.LBB184_63:
	s_or_b64 exec, exec, s[18:19]
	s_and_saveexec_b64 s[8:9], s[10:11]
	s_cbranch_execnz .LBB184_72
.LBB184_64:
	s_or_b64 exec, exec, s[8:9]
	s_and_saveexec_b64 s[8:9], s[12:13]
	s_cbranch_execz .LBB184_66
.LBB184_65:
	ds_read_b64 v[13:14], v12
	v_lshl_add_u32 v9, v5, 3, v25
	s_waitcnt lgkmcnt(0)
	ds_write_b64 v9, v[13:14] offset:24
.LBB184_66:
	s_or_b64 exec, exec, s[8:9]
	s_waitcnt lgkmcnt(0)
	s_barrier
	ds_read_b64 v[22:23], v4
	ds_read_b128 v[13:16], v6 offset:256
	ds_read_b128 v[27:30], v6 offset:272
	ds_read_b64 v[31:32], v12
	ds_read2_b64 v[38:41], v3 offset1:33
	v_cmp_eq_u32_e64 s[10:11], 1, v7
	s_waitcnt lgkmcnt(3)
	v_mul_f32_e32 v4, v14, v23
	v_mul_f32_e32 v3, v13, v23
	v_fma_f32 v4, v13, v22, -v4
	v_fmac_f32_e32 v3, v14, v22
	s_waitcnt lgkmcnt(0)
	v_mul_f32_e32 v9, v16, v39
	v_mul_f32_e32 v12, v15, v39
	v_add_f32_e32 v4, 0, v4
	v_add_f32_e32 v3, 0, v3
	v_fma_f32 v9, v15, v38, -v9
	v_fmac_f32_e32 v12, v16, v38
	v_add_f32_e32 v4, v4, v9
	v_add_f32_e32 v3, v3, v12
	v_mul_f32_e32 v9, v28, v41
	v_mul_f32_e32 v12, v27, v41
	v_fma_f32 v9, v27, v40, -v9
	v_fmac_f32_e32 v12, v28, v40
	v_add_f32_e32 v4, v4, v9
	v_add_f32_e32 v9, v3, v12
	v_mul_f32_e32 v3, v30, v32
	v_mul_f32_e32 v12, v29, v32
	v_fma_f32 v3, v29, v31, -v3
	v_fmac_f32_e32 v12, v30, v31
	v_add_f32_e32 v3, v4, v3
	v_add_f32_e32 v4, v9, v12
	s_barrier
	ds_write_b64 v26, v[3:4]
	s_waitcnt lgkmcnt(0)
	s_barrier
	s_and_saveexec_b64 s[8:9], s[10:11]
	s_cbranch_execz .LBB184_68
; %bb.67:
	ds_read2_b64 v[12:15], v25 offset1:7
	ds_read2_b64 v[27:30], v25 offset0:1 offset1:2
	ds_read2_b64 v[36:39], v25 offset0:3 offset1:4
	s_waitcnt lgkmcnt(1)
	v_add_f32_e32 v3, v27, v12
	v_add_f32_e32 v4, v28, v13
	;; [unrolled: 1-line block ×4, first 2 shown]
	ds_read2_b64 v[27:30], v25 offset0:5 offset1:6
	s_waitcnt lgkmcnt(1)
	v_add_f32_e32 v3, v3, v36
	v_add_f32_e32 v4, v4, v37
	;; [unrolled: 1-line block ×4, first 2 shown]
	s_waitcnt lgkmcnt(0)
	v_add_f32_e32 v3, v3, v27
	v_add_f32_e32 v4, v4, v28
	v_add_f32_e32 v3, v3, v29
	v_add_f32_e32 v4, v4, v30
	v_add_f32_e32 v36, v3, v14
	v_add_f32_e32 v37, v4, v15
.LBB184_68:
	s_or_b64 exec, exec, s[8:9]
	s_lshl_b64 s[8:9], s[16:17], 3
	v_mov_b32_e32 v3, s9
	v_subrev_co_u32_e64 v22, s[8:9], s8, v10
	s_and_b64 vcc, exec, s[14:15]
	v_subb_co_u32_e64 v23, s[8:9], v11, v3, s[8:9]
	s_barrier
	s_cbranch_vccnz .LBB184_73
; %bb.69:
	s_lshl_b64 s[8:9], s[24:25], 6
	v_mov_b32_e32 v12, s9
	v_add_co_u32_e32 v3, vcc, s8, v22
	v_addc_co_u32_e32 v4, vcc, v23, v12, vcc
	v_add_co_u32_e32 v9, vcc, s8, v3
	v_addc_co_u32_e32 v10, vcc, v4, v12, vcc
	;; [unrolled: 2-line block ×3, first 2 shown]
	flat_load_dwordx2 v[14:15], v[22:23]
	flat_load_dwordx2 v[16:17], v[3:4]
	;; [unrolled: 1-line block ×4, first 2 shown]
	s_movk_i32 s8, 0x108
	v_mov_b32_e32 v3, 0x840
	v_mov_b32_e32 v13, 0x1080
	;; [unrolled: 1-line block ×3, first 2 shown]
	v_mul_u32_u24_e32 v9, 0x108, v7
	v_add_u32_e32 v10, 8, v7
	v_add_u32_e32 v11, 16, v7
	;; [unrolled: 1-line block ×3, first 2 shown]
	v_mad_u32_u24 v32, v7, s8, v8
	v_mad_u32_u24 v4, v7, s8, v3
	;; [unrolled: 1-line block ×4, first 2 shown]
	v_add_u32_e32 v31, v8, v4
	v_add_u32_e32 v33, v8, v3
	v_add_u32_e32 v38, v8, v13
	s_waitcnt vmcnt(0) lgkmcnt(0)
	ds_write_b64 v32, v[14:15]
	ds_write_b64 v31, v[16:17]
	;; [unrolled: 1-line block ×4, first 2 shown]
	s_cbranch_execz .LBB184_74
	s_branch .LBB184_91
.LBB184_70:
	ds_read_b64 v[13:14], v4
	v_lshl_add_u32 v9, v5, 3, v25
	s_waitcnt lgkmcnt(0)
	ds_write_b64 v9, v[13:14]
	s_or_b64 exec, exec, s[40:41]
	v_add_u32_e32 v3, v8, v3
	s_and_saveexec_b64 s[18:19], s[8:9]
	s_cbranch_execz .LBB184_63
.LBB184_71:
	ds_read_b64 v[13:14], v3
	v_lshl_add_u32 v9, v5, 3, v25
	s_waitcnt lgkmcnt(0)
	ds_write_b64 v9, v[13:14] offset:8
	s_or_b64 exec, exec, s[18:19]
	s_and_saveexec_b64 s[8:9], s[10:11]
	s_cbranch_execz .LBB184_64
.LBB184_72:
	ds_read_b64 v[13:14], v3 offset:264
	v_lshl_add_u32 v9, v5, 3, v25
	s_waitcnt lgkmcnt(0)
	ds_write_b64 v9, v[13:14] offset:16
	s_or_b64 exec, exec, s[8:9]
	s_and_saveexec_b64 s[8:9], s[12:13]
	s_cbranch_execnz .LBB184_65
	s_branch .LBB184_66
.LBB184_73:
                                        ; implicit-def: $vgpr9
                                        ; implicit-def: $vgpr10
                                        ; implicit-def: $vgpr4
                                        ; implicit-def: $vgpr11
                                        ; implicit-def: $vgpr3
                                        ; implicit-def: $vgpr12
                                        ; implicit-def: $vgpr13
.LBB184_74:
	v_or_b32_e32 v3, 32, v2
	v_lshlrev_b32_e32 v4, 3, v3
	v_sub_co_u32_e32 v4, vcc, v22, v4
	s_ashr_i32 s31, s30, 31
	v_subbrev_co_u32_e32 v9, vcc, 0, v23, vcc
	s_lshl_b64 s[12:13], s[30:31], 3
	v_mov_b32_e32 v10, s13
	v_add_co_u32_e32 v4, vcc, s12, v4
	v_addc_co_u32_e32 v9, vcc, v9, v10, vcc
	v_add_co_u32_e32 v10, vcc, -8, v4
	v_addc_co_u32_e32 v4, vcc, -1, v9, vcc
	v_cmp_gt_i32_e64 s[8:9], s30, v3
	v_cndmask_b32_e64 v4, v4, v23, s[8:9]
	v_cndmask_b32_e64 v3, v10, v22, s[8:9]
	v_cmp_le_i32_e32 vcc, s30, v7
	v_mul_u32_u24_e32 v9, 0x108, v7
	s_and_saveexec_b64 s[14:15], vcc
	s_xor_b64 s[14:15], exec, s[14:15]
; %bb.75:
	v_mov_b32_e32 v10, 0
	v_add_u32_e32 v12, v8, v9
	v_mov_b32_e32 v11, v10
	ds_write_b64 v12, v[10:11]
; %bb.76:
	s_andn2_saveexec_b64 s[14:15], s[14:15]
	s_cbranch_execz .LBB184_78
; %bb.77:
	flat_load_dwordx2 v[10:11], v[3:4]
	v_add_u32_e32 v12, v8, v9
	s_waitcnt vmcnt(0) lgkmcnt(0)
	ds_write_b64 v12, v[10:11]
.LBB184_78:
	s_or_b64 exec, exec, s[14:15]
	v_add_u32_e32 v10, 8, v7
	v_cmp_le_i32_e32 vcc, s30, v10
	s_and_saveexec_b64 s[14:15], vcc
	s_xor_b64 s[14:15], exec, s[14:15]
; %bb.79:
	v_mov_b32_e32 v11, 0
	v_add_u32_e32 v13, v9, v8
	v_mov_b32_e32 v12, v11
	ds_write_b64 v13, v[11:12] offset:2112
; %bb.80:
	s_andn2_saveexec_b64 s[14:15], s[14:15]
	s_cbranch_execz .LBB184_82
; %bb.81:
	s_lshl_b64 s[16:17], s[24:25], 6
	v_mov_b32_e32 v12, s17
	v_add_co_u32_e32 v11, vcc, s16, v3
	v_addc_co_u32_e32 v12, vcc, v4, v12, vcc
	flat_load_dwordx2 v[11:12], v[11:12]
	v_add_u32_e32 v13, v9, v8
	s_waitcnt vmcnt(0) lgkmcnt(0)
	ds_write_b64 v13, v[11:12] offset:2112
.LBB184_82:
	s_or_b64 exec, exec, s[14:15]
	v_add_u32_e32 v11, 16, v7
	v_cmp_le_i32_e32 vcc, s30, v11
	s_and_saveexec_b64 s[14:15], vcc
	s_xor_b64 s[14:15], exec, s[14:15]
; %bb.83:
	v_mov_b32_e32 v12, 0
	v_add_u32_e32 v14, v9, v8
	v_mov_b32_e32 v13, v12
	ds_write_b64 v14, v[12:13] offset:4224
; %bb.84:
	s_andn2_saveexec_b64 s[14:15], s[14:15]
	s_cbranch_execz .LBB184_86
; %bb.85:
	s_lshl_b64 s[16:17], s[24:25], 7
	v_mov_b32_e32 v13, s17
	v_add_co_u32_e32 v12, vcc, s16, v3
	v_addc_co_u32_e32 v13, vcc, v4, v13, vcc
	flat_load_dwordx2 v[12:13], v[12:13]
	v_add_u32_e32 v14, v9, v8
	s_waitcnt vmcnt(0) lgkmcnt(0)
	ds_write_b64 v14, v[12:13] offset:4224
.LBB184_86:
	s_or_b64 exec, exec, s[14:15]
	v_add_u32_e32 v12, 24, v7
	v_cmp_le_i32_e32 vcc, s30, v12
                                        ; implicit-def: $vgpr13
	s_and_saveexec_b64 s[14:15], vcc
	s_xor_b64 s[14:15], exec, s[14:15]
; %bb.87:
	v_add_u32_e32 v13, 0x18c0, v9
	v_mov_b32_e32 v14, 0
	v_add_u32_e32 v16, v8, v13
	v_mov_b32_e32 v15, v14
	ds_write_b64 v16, v[14:15]
; %bb.88:
	s_andn2_saveexec_b64 s[14:15], s[14:15]
	s_cbranch_execz .LBB184_90
; %bb.89:
	v_mov_b32_e32 v13, 0xc0
	v_mad_u64_u32 v[13:14], s[16:17], s24, v13, v[3:4]
	s_mul_i32 s16, s25, 0xc0
	v_add_u32_e32 v14, s16, v14
	flat_load_dwordx2 v[14:15], v[13:14]
	v_add_u32_e32 v13, 0x18c0, v9
	v_add_u32_e32 v16, v8, v13
	s_waitcnt vmcnt(0) lgkmcnt(0)
	ds_write_b64 v16, v[14:15]
.LBB184_90:
	s_or_b64 exec, exec, s[14:15]
	v_lshlrev_b32_e32 v2, 3, v2
	v_add_co_u32_e32 v2, vcc, v3, v2
	v_addc_co_u32_e32 v3, vcc, 0, v4, vcc
	v_mov_b32_e32 v4, s13
	v_subrev_co_u32_e32 v2, vcc, s12, v2
	v_subb_co_u32_e32 v3, vcc, v3, v4, vcc
	v_add_co_u32_e32 v2, vcc, 0x108, v2
	v_addc_co_u32_e32 v3, vcc, 0, v3, vcc
	v_cndmask_b32_e64 v23, v3, v23, s[8:9]
	v_cndmask_b32_e64 v22, v2, v22, s[8:9]
	v_add_u32_e32 v4, 0x840, v9
	v_add_u32_e32 v3, 0x1080, v9
.LBB184_91:
	v_add_u32_e32 v2, v8, v9
	s_waitcnt lgkmcnt(0)
	s_barrier
	v_lshlrev_b32_e32 v7, 3, v7
	ds_read_b64 v[14:15], v2
	ds_read_b64 v[16:17], v7 offset:9088
	v_add_u32_e32 v2, v8, v4
	v_lshlrev_b32_e32 v4, 3, v10
	ds_read_b64 v[27:28], v2
	ds_read_b64 v[29:30], v4 offset:9088
	v_add_u32_e32 v3, v8, v3
	;; [unrolled: 4-line block ×3, first 2 shown]
	v_lshlrev_b32_e32 v7, 3, v12
	ds_read2_b32 v[40:41], v3 offset1:1
	ds_read_b64 v[42:43], v7 offset:9088
	s_waitcnt lgkmcnt(6)
	v_mul_f32_e32 v2, v17, v15
	v_fma_f32 v2, v16, v14, -v2
	s_waitcnt lgkmcnt(4)
	v_mul_f32_e32 v4, v30, v28
	v_add_f32_e32 v2, 0, v2
	v_fma_f32 v4, v29, v27, -v4
	s_waitcnt lgkmcnt(2)
	v_mul_f32_e32 v3, v39, v32
	v_add_f32_e32 v2, v2, v4
	v_fma_f32 v3, v38, v31, -v3
	v_mul_f32_e32 v33, v16, v15
	v_add_f32_e32 v2, v2, v3
	s_waitcnt lgkmcnt(0)
	v_mul_f32_e32 v3, v43, v41
	v_fmac_f32_e32 v33, v17, v14
	v_mul_f32_e32 v28, v29, v28
	v_fma_f32 v3, v42, v40, -v3
	v_lshl_add_u32 v7, v5, 3, v25
	v_add_f32_e32 v33, 0, v33
	v_fmac_f32_e32 v28, v30, v27
	v_add_f32_e32 v44, v2, v3
	ds_read_b128 v[10:13], v6 offset:256
	ds_read_b128 v[2:5], v6 offset:272
	ds_read2_b64 v[14:17], v7 offset1:1
	ds_read2_b64 v[6:9], v7 offset0:2 offset1:3
	v_add_f32_e32 v27, v33, v28
	v_mul_f32_e32 v28, v38, v32
	v_fmac_f32_e32 v28, v39, v31
	v_add_f32_e32 v27, v27, v28
	v_mul_f32_e32 v28, v42, v41
	v_fmac_f32_e32 v28, v43, v40
	v_add_f32_e32 v45, v27, v28
	s_waitcnt lgkmcnt(0)
	s_barrier
	ds_write_b64 v26, v[44:45]
	s_waitcnt lgkmcnt(0)
	s_barrier
	s_and_saveexec_b64 s[8:9], s[10:11]
	s_cbranch_execz .LBB184_93
; %bb.92:
	ds_read2_b64 v[27:30], v25 offset1:1
	ds_read2_b64 v[38:41], v25 offset0:2 offset1:3
	ds_read2_b64 v[42:45], v25 offset0:4 offset1:5
	s_waitcnt lgkmcnt(2)
	v_add_f32_e32 v27, v36, v27
	v_add_f32_e32 v28, v37, v28
	;; [unrolled: 1-line block ×4, first 2 shown]
	s_waitcnt lgkmcnt(1)
	v_add_f32_e32 v27, v27, v38
	v_add_f32_e32 v28, v28, v39
	;; [unrolled: 1-line block ×4, first 2 shown]
	ds_read2_b64 v[27:30], v25 offset0:6 offset1:7
	s_waitcnt lgkmcnt(1)
	v_add_f32_e32 v31, v31, v42
	v_add_f32_e32 v32, v32, v43
	;; [unrolled: 1-line block ×4, first 2 shown]
	s_waitcnt lgkmcnt(0)
	v_add_f32_e32 v27, v31, v27
	v_add_f32_e32 v28, v32, v28
	;; [unrolled: 1-line block ×4, first 2 shown]
.LBB184_93:
	s_or_b64 exec, exec, s[8:9]
	v_mul_f32_e32 v27, v11, v15
	v_fma_f32 v27, v10, v14, -v27
	v_mul_f32_e32 v10, v10, v15
	v_fmac_f32_e32 v10, v11, v14
	v_mul_f32_e32 v14, v13, v17
	v_fma_f32 v14, v12, v16, -v14
	v_mul_f32_e32 v12, v12, v17
	v_add_f32_e32 v10, 0, v10
	v_fmac_f32_e32 v12, v13, v16
	v_add_f32_e32 v10, v10, v12
	v_mul_f32_e32 v12, v3, v7
	v_fma_f32 v12, v2, v6, -v12
	v_mul_f32_e32 v2, v2, v7
	v_fmac_f32_e32 v2, v3, v6
	v_add_f32_e32 v11, 0, v27
	v_add_f32_e32 v6, v10, v2
	v_mul_f32_e32 v2, v5, v9
	v_add_f32_e32 v11, v11, v14
	v_fma_f32 v2, v4, v8, -v2
	v_mul_f32_e32 v4, v4, v9
	v_add_f32_e32 v3, v11, v12
	v_fmac_f32_e32 v4, v5, v8
	v_add_f32_e32 v2, v3, v2
	v_add_f32_e32 v3, v6, v4
	s_barrier
	ds_write_b64 v26, v[2:3]
	s_waitcnt lgkmcnt(0)
	s_barrier
	s_and_saveexec_b64 s[8:9], s[4:5]
	s_cbranch_execz .LBB184_95
; %bb.94:
	ds_read2_b64 v[2:5], v25 offset1:1
	ds_read2_b64 v[6:9], v25 offset0:2 offset1:3
	ds_read2_b64 v[10:13], v25 offset0:4 offset1:5
	s_waitcnt lgkmcnt(2)
	v_add_f32_e32 v2, v36, v2
	v_add_f32_e32 v3, v37, v3
	;; [unrolled: 1-line block ×4, first 2 shown]
	s_waitcnt lgkmcnt(1)
	v_add_f32_e32 v2, v2, v6
	v_add_f32_e32 v3, v3, v7
	;; [unrolled: 1-line block ×4, first 2 shown]
	ds_read2_b64 v[2:5], v25 offset0:6 offset1:7
	s_waitcnt lgkmcnt(1)
	v_add_f32_e32 v6, v6, v10
	v_add_f32_e32 v7, v7, v11
	;; [unrolled: 1-line block ×4, first 2 shown]
	s_waitcnt lgkmcnt(0)
	v_add_f32_e32 v2, v6, v2
	v_add_f32_e32 v3, v7, v3
	;; [unrolled: 1-line block ×4, first 2 shown]
.LBB184_95:
	s_or_b64 exec, exec, s[8:9]
	s_mul_hi_u32 s4, s27, s26
	s_mul_i32 s33, s33, s26
	s_add_i32 s4, s4, s33
	s_mul_i32 s8, s27, s26
	s_mul_i32 s4, s4, s7
	s_mul_hi_u32 s5, s8, s7
	s_add_i32 s5, s5, s4
	s_mul_i32 s4, s8, s7
	s_lshl_b64 s[4:5], s[4:5], 3
	s_add_u32 s7, s28, s4
	s_mul_i32 s4, s27, s6
	s_addc_u32 s8, s29, s5
	s_ashr_i32 s5, s4, 31
	s_lshl_b64 s[4:5], s[4:5], 3
	s_add_u32 s7, s7, s4
	v_cmp_le_i32_e32 vcc, s30, v0
	s_addc_u32 s26, s8, s5
	s_and_b64 vcc, s[38:39], vcc
	s_cmp_lt_i32 s6, 1
	v_lshlrev_b32_e32 v74, 3, v0
	s_barrier
	s_cbranch_scc1 .LBB184_102
; %bb.96:
	s_mul_i32 s4, s20, s35
	s_mul_hi_u32 s5, s20, s34
	s_add_i32 s4, s5, s4
	s_mul_i32 s5, s21, s34
	s_add_i32 s5, s4, s5
	s_mul_i32 s4, s20, s34
	s_lshl_b64 s[4:5], s[4:5], 3
	v_mov_b32_e32 v2, s5
	v_subrev_co_u32_e64 v75, s[4:5], s4, v18
	v_subb_co_u32_e64 v76, s[4:5], v19, v2, s[4:5]
	v_mov_b32_e32 v2, s37
	v_subrev_co_u32_e64 v4, s[4:5], s36, v22
	v_lshlrev_b32_e32 v8, 2, v1
	v_subb_co_u32_e64 v7, s[4:5], v23, v2, s[4:5]
	v_mad_u64_u32 v[2:3], s[4:5], s24, v8, 0
	s_movk_i32 s8, 0xff00
	v_add_co_u32_e64 v9, s[4:5], s8, v4
	v_addc_co_u32_e64 v7, s[4:5], -1, v7, s[4:5]
	v_mad_u64_u32 v[3:4], s[4:5], s25, v8, v[3:4]
	v_sub_co_u32_e64 v4, s[4:5], v9, v20
	v_lshlrev_b64 v[2:3], 3, v[2:3]
	v_subb_co_u32_e64 v7, s[4:5], v7, v21, s[4:5]
	v_add_co_u32_e64 v2, s[4:5], v4, v2
	v_addc_co_u32_e64 v3, s[4:5], v7, v3, s[4:5]
	s_ashr_i32 s31, s30, 31
	s_lshl_b64 s[4:5], s[30:31], 3
	v_mov_b32_e32 v4, s5
	v_add_co_u32_e64 v7, s[4:5], s4, v2
	v_addc_co_u32_e64 v4, s[4:5], v3, v4, s[4:5]
	v_add_co_u32_e64 v7, s[4:5], -8, v7
	v_addc_co_u32_e64 v4, s[4:5], -1, v4, s[4:5]
	v_add_co_u32_e64 v2, s[4:5], v2, v74
	v_addc_co_u32_e64 v3, s[4:5], 0, v3, s[4:5]
	v_cndmask_b32_e32 v41, v3, v4, vcc
	v_and_b32_e32 v3, 48, v0
	v_lshrrev_b32_e32 v5, 4, v24
	v_and_b32_e32 v6, 15, v0
	v_cndmask_b32_e32 v40, v2, v7, vcc
	v_mov_b32_e32 v2, 0x2180
	s_movk_i32 s8, 0x218
	v_lshlrev_b32_e32 v3, 3, v3
	s_mul_i32 s31, s25, 0x118
	s_mul_hi_u32 s33, s24, 0x118
	v_lshl_add_u32 v78, v1, 5, v2
	v_lshlrev_b32_e32 v2, 5, v5
	v_mad_u32_u24 v82, v6, s8, v3
	v_or_b32_e32 v3, 0x78, v74
	s_add_i32 s38, s33, s31
	s_mul_i32 s33, s25, 0x180
	s_mul_hi_u32 s34, s24, 0x180
	v_mad_u32_u24 v81, v6, s8, v2
	v_mad_u32_u24 v83, v6, s8, v3
	s_mul_i32 s8, s25, 24
	s_mul_hi_u32 s9, s24, 24
	s_add_i32 s39, s34, s33
	s_mul_i32 s34, s25, 0x190
	s_mul_hi_u32 s35, s24, 0x190
	s_add_i32 s8, s9, s8
	;; [unrolled: 3-line block ×5, first 2 shown]
	s_mul_i32 s36, s25, 0x188
	s_mul_hi_u32 s37, s24, 0x188
	s_lshl_b64 s[10:11], s[24:25], 3
	s_lshl_b64 s[12:13], s[24:25], 4
	;; [unrolled: 1-line block ×4, first 2 shown]
	s_add_i32 s18, s19, s18
	s_mul_i32 s19, s25, 0x110
	s_mul_hi_u32 s30, s24, 0x110
	s_add_i32 s42, s37, s36
	s_mul_i32 s37, s25, 0x108
	s_mul_hi_u32 s43, s24, 0x108
	s_mulk_i32 s25, 0x88
	s_mul_hi_u32 s44, s24, 0x88
	s_movk_i32 s4, 0x860
	v_mul_i32_i24_e32 v2, 0xffffffe8, v5
	s_add_i32 s19, s30, s19
	s_add_i32 s43, s43, s37
	;; [unrolled: 1-line block ×3, first 2 shown]
	v_mov_b32_e32 v39, 0
	v_add_u32_e32 v77, 0x2180, v74
	v_add_u32_e32 v79, 0x2380, v74
	v_mad_u32_u24 v80, v1, s4, v74
	v_cmp_gt_u32_e64 s[4:5], 64, v24
	s_mul_i32 s27, s24, 24
	s_mul_i32 s28, s24, 0x90
	;; [unrolled: 1-line block ×10, first 2 shown]
	s_mulk_i32 s24, 0x88
	s_mov_b32 s25, 0
	v_mov_b32_e32 v84, s11
	v_mov_b32_e32 v85, s13
	;; [unrolled: 1-line block ×15, first 2 shown]
	v_add_u32_e32 v99, v81, v2
	v_mov_b32_e32 v100, s15
	s_branch .LBB184_98
.LBB184_97:                             ;   in Loop: Header=BB184_98 Depth=1
	s_or_b64 exec, exec, s[18:19]
	v_mul_f32_e32 v38, v7, v43
	v_fma_f32 v38, v6, v42, -v38
	v_add_f32_e32 v36, v36, v38
	v_mul_f32_e32 v38, v9, v45
	v_mul_f32_e32 v7, v7, v42
	v_fma_f32 v38, v8, v44, -v38
	v_mul_f32_e32 v9, v9, v44
	v_add_f32_e32 v36, v36, v38
	v_mul_f32_e32 v38, v3, v47
	v_fmac_f32_e32 v7, v6, v43
	v_fma_f32 v38, v2, v46, -v38
	v_mul_f32_e32 v3, v3, v46
	v_add_f32_e32 v6, v37, v7
	v_fmac_f32_e32 v9, v8, v45
	v_add_f32_e32 v36, v36, v38
	v_mul_f32_e32 v38, v5, v49
	v_mul_f32_e32 v5, v5, v48
	v_add_f32_e32 v6, v6, v9
	v_fmac_f32_e32 v3, v2, v47
	v_fma_f32 v38, v4, v48, -v38
	v_add_f32_e32 v2, v6, v3
	v_fmac_f32_e32 v5, v4, v49
	v_mul_f32_e32 v3, v15, v55
	v_add_f32_e32 v36, v36, v38
	v_add_f32_e32 v2, v2, v5
	v_fma_f32 v3, v14, v54, -v3
	v_mul_f32_e32 v5, v17, v53
	v_add_f32_e32 v3, v36, v3
	v_fma_f32 v5, v16, v52, -v5
	v_add_f32_e32 v3, v3, v5
	v_mul_f32_e32 v5, v11, v51
	v_mul_f32_e32 v4, v15, v54
	v_fma_f32 v5, v10, v50, -v5
	v_add_f32_e32 v3, v3, v5
	v_mul_f32_e32 v5, v13, v57
	v_fmac_f32_e32 v4, v14, v55
	v_fma_f32 v5, v12, v56, -v5
	v_add_f32_e32 v2, v2, v4
	v_mul_f32_e32 v4, v23, v63
	v_add_f32_e32 v3, v3, v5
	v_fma_f32 v4, v22, v62, -v4
	v_add_f32_e32 v3, v3, v4
	v_mul_f32_e32 v4, v25, v59
	v_fma_f32 v4, v24, v58, -v4
	v_mul_f32_e32 v6, v17, v52
	v_add_f32_e32 v3, v3, v4
	v_mul_f32_e32 v4, v19, v61
	v_mul_f32_e32 v7, v11, v50
	v_fmac_f32_e32 v6, v16, v53
	v_fma_f32 v4, v18, v60, -v4
	v_mul_f32_e32 v8, v13, v56
	v_add_f32_e32 v2, v2, v6
	v_fmac_f32_e32 v7, v10, v51
	v_add_f32_e32 v3, v3, v4
	v_mul_f32_e32 v4, v21, v65
	v_add_f32_e32 v2, v2, v7
	v_fmac_f32_e32 v8, v12, v57
	v_mul_f32_e32 v5, v23, v62
	v_fma_f32 v4, v20, v64, -v4
	v_add_f32_e32 v2, v2, v8
	v_mul_f32_e32 v6, v25, v58
	v_add_f32_e32 v3, v3, v4
	v_fmac_f32_e32 v5, v22, v63
	v_mul_f32_e32 v4, v31, v71
	v_mul_f32_e32 v7, v19, v60
	v_add_f32_e32 v2, v2, v5
	v_fmac_f32_e32 v6, v24, v59
	v_fma_f32 v4, v30, v70, -v4
	v_mul_f32_e32 v8, v21, v64
	v_add_f32_e32 v2, v2, v6
	v_fmac_f32_e32 v7, v18, v61
	v_add_f32_e32 v3, v3, v4
	v_mul_f32_e32 v4, v33, v69
	v_add_f32_e32 v2, v2, v7
	v_fmac_f32_e32 v8, v20, v65
	v_mul_f32_e32 v5, v31, v70
	v_fma_f32 v4, v32, v68, -v4
	v_add_f32_e32 v2, v2, v8
	v_mul_f32_e32 v6, v33, v68
	v_add_f32_e32 v3, v3, v4
	v_mul_f32_e32 v4, v27, v67
	v_fmac_f32_e32 v5, v30, v71
	v_fma_f32 v4, v26, v66, -v4
	v_mul_f32_e32 v7, v27, v66
	v_fmac_f32_e32 v6, v32, v69
	v_add_f32_e32 v2, v2, v5
	v_add_f32_e32 v3, v3, v4
	v_mul_f32_e32 v4, v29, v73
	v_mul_f32_e32 v8, v29, v72
	v_fmac_f32_e32 v7, v26, v67
	v_add_f32_e32 v2, v2, v6
	v_fma_f32 v4, v28, v72, -v4
	v_fmac_f32_e32 v8, v28, v73
	v_add_f32_e32 v2, v2, v7
	s_add_i32 s25, s25, 64
	s_add_i32 s6, s6, -1
	v_add_co_u32_e64 v40, s[8:9], s14, v40
	v_add_f32_e32 v36, v3, v4
	v_add_f32_e32 v37, v2, v8
	s_cmp_eq_u32 s6, 0
	v_addc_co_u32_e64 v41, s[8:9], v41, v100, s[8:9]
	s_waitcnt vmcnt(0)
	s_barrier
	s_cbranch_scc1 .LBB184_102
.LBB184_98:                             ; =>This Inner Loop Header: Depth=1
	s_and_saveexec_b64 s[18:19], s[2:3]
	s_cbranch_execz .LBB184_100
; %bb.99:                               ;   in Loop: Header=BB184_98 Depth=1
	s_mul_i32 s8, s21, s25
	s_mul_hi_u32 s9, s20, s25
	s_add_i32 s9, s9, s8
	s_mul_i32 s8, s20, s25
	s_lshl_b64 s[8:9], s[8:9], 3
	v_mov_b32_e32 v3, s9
	v_add_co_u32_e64 v2, s[8:9], s8, v75
	v_addc_co_u32_e64 v3, s[8:9], v76, v3, s[8:9]
	flat_load_dwordx2 v[2:3], v[2:3]
	s_waitcnt vmcnt(0) lgkmcnt(0)
	ds_write_b64 v77, v[2:3]
.LBB184_100:                            ;   in Loop: Header=BB184_98 Depth=1
	s_or_b64 exec, exec, s[18:19]
	v_add_co_u32_e64 v2, s[8:9], s10, v40
	v_addc_co_u32_e64 v3, s[8:9], v41, v84, s[8:9]
	v_add_co_u32_e64 v4, s[8:9], s12, v40
	v_addc_co_u32_e64 v5, s[8:9], v41, v85, s[8:9]
	s_waitcnt lgkmcnt(0)
	s_barrier
	flat_load_dwordx2 v[42:43], v[40:41]
	flat_load_dwordx2 v[44:45], v[2:3]
	;; [unrolled: 1-line block ×3, first 2 shown]
	v_add_co_u32_e64 v2, s[8:9], s27, v40
	v_addc_co_u32_e64 v3, s[8:9], v41, v86, s[8:9]
	flat_load_dwordx2 v[48:49], v[2:3]
	v_add_co_u32_e64 v12, s[8:9], s16, v40
	v_addc_co_u32_e64 v13, s[8:9], v41, v87, s[8:9]
	ds_read_b64 v[10:11], v79
	ds_read_b128 v[6:9], v78
	ds_read_b128 v[2:5], v78 offset:16
	v_add_co_u32_e64 v14, s[8:9], s24, v40
	v_addc_co_u32_e64 v15, s[8:9], v41, v88, s[8:9]
	v_add_co_u32_e64 v16, s[8:9], s28, v40
	v_addc_co_u32_e64 v17, s[8:9], v41, v89, s[8:9]
	s_waitcnt vmcnt(0) lgkmcnt(0)
	v_mul_f32_e32 v18, v11, v43
	v_mul_f32_e32 v19, v11, v42
	;; [unrolled: 1-line block ×7, first 2 shown]
	v_fma_f32 v18, v10, v42, -v18
	v_fmac_f32_e32 v19, v10, v43
	v_mul_f32_e32 v25, v10, v49
	v_fma_f32 v20, v10, v44, -v20
	v_fmac_f32_e32 v21, v10, v45
	v_fma_f32 v22, v10, v46, -v22
	v_fma_f32 v24, v10, v48, -v24
	v_fmac_f32_e32 v23, v10, v47
	v_add_co_u32_e64 v10, s[8:9], s29, v40
	v_fmac_f32_e32 v25, v11, v48
	ds_write2_b64 v80, v[18:19], v[20:21] offset1:67
	ds_write2_b64 v80, v[22:23], v[24:25] offset0:134 offset1:201
	s_waitcnt lgkmcnt(0)
	s_barrier
	ds_read2_b64 v[26:29], v81 offset1:1
	ds_read2_b64 v[30:33], v81 offset0:2 offset1:3
	s_waitcnt lgkmcnt(0)
	s_barrier
	flat_load_dwordx2 v[54:55], v[12:13]
	flat_load_dwordx2 v[52:53], v[14:15]
	;; [unrolled: 1-line block ×3, first 2 shown]
	v_addc_co_u32_e64 v11, s[8:9], v41, v90, s[8:9]
	flat_load_dwordx2 v[56:57], v[10:11]
	ds_read_b64 v[22:23], v79
	v_add_co_u32_e64 v18, s[8:9], s22, v40
	v_addc_co_u32_e64 v19, s[8:9], v41, v91, s[8:9]
	v_add_co_u32_e64 v20, s[8:9], s37, v40
	v_addc_co_u32_e64 v21, s[8:9], v41, v92, s[8:9]
	;; [unrolled: 2-line block ×3, first 2 shown]
	ds_read_b128 v[14:17], v78 offset:128
	ds_read_b128 v[10:13], v78 offset:144
	v_add_f32_e32 v26, 0, v26
	v_add_f32_e32 v27, 0, v27
	;; [unrolled: 1-line block ×6, first 2 shown]
	s_waitcnt vmcnt(0) lgkmcnt(0)
	v_mul_f32_e32 v38, v23, v55
	v_mul_f32_e32 v59, v23, v54
	v_mul_f32_e32 v60, v23, v53
	v_mul_f32_e32 v61, v23, v52
	v_mul_f32_e32 v62, v23, v51
	v_mul_f32_e32 v63, v23, v50
	v_mul_f32_e32 v64, v23, v57
	v_mul_f32_e32 v65, v22, v57
	v_fma_f32 v58, v22, v54, -v38
	v_fma_f32 v60, v22, v52, -v60
	;; [unrolled: 1-line block ×3, first 2 shown]
	v_fmac_f32_e32 v59, v22, v55
	v_fmac_f32_e32 v61, v22, v53
	;; [unrolled: 1-line block ×3, first 2 shown]
	v_fma_f32 v64, v22, v56, -v64
	v_fmac_f32_e32 v65, v23, v56
	ds_write2_b64 v80, v[58:59], v[60:61] offset1:67
	ds_write2_b64 v80, v[62:63], v[64:65] offset0:134 offset1:201
	s_waitcnt lgkmcnt(0)
	s_barrier
	ds_read2_b64 v[101:104], v81 offset1:1
	ds_read2_b64 v[105:108], v81 offset0:2 offset1:3
	s_waitcnt lgkmcnt(0)
	s_barrier
	flat_load_dwordx2 v[62:63], v[18:19]
	flat_load_dwordx2 v[58:59], v[20:21]
	;; [unrolled: 1-line block ×3, first 2 shown]
	v_add_co_u32_e64 v18, s[8:9], s31, v40
	v_addc_co_u32_e64 v19, s[8:9], v41, v94, s[8:9]
	flat_load_dwordx2 v[64:65], v[18:19]
	ds_read_b64 v[66:67], v79
	v_add_co_u32_e64 v72, s[8:9], s33, v40
	v_addc_co_u32_e64 v73, s[8:9], v41, v95, s[8:9]
	v_add_co_u32_e64 v117, s[8:9], s36, v40
	v_addc_co_u32_e64 v118, s[8:9], v41, v96, s[8:9]
	;; [unrolled: 2-line block ×3, first 2 shown]
	ds_read_b128 v[22:25], v78 offset:256
	ds_read_b128 v[18:21], v78 offset:272
	s_waitcnt vmcnt(0) lgkmcnt(0)
	v_mul_f32_e32 v38, v67, v63
	v_mul_f32_e32 v69, v67, v62
	;; [unrolled: 1-line block ×6, first 2 shown]
	v_fma_f32 v68, v66, v62, -v38
	v_mul_f32_e32 v111, v67, v65
	v_mul_f32_e32 v112, v66, v65
	v_fma_f32 v70, v66, v58, -v70
	v_fmac_f32_e32 v69, v66, v63
	v_fmac_f32_e32 v71, v66, v59
	v_fma_f32 v109, v66, v60, -v109
	v_fma_f32 v111, v66, v64, -v111
	v_fmac_f32_e32 v110, v66, v61
	v_fmac_f32_e32 v112, v67, v64
	ds_write2_b64 v80, v[68:69], v[70:71] offset1:67
	ds_write2_b64 v80, v[109:110], v[111:112] offset0:134 offset1:201
	s_waitcnt lgkmcnt(0)
	s_barrier
	ds_read2_b64 v[109:112], v81 offset1:1
	ds_read2_b64 v[113:116], v81 offset0:2 offset1:3
	s_waitcnt lgkmcnt(0)
	s_barrier
	flat_load_dwordx2 v[70:71], v[72:73]
	flat_load_dwordx2 v[68:69], v[117:118]
	;; [unrolled: 1-line block ×3, first 2 shown]
	v_add_co_u32_e64 v72, s[8:9], s35, v40
	v_addc_co_u32_e64 v73, s[8:9], v41, v98, s[8:9]
	flat_load_dwordx2 v[72:73], v[72:73]
	v_add_f32_e32 v117, v26, v32
	v_add_f32_e32 v118, v27, v33
	;; [unrolled: 1-line block ×10, first 2 shown]
	ds_read_b64 v[101:102], v79
	ds_read_b128 v[30:33], v78 offset:384
	ds_read_b128 v[26:29], v78 offset:400
	v_add_f32_e32 v38, 0, v109
	v_add_f32_e32 v103, 0, v110
	;; [unrolled: 1-line block ×8, first 2 shown]
	s_waitcnt vmcnt(0) lgkmcnt(0)
	v_mul_f32_e32 v38, v102, v71
	v_mul_f32_e32 v104, v102, v70
	;; [unrolled: 1-line block ×6, first 2 shown]
	v_fma_f32 v103, v101, v70, -v38
	v_mul_f32_e32 v111, v102, v73
	v_mul_f32_e32 v112, v101, v73
	v_fma_f32 v105, v101, v68, -v105
	v_fmac_f32_e32 v104, v101, v71
	v_fmac_f32_e32 v106, v101, v69
	v_fma_f32 v107, v101, v66, -v107
	v_fmac_f32_e32 v108, v101, v67
	v_fma_f32 v111, v101, v72, -v111
	v_fmac_f32_e32 v112, v102, v72
	ds_write2_b64 v80, v[103:104], v[105:106] offset1:67
	ds_write2_b64 v80, v[107:108], v[111:112] offset0:134 offset1:201
	s_waitcnt lgkmcnt(0)
	s_barrier
	ds_read2_b64 v[101:104], v81 offset1:1
	ds_read2_b64 v[105:108], v81 offset0:2 offset1:3
	s_waitcnt lgkmcnt(0)
	s_barrier
	v_add_f32_e32 v38, 0, v101
	v_add_f32_e32 v101, 0, v102
	;; [unrolled: 1-line block ×8, first 2 shown]
	ds_write2_b64 v99, v[117:118], v[119:120] offset1:16
	ds_write2_b64 v99, v[109:110], v[101:102] offset0:32 offset1:48
	s_waitcnt lgkmcnt(0)
	s_barrier
	s_and_saveexec_b64 s[18:19], s[4:5]
	s_cbranch_execz .LBB184_97
; %bb.101:                              ;   in Loop: Header=BB184_98 Depth=1
	ds_read_b64 v[109:110], v82
	ds_read2_b64 v[101:104], v82 offset0:1 offset1:2
	ds_read2_b64 v[105:108], v82 offset0:3 offset1:4
	s_waitcnt lgkmcnt(1)
	v_add_f32_e32 v38, v101, v109
	v_add_f32_e32 v101, v102, v110
	v_add_f32_e32 v38, v103, v38
	v_add_f32_e32 v109, v104, v101
	ds_read2_b64 v[101:104], v82 offset0:5 offset1:6
	s_waitcnt lgkmcnt(1)
	v_add_f32_e32 v38, v38, v105
	v_add_f32_e32 v105, v109, v106
	v_add_f32_e32 v38, v38, v107
	v_add_f32_e32 v109, v105, v108
	;; [unrolled: 6-line block ×6, first 2 shown]
	ds_read_b64 v[105:106], v83
	s_waitcnt lgkmcnt(1)
	v_add_f32_e32 v38, v38, v101
	v_add_f32_e32 v101, v107, v102
	;; [unrolled: 1-line block ×4, first 2 shown]
	s_waitcnt lgkmcnt(0)
	v_add_f32_e32 v101, v38, v105
	v_add_u32_e32 v38, s25, v0
	v_lshlrev_b64 v[103:104], 3, v[38:39]
	v_mov_b32_e32 v38, s26
	v_add_co_u32_e64 v103, s[8:9], s7, v103
	v_add_f32_e32 v102, v102, v106
	v_addc_co_u32_e64 v104, s[8:9], v38, v104, s[8:9]
	global_store_dwordx2 v[103:104], v[101:102], off
	s_branch .LBB184_97
.LBB184_102:
	s_movk_i32 s2, 0x218
	v_mad_u32_u24 v0, v1, s2, v74
	s_nor_b64 s[0:1], s[0:1], vcc
	ds_write_b64 v0, v[36:37]
	s_waitcnt lgkmcnt(0)
	s_barrier
	s_and_saveexec_b64 s[2:3], s[0:1]
	s_cbranch_execz .LBB184_104
; %bb.103:
	ds_read2_b64 v[0:3], v74 offset1:67
	ds_read2_b64 v[4:7], v74 offset0:134 offset1:201
	s_waitcnt lgkmcnt(1)
	v_add_f32_e32 v0, v2, v0
	v_add_f32_e32 v1, v3, v1
	v_lshlrev_b64 v[2:3], 3, v[34:35]
	s_waitcnt lgkmcnt(0)
	v_add_f32_e32 v0, v4, v0
	v_add_f32_e32 v1, v5, v1
	v_mov_b32_e32 v4, s26
	v_add_co_u32_e32 v2, vcc, s7, v2
	v_add_f32_e32 v0, v0, v6
	v_add_f32_e32 v1, v1, v7
	v_addc_co_u32_e32 v3, vcc, v4, v3, vcc
	global_store_dwordx2 v[2:3], v[0:1], off
.LBB184_104:
	s_endpgm
	.section	.rodata,"a",@progbits
	.p2align	6, 0x0
	.amdhsa_kernel _ZL26rocblas_hemvn_kernel_lowerILb0ELi64ELi4ELi33ELi32ELi16ElPK19rocblas_complex_numIfEPKS3_PS1_EviT6_lT7_lT5_lS8_lS9_lS7_lT8_i
		.amdhsa_group_segment_fixed_size 9600
		.amdhsa_private_segment_fixed_size 0
		.amdhsa_kernarg_size 376
		.amdhsa_user_sgpr_count 6
		.amdhsa_user_sgpr_private_segment_buffer 1
		.amdhsa_user_sgpr_dispatch_ptr 0
		.amdhsa_user_sgpr_queue_ptr 0
		.amdhsa_user_sgpr_kernarg_segment_ptr 1
		.amdhsa_user_sgpr_dispatch_id 0
		.amdhsa_user_sgpr_flat_scratch_init 0
		.amdhsa_user_sgpr_private_segment_size 0
		.amdhsa_uses_dynamic_stack 0
		.amdhsa_system_sgpr_private_segment_wavefront_offset 0
		.amdhsa_system_sgpr_workgroup_id_x 1
		.amdhsa_system_sgpr_workgroup_id_y 0
		.amdhsa_system_sgpr_workgroup_id_z 1
		.amdhsa_system_sgpr_workgroup_info 0
		.amdhsa_system_vgpr_workitem_id 1
		.amdhsa_next_free_vgpr 121
		.amdhsa_next_free_sgpr 93
		.amdhsa_reserve_vcc 1
		.amdhsa_reserve_flat_scratch 0
		.amdhsa_float_round_mode_32 0
		.amdhsa_float_round_mode_16_64 0
		.amdhsa_float_denorm_mode_32 3
		.amdhsa_float_denorm_mode_16_64 3
		.amdhsa_dx10_clamp 1
		.amdhsa_ieee_mode 1
		.amdhsa_fp16_overflow 0
		.amdhsa_exception_fp_ieee_invalid_op 0
		.amdhsa_exception_fp_denorm_src 0
		.amdhsa_exception_fp_ieee_div_zero 0
		.amdhsa_exception_fp_ieee_overflow 0
		.amdhsa_exception_fp_ieee_underflow 0
		.amdhsa_exception_fp_ieee_inexact 0
		.amdhsa_exception_int_div_zero 0
	.end_amdhsa_kernel
	.section	.text._ZL26rocblas_hemvn_kernel_lowerILb0ELi64ELi4ELi33ELi32ELi16ElPK19rocblas_complex_numIfEPKS3_PS1_EviT6_lT7_lT5_lS8_lS9_lS7_lT8_i,"axG",@progbits,_ZL26rocblas_hemvn_kernel_lowerILb0ELi64ELi4ELi33ELi32ELi16ElPK19rocblas_complex_numIfEPKS3_PS1_EviT6_lT7_lT5_lS8_lS9_lS7_lT8_i,comdat
.Lfunc_end184:
	.size	_ZL26rocblas_hemvn_kernel_lowerILb0ELi64ELi4ELi33ELi32ELi16ElPK19rocblas_complex_numIfEPKS3_PS1_EviT6_lT7_lT5_lS8_lS9_lS7_lT8_i, .Lfunc_end184-_ZL26rocblas_hemvn_kernel_lowerILb0ELi64ELi4ELi33ELi32ELi16ElPK19rocblas_complex_numIfEPKS3_PS1_EviT6_lT7_lT5_lS8_lS9_lS7_lT8_i
                                        ; -- End function
	.set _ZL26rocblas_hemvn_kernel_lowerILb0ELi64ELi4ELi33ELi32ELi16ElPK19rocblas_complex_numIfEPKS3_PS1_EviT6_lT7_lT5_lS8_lS9_lS7_lT8_i.num_vgpr, 121
	.set _ZL26rocblas_hemvn_kernel_lowerILb0ELi64ELi4ELi33ELi32ELi16ElPK19rocblas_complex_numIfEPKS3_PS1_EviT6_lT7_lT5_lS8_lS9_lS7_lT8_i.num_agpr, 0
	.set _ZL26rocblas_hemvn_kernel_lowerILb0ELi64ELi4ELi33ELi32ELi16ElPK19rocblas_complex_numIfEPKS3_PS1_EviT6_lT7_lT5_lS8_lS9_lS7_lT8_i.numbered_sgpr, 46
	.set _ZL26rocblas_hemvn_kernel_lowerILb0ELi64ELi4ELi33ELi32ELi16ElPK19rocblas_complex_numIfEPKS3_PS1_EviT6_lT7_lT5_lS8_lS9_lS7_lT8_i.num_named_barrier, 0
	.set _ZL26rocblas_hemvn_kernel_lowerILb0ELi64ELi4ELi33ELi32ELi16ElPK19rocblas_complex_numIfEPKS3_PS1_EviT6_lT7_lT5_lS8_lS9_lS7_lT8_i.private_seg_size, 0
	.set _ZL26rocblas_hemvn_kernel_lowerILb0ELi64ELi4ELi33ELi32ELi16ElPK19rocblas_complex_numIfEPKS3_PS1_EviT6_lT7_lT5_lS8_lS9_lS7_lT8_i.uses_vcc, 1
	.set _ZL26rocblas_hemvn_kernel_lowerILb0ELi64ELi4ELi33ELi32ELi16ElPK19rocblas_complex_numIfEPKS3_PS1_EviT6_lT7_lT5_lS8_lS9_lS7_lT8_i.uses_flat_scratch, 0
	.set _ZL26rocblas_hemvn_kernel_lowerILb0ELi64ELi4ELi33ELi32ELi16ElPK19rocblas_complex_numIfEPKS3_PS1_EviT6_lT7_lT5_lS8_lS9_lS7_lT8_i.has_dyn_sized_stack, 0
	.set _ZL26rocblas_hemvn_kernel_lowerILb0ELi64ELi4ELi33ELi32ELi16ElPK19rocblas_complex_numIfEPKS3_PS1_EviT6_lT7_lT5_lS8_lS9_lS7_lT8_i.has_recursion, 0
	.set _ZL26rocblas_hemvn_kernel_lowerILb0ELi64ELi4ELi33ELi32ELi16ElPK19rocblas_complex_numIfEPKS3_PS1_EviT6_lT7_lT5_lS8_lS9_lS7_lT8_i.has_indirect_call, 0
	.section	.AMDGPU.csdata,"",@progbits
; Kernel info:
; codeLenInByte = 7532
; TotalNumSgprs: 50
; NumVgprs: 121
; ScratchSize: 0
; MemoryBound: 1
; FloatMode: 240
; IeeeMode: 1
; LDSByteSize: 9600 bytes/workgroup (compile time only)
; SGPRBlocks: 12
; VGPRBlocks: 30
; NumSGPRsForWavesPerEU: 97
; NumVGPRsForWavesPerEU: 121
; Occupancy: 2
; WaveLimiterHint : 1
; COMPUTE_PGM_RSRC2:SCRATCH_EN: 0
; COMPUTE_PGM_RSRC2:USER_SGPR: 6
; COMPUTE_PGM_RSRC2:TRAP_HANDLER: 0
; COMPUTE_PGM_RSRC2:TGID_X_EN: 1
; COMPUTE_PGM_RSRC2:TGID_Y_EN: 0
; COMPUTE_PGM_RSRC2:TGID_Z_EN: 1
; COMPUTE_PGM_RSRC2:TIDIG_COMP_CNT: 1
	.section	.text._ZL26rocblas_hemvn_kernel_lowerILb0ELi64ELi4ELi33ELi32ELi16EiPK19rocblas_complex_numIfEPKS3_PS1_EviT6_lT7_lT5_lS8_lS9_lS7_lT8_i,"axG",@progbits,_ZL26rocblas_hemvn_kernel_lowerILb0ELi64ELi4ELi33ELi32ELi16EiPK19rocblas_complex_numIfEPKS3_PS1_EviT6_lT7_lT5_lS8_lS9_lS7_lT8_i,comdat
	.globl	_ZL26rocblas_hemvn_kernel_lowerILb0ELi64ELi4ELi33ELi32ELi16EiPK19rocblas_complex_numIfEPKS3_PS1_EviT6_lT7_lT5_lS8_lS9_lS7_lT8_i ; -- Begin function _ZL26rocblas_hemvn_kernel_lowerILb0ELi64ELi4ELi33ELi32ELi16EiPK19rocblas_complex_numIfEPKS3_PS1_EviT6_lT7_lT5_lS8_lS9_lS7_lT8_i
	.p2align	8
	.type	_ZL26rocblas_hemvn_kernel_lowerILb0ELi64ELi4ELi33ELi32ELi16EiPK19rocblas_complex_numIfEPKS3_PS1_EviT6_lT7_lT5_lS8_lS9_lS7_lT8_i,@function
_ZL26rocblas_hemvn_kernel_lowerILb0ELi64ELi4ELi33ELi32ELi16EiPK19rocblas_complex_numIfEPKS3_PS1_EviT6_lT7_lT5_lS8_lS9_lS7_lT8_i: ; @_ZL26rocblas_hemvn_kernel_lowerILb0ELi64ELi4ELi33ELi32ELi16EiPK19rocblas_complex_numIfEPKS3_PS1_EviT6_lT7_lT5_lS8_lS9_lS7_lT8_i
; %bb.0:
	s_load_dwordx2 s[0:1], s[4:5], 0x84
	s_add_u32 s16, s4, 0x78
	s_addc_u32 s17, s5, 0
	s_waitcnt lgkmcnt(0)
	s_lshr_b32 s2, s0, 16
	s_and_b32 s0, s0, 0xffff
	s_and_b32 s1, s1, 0xffff
	s_mul_i32 s0, s2, s0
	s_mul_i32 s0, s0, s1
	s_cmpk_lg_i32 s0, 0x100
	s_cbranch_scc1 .LBB185_104
; %bb.1:
	s_load_dwordx8 s[8:15], s[4:5], 0x8
	s_mov_b32 s20, s7
	v_mov_b32_e32 v2, v1
	s_mov_b32 s21, 0
	s_waitcnt lgkmcnt(0)
	s_mul_i32 s0, s11, s7
	s_mul_hi_u32 s1, s10, s7
	s_add_i32 s1, s1, s0
	s_mul_i32 s0, s10, s7
	s_lshl_b64 s[0:1], s[0:1], 3
	s_add_u32 s8, s8, s0
	s_addc_u32 s9, s9, s1
	s_load_dwordx2 s[10:11], s[8:9], 0x0
	s_load_dwordx2 s[22:23], s[4:5], 0x68
	s_load_dwordx4 s[0:3], s[4:5], 0x58
	s_mov_b64 s[8:9], -1
	s_waitcnt lgkmcnt(0)
	s_or_b32 s7, s10, s11
	s_bitset0_b32 s7, 31
	s_cmp_lg_u32 s7, 0
	s_cbranch_scc1 .LBB185_3
; %bb.2:
	s_mul_i32 s3, s3, s20
	s_mul_hi_u32 s7, s2, s20
	s_add_i32 s3, s7, s3
	s_mul_i32 s2, s2, s20
	s_lshl_b64 s[2:3], s[2:3], 3
	s_add_u32 s0, s0, s2
	s_addc_u32 s1, s1, s3
	s_load_dwordx2 s[2:3], s[0:1], 0x0
	s_mov_b64 s[8:9], 0
	s_waitcnt lgkmcnt(0)
	v_cmp_eq_f32_e64 s[0:1], s2, 1.0
	v_cmp_eq_f32_e64 s[2:3], s3, 0
	s_and_b64 s[0:1], s[0:1], s[2:3]
	s_andn2_b64 vcc, exec, s[0:1]
.LBB185_3:
	s_andn2_b64 vcc, exec, s[8:9]
	s_cbranch_vccnz .LBB185_104
; %bb.4:
	s_load_dwordx4 s[0:3], s[4:5], 0x38
	s_load_dword s7, s[4:5], 0x48
	s_lshl_b64 s[8:9], s[20:21], 3
	s_add_u32 s10, s12, s8
	s_addc_u32 s11, s13, s9
	s_waitcnt lgkmcnt(0)
	s_add_u32 s0, s0, s8
	s_addc_u32 s1, s1, s9
	s_load_dwordx2 s[12:13], s[0:1], 0x0
	s_load_dword s21, s[4:5], 0x0
	s_load_dword s33, s[16:17], 0x0
	s_load_dwordx2 s[8:9], s[10:11], 0x0
	s_lshl_b64 s[0:1], s[2:3], 3
	s_waitcnt lgkmcnt(0)
	s_add_u32 s0, s12, s0
	s_addc_u32 s1, s13, s1
	s_lshl_b32 s28, s6, 6
	v_add_u32_e32 v35, s28, v0
	v_mul_lo_u32 v3, s7, v35
	s_ashr_i32 s42, s21, 31
	s_lshr_b32 s3, s42, 26
	s_add_i32 s3, s21, s3
	v_ashrrev_i32_e32 v4, 31, v3
	s_andn2_b32 s3, s3, 63
	v_lshlrev_b64 v[3:4], 3, v[3:4]
	s_add_i32 s2, s33, -1
	s_sub_i32 s3, s21, s3
	s_cmp_eq_u32 s6, s2
	v_mov_b32_e32 v1, s1
	v_add_co_u32_e32 v19, vcc, s0, v3
	s_cselect_b32 s26, s3, 0
	v_addc_co_u32_e32 v20, vcc, v1, v4, vcc
	v_cmp_ne_u32_e64 s[0:1], 0, v2
	v_cmp_eq_u32_e64 s[2:3], 0, v2
	s_and_saveexec_b64 s[10:11], s[2:3]
	s_cbranch_execz .LBB185_9
; %bb.5:
	s_cmp_lg_u32 s26, 0
	s_cselect_b64 s[12:13], -1, 0
	v_cmp_le_i32_e32 vcc, s26, v0
	v_mov_b32_e32 v1, 0x2380
	s_and_b64 s[12:13], s[12:13], vcc
	v_lshl_add_u32 v1, v0, 3, v1
	s_and_saveexec_b64 s[16:17], s[12:13]
	s_xor_b64 s[12:13], exec, s[16:17]
; %bb.6:
	v_mov_b32_e32 v3, 0
	v_mov_b32_e32 v4, v3
	ds_write_b64 v1, v[3:4]
                                        ; implicit-def: $vgpr1
; %bb.7:
	s_andn2_saveexec_b64 s[12:13], s[12:13]
	s_cbranch_execz .LBB185_9
; %bb.8:
	flat_load_dwordx2 v[3:4], v[19:20]
	s_waitcnt vmcnt(0) lgkmcnt(0)
	ds_write_b64 v1, v[3:4]
.LBB185_9:
	s_or_b64 exec, exec, s[10:11]
	s_load_dword s24, s[4:5], 0x28
	v_lshl_add_u32 v25, v2, 6, v0
	v_and_b32_e32 v1, 31, v0
	v_lshrrev_b32_e32 v7, 5, v25
	s_lshl_b64 s[10:11], s[14:15], 3
	s_waitcnt lgkmcnt(0)
	v_mad_u64_u32 v[3:4], s[4:5], s24, v7, v[1:2]
	s_add_u32 s8, s8, s10
	s_addc_u32 s9, s9, s11
	s_ashr_i32 s29, s28, 31
	v_ashrrev_i32_e32 v4, 31, v3
	s_lshl_b64 s[4:5], s[28:29], 3
	v_lshlrev_b64 v[21:22], 3, v[3:4]
	s_add_u32 s4, s8, s4
	s_addc_u32 s5, s9, s5
	v_add_co_u32_e32 v4, vcc, s4, v21
	s_mul_i32 s4, s24, s28
	v_mov_b32_e32 v3, s5
	s_ashr_i32 s5, s4, 31
	v_addc_co_u32_e32 v5, vcc, v3, v22, vcc
	s_lshl_b64 s[30:31], s[4:5], 3
	v_mov_b32_e32 v6, s31
	v_add_co_u32_e32 v3, vcc, s30, v4
	s_cmp_lg_u32 s26, 0
	v_addc_co_u32_e32 v4, vcc, v5, v6, vcc
	s_cselect_b64 s[34:35], -1, 0
	s_cmp_eq_u32 s26, 0
	s_cselect_b64 s[16:17], -1, 0
	s_mov_b64 s[4:5], -1
	s_and_b64 vcc, exec, s[34:35]
	s_cbranch_vccnz .LBB185_11
; %bb.10:
	s_lshl_b32 s4, s24, 3
	s_ashr_i32 s5, s4, 31
	s_lshl_b64 s[4:5], s[4:5], 3
	v_mov_b32_e32 v6, s5
	v_add_co_u32_e32 v5, vcc, s4, v3
	s_ashr_i32 s25, s24, 31
	v_addc_co_u32_e32 v6, vcc, v4, v6, vcc
	s_lshl_b64 s[4:5], s[24:25], 6
	v_mov_b32_e32 v11, s5
	v_add_co_u32_e32 v8, vcc, s4, v5
	v_addc_co_u32_e32 v9, vcc, v6, v11, vcc
	v_add_co_u32_e32 v10, vcc, s4, v8
	v_addc_co_u32_e32 v11, vcc, v9, v11, vcc
	flat_load_dwordx2 v[12:13], v[3:4]
	flat_load_dwordx2 v[14:15], v[5:6]
	;; [unrolled: 1-line block ×4, first 2 shown]
	v_mul_u32_u24_e32 v5, 0x108, v7
	v_lshl_add_u32 v5, v1, 3, v5
	s_mov_b64 s[4:5], 0
	s_waitcnt vmcnt(0) lgkmcnt(0)
	ds_write_b64 v5, v[12:13]
	ds_write_b64 v5, v[14:15] offset:2112
	ds_write_b64 v5, v[16:17] offset:4224
	ds_write_b64 v5, v[23:24] offset:6336
.LBB185_11:
	s_andn2_b64 vcc, exec, s[4:5]
	v_lshlrev_b32_e32 v8, 3, v1
	s_cbranch_vccnz .LBB185_29
; %bb.12:
	v_sub_co_u32_e32 v5, vcc, v3, v8
	s_ashr_i32 s27, s26, 31
	v_subbrev_co_u32_e32 v6, vcc, 0, v4, vcc
	s_lshl_b64 s[8:9], s[26:27], 3
	v_mov_b32_e32 v9, s9
	v_add_co_u32_e32 v5, vcc, s8, v5
	v_addc_co_u32_e32 v6, vcc, v6, v9, vcc
	v_add_co_u32_e32 v5, vcc, -8, v5
	v_addc_co_u32_e32 v6, vcc, -1, v6, vcc
	v_cmp_gt_i32_e32 vcc, s26, v1
	v_cndmask_b32_e32 v6, v6, v4, vcc
	v_cndmask_b32_e32 v5, v5, v3, vcc
	v_cmp_le_i32_e64 s[4:5], s26, v7
	v_mul_u32_u24_e32 v9, 0x108, v7
	s_and_saveexec_b64 s[10:11], s[4:5]
	s_xor_b64 s[4:5], exec, s[10:11]
; %bb.13:
	v_mov_b32_e32 v10, 0
	v_add_u32_e32 v12, v8, v9
	v_mov_b32_e32 v11, v10
	ds_write_b64 v12, v[10:11]
; %bb.14:
	s_andn2_saveexec_b64 s[4:5], s[4:5]
	s_cbranch_execz .LBB185_16
; %bb.15:
	flat_load_dwordx2 v[10:11], v[5:6]
	v_add_u32_e32 v12, v8, v9
	s_waitcnt vmcnt(0) lgkmcnt(0)
	ds_write_b64 v12, v[10:11]
.LBB185_16:
	s_or_b64 exec, exec, s[4:5]
	v_add_u32_e32 v10, 8, v7
	v_cmp_le_i32_e64 s[4:5], s26, v10
	s_and_saveexec_b64 s[10:11], s[4:5]
	s_xor_b64 s[4:5], exec, s[10:11]
; %bb.17:
	v_mov_b32_e32 v10, 0
	v_add_u32_e32 v12, v9, v8
	v_mov_b32_e32 v11, v10
	ds_write_b64 v12, v[10:11] offset:2112
; %bb.18:
	s_andn2_saveexec_b64 s[10:11], s[4:5]
	s_cbranch_execz .LBB185_20
; %bb.19:
	s_lshl_b32 s4, s24, 3
	s_ashr_i32 s5, s4, 31
	s_lshl_b64 s[4:5], s[4:5], 3
	v_mov_b32_e32 v11, s5
	v_add_co_u32_e64 v10, s[4:5], s4, v5
	v_addc_co_u32_e64 v11, s[4:5], v6, v11, s[4:5]
	flat_load_dwordx2 v[10:11], v[10:11]
	v_add_u32_e32 v12, v9, v8
	s_waitcnt vmcnt(0) lgkmcnt(0)
	ds_write_b64 v12, v[10:11] offset:2112
.LBB185_20:
	s_or_b64 exec, exec, s[10:11]
	v_add_u32_e32 v10, 16, v7
	v_cmp_le_i32_e64 s[4:5], s26, v10
	s_and_saveexec_b64 s[10:11], s[4:5]
	s_xor_b64 s[4:5], exec, s[10:11]
; %bb.21:
	v_mov_b32_e32 v10, 0
	v_add_u32_e32 v12, v9, v8
	v_mov_b32_e32 v11, v10
	ds_write_b64 v12, v[10:11] offset:4224
; %bb.22:
	s_andn2_saveexec_b64 s[10:11], s[4:5]
	s_cbranch_execz .LBB185_24
; %bb.23:
	s_lshl_b32 s4, s24, 4
	s_ashr_i32 s5, s4, 31
	s_lshl_b64 s[4:5], s[4:5], 3
	v_mov_b32_e32 v11, s5
	v_add_co_u32_e64 v10, s[4:5], s4, v5
	v_addc_co_u32_e64 v11, s[4:5], v6, v11, s[4:5]
	flat_load_dwordx2 v[10:11], v[10:11]
	v_add_u32_e32 v12, v9, v8
	s_waitcnt vmcnt(0) lgkmcnt(0)
	ds_write_b64 v12, v[10:11] offset:4224
.LBB185_24:
	s_or_b64 exec, exec, s[10:11]
	v_add_u32_e32 v10, 24, v7
	v_cmp_le_i32_e64 s[4:5], s26, v10
	s_and_saveexec_b64 s[10:11], s[4:5]
	s_xor_b64 s[4:5], exec, s[10:11]
; %bb.25:
	v_add_u32_e32 v11, v9, v8
	v_mov_b32_e32 v9, 0
	v_mov_b32_e32 v10, v9
	ds_write_b64 v11, v[9:10] offset:6336
                                        ; implicit-def: $vgpr9
; %bb.26:
	s_andn2_saveexec_b64 s[10:11], s[4:5]
	s_cbranch_execz .LBB185_28
; %bb.27:
	s_mul_i32 s4, s24, 24
	s_ashr_i32 s5, s4, 31
	s_lshl_b64 s[4:5], s[4:5], 3
	v_mov_b32_e32 v11, s5
	v_add_co_u32_e64 v10, s[4:5], s4, v5
	v_addc_co_u32_e64 v11, s[4:5], v6, v11, s[4:5]
	flat_load_dwordx2 v[10:11], v[10:11]
	v_add_u32_e32 v9, v9, v8
	s_waitcnt vmcnt(0) lgkmcnt(0)
	ds_write_b64 v9, v[10:11] offset:6336
.LBB185_28:
	s_or_b64 exec, exec, s[10:11]
	v_add_co_u32_e64 v5, s[4:5], v5, v8
	v_addc_co_u32_e64 v6, s[4:5], 0, v6, s[4:5]
	v_mov_b32_e32 v9, s9
	v_subrev_co_u32_e64 v5, s[4:5], s8, v5
	v_subb_co_u32_e64 v6, s[4:5], v6, v9, s[4:5]
	v_add_co_u32_e64 v5, s[4:5], 8, v5
	v_addc_co_u32_e64 v6, s[4:5], 0, v6, s[4:5]
	v_cndmask_b32_e32 v4, v6, v4, vcc
	v_cndmask_b32_e32 v3, v5, v3, vcc
.LBB185_29:
	v_lshlrev_b32_e32 v5, 2, v7
	v_lshl_or_b32 v6, v1, 8, v8
	v_cmp_lt_u32_e64 s[18:19], v5, v1
	s_waitcnt lgkmcnt(0)
	s_barrier
	s_and_saveexec_b64 s[4:5], s[18:19]
	s_cbranch_execz .LBB185_31
; %bb.30:
	s_movk_i32 s8, 0x420
	v_mad_u32_u24 v9, v7, s8, v8
	ds_read_b64 v[9:10], v9
	v_lshl_add_u32 v11, v5, 3, v6
	s_waitcnt lgkmcnt(0)
	ds_write_b64 v11, v[9:10]
.LBB185_31:
	s_or_b64 exec, exec, s[4:5]
	v_or_b32_e32 v9, 1, v5
	v_cmp_lt_u32_e64 s[8:9], v9, v1
	s_and_saveexec_b64 s[4:5], s[8:9]
	s_cbranch_execz .LBB185_33
; %bb.32:
	s_movk_i32 s10, 0x108
	v_mad_u32_u24 v10, v9, s10, v8
	ds_read_b64 v[10:11], v10
	v_lshl_add_u32 v12, v5, 3, v6
	s_waitcnt lgkmcnt(0)
	ds_write_b64 v12, v[10:11] offset:8
.LBB185_33:
	s_or_b64 exec, exec, s[4:5]
	v_or_b32_e32 v10, 2, v5
	v_cmp_lt_u32_e64 s[10:11], v10, v1
	s_and_saveexec_b64 s[4:5], s[10:11]
	s_cbranch_execz .LBB185_35
; %bb.34:
	s_movk_i32 s12, 0x108
	v_mad_u32_u24 v10, v10, s12, v8
	ds_read_b64 v[10:11], v10
	v_lshl_add_u32 v12, v5, 3, v6
	s_waitcnt lgkmcnt(0)
	ds_write_b64 v12, v[10:11] offset:16
.LBB185_35:
	s_or_b64 exec, exec, s[4:5]
	v_or_b32_e32 v11, 3, v5
	v_cmp_lt_u32_e64 s[12:13], v11, v1
	v_cmp_ge_u32_e32 vcc, v11, v1
                                        ; implicit-def: $vgpr10
	s_and_saveexec_b64 s[4:5], vcc
	s_xor_b64 s[4:5], exec, s[4:5]
; %bb.36:
	v_mul_u32_u24_e32 v10, 0x108, v11
                                        ; implicit-def: $vgpr6
                                        ; implicit-def: $vgpr11
; %bb.37:
	s_andn2_saveexec_b64 s[4:5], s[4:5]
	s_cbranch_execz .LBB185_39
; %bb.38:
	s_movk_i32 s14, 0x108
	v_mad_u32_u24 v10, v11, s14, v8
	ds_read_b64 v[12:13], v10
	v_lshl_add_u32 v6, v5, 3, v6
	v_mul_u32_u24_e32 v10, 0x108, v11
	s_waitcnt lgkmcnt(0)
	ds_write_b64 v6, v[12:13] offset:24
.LBB185_39:
	s_or_b64 exec, exec, s[4:5]
	s_movk_i32 s4, 0x420
	v_mad_u32_u24 v11, v7, s4, v8
	s_waitcnt lgkmcnt(0)
	s_barrier
	v_lshlrev_b32_e32 v6, 3, v5
	ds_read_b64 v[23:24], v11
	ds_read_b128 v[11:14], v6 offset:9088
	ds_read_b128 v[15:18], v6 offset:9104
	s_movk_i32 s4, 0x108
	v_mov_b32_e32 v36, 0
	v_mov_b32_e32 v37, 0
	s_waitcnt lgkmcnt(1)
	v_mul_f32_e32 v26, v12, v24
	v_fma_f32 v30, v11, v23, -v26
	v_mul_f32_e32 v11, v11, v24
	v_mad_u32_u24 v24, v9, s4, v8
	ds_read2_b64 v[26:29], v24 offset1:33
	v_fmac_f32_e32 v11, v12, v23
	v_add_f32_e32 v12, 0, v30
	v_add_f32_e32 v11, 0, v11
	v_cmp_gt_u32_e64 s[4:5], 32, v25
	s_waitcnt lgkmcnt(0)
	v_mul_f32_e32 v23, v14, v27
	v_fma_f32 v23, v13, v26, -v23
	v_mul_f32_e32 v13, v13, v27
	v_fmac_f32_e32 v13, v14, v26
	v_add_f32_e32 v14, v12, v23
	v_add_u32_e32 v12, v8, v10
	v_add_f32_e32 v13, v11, v13
	ds_read_b64 v[10:11], v12
	v_mul_f32_e32 v23, v16, v29
	v_fma_f32 v23, v15, v28, -v23
	v_mul_f32_e32 v15, v15, v29
	v_fmac_f32_e32 v15, v16, v28
	v_add_f32_e32 v13, v13, v15
	s_waitcnt lgkmcnt(0)
	v_mul_f32_e32 v15, v18, v11
	v_mul_f32_e32 v11, v17, v11
	v_fmac_f32_e32 v11, v18, v10
	v_add_f32_e32 v11, v13, v11
	v_mul_u32_u24_e32 v13, 33, v1
	v_add_f32_e32 v14, v14, v23
	v_fma_f32 v15, v17, v10, -v15
	v_lshlrev_b32_e32 v26, 3, v13
	v_add_f32_e32 v10, v14, v15
	v_lshl_add_u32 v27, v7, 3, v26
	s_barrier
	ds_write_b64 v27, v[10:11]
	s_waitcnt lgkmcnt(0)
	s_barrier
	s_and_saveexec_b64 s[14:15], s[4:5]
	s_cbranch_execz .LBB185_41
; %bb.40:
	ds_read2_b64 v[13:16], v26 offset1:7
	ds_read2_b64 v[28:31], v26 offset0:1 offset1:2
	ds_read2_b64 v[36:39], v26 offset0:3 offset1:4
	s_waitcnt lgkmcnt(1)
	v_add_f32_e32 v10, v28, v13
	v_add_f32_e32 v11, v29, v14
	v_add_f32_e32 v10, v30, v10
	v_add_f32_e32 v11, v31, v11
	ds_read2_b64 v[28:31], v26 offset0:5 offset1:6
	s_waitcnt lgkmcnt(1)
	v_add_f32_e32 v10, v10, v36
	v_add_f32_e32 v11, v11, v37
	;; [unrolled: 1-line block ×4, first 2 shown]
	s_waitcnt lgkmcnt(0)
	v_add_f32_e32 v10, v10, v28
	v_add_f32_e32 v11, v11, v29
	;; [unrolled: 1-line block ×6, first 2 shown]
.LBB185_41:
	s_or_b64 exec, exec, s[14:15]
	s_lshl_b32 s14, s24, 5
	s_ashr_i32 s15, s14, 31
	s_lshl_b64 s[36:37], s[14:15], 3
	v_mov_b32_e32 v10, s37
	v_add_co_u32_e32 v3, vcc, s36, v3
	v_addc_co_u32_e32 v4, vcc, v4, v10, vcc
	v_add_co_u32_e32 v10, vcc, 0x100, v3
	v_addc_co_u32_e32 v11, vcc, 0, v4, vcc
	v_cndmask_b32_e64 v13, 0, 1, s[16:17]
	v_cmp_ne_u32_e64 s[14:15], 1, v13
	s_andn2_b64 vcc, exec, s[16:17]
	s_mov_b64 s[16:17], -1
	s_barrier
	s_cbranch_vccnz .LBB185_43
; %bb.42:
	s_lshl_b32 s16, s24, 3
	s_ashr_i32 s17, s16, 31
	s_lshl_b64 s[16:17], s[16:17], 3
	v_mov_b32_e32 v14, s17
	v_add_co_u32_e32 v13, vcc, s16, v3
	s_ashr_i32 s25, s24, 31
	v_addc_co_u32_e32 v14, vcc, v4, v14, vcc
	s_lshl_b64 s[16:17], s[24:25], 6
	v_mov_b32_e32 v18, s17
	v_add_co_u32_e32 v15, vcc, s16, v13
	v_addc_co_u32_e32 v16, vcc, v14, v18, vcc
	v_add_co_u32_e32 v17, vcc, s16, v15
	v_addc_co_u32_e32 v18, vcc, v16, v18, vcc
	flat_load_dwordx2 v[23:24], v[3:4] offset:256
	flat_load_dwordx2 v[28:29], v[13:14] offset:256
	;; [unrolled: 1-line block ×4, first 2 shown]
	s_movk_i32 s16, 0x108
	v_mad_u32_u24 v13, v7, s16, v8
	s_mov_b64 s[16:17], 0
	s_waitcnt vmcnt(0) lgkmcnt(0)
	ds_write_b64 v13, v[23:24]
	ds_write_b64 v13, v[28:29] offset:2112
	ds_write_b64 v13, v[30:31] offset:4224
	ds_write_b64 v13, v[32:33] offset:6336
.LBB185_43:
	s_andn2_b64 vcc, exec, s[16:17]
	s_cbranch_vccnz .LBB185_61
; %bb.44:
	v_sub_co_u32_e32 v3, vcc, v3, v8
	s_ashr_i32 s27, s26, 31
	v_subbrev_co_u32_e32 v4, vcc, 0, v4, vcc
	s_lshl_b64 s[38:39], s[26:27], 3
	v_mov_b32_e32 v14, s39
	v_add_co_u32_e32 v3, vcc, s38, v3
	v_addc_co_u32_e32 v4, vcc, v4, v14, vcc
	v_or_b32_e32 v13, 32, v1
	v_add_co_u32_e32 v3, vcc, -8, v3
	v_addc_co_u32_e32 v4, vcc, -1, v4, vcc
	v_cmp_gt_i32_e64 s[16:17], s26, v13
	s_sub_i32 s25, s26, 32
	v_cndmask_b32_e64 v4, v4, v11, s[16:17]
	v_cndmask_b32_e64 v3, v3, v10, s[16:17]
	v_cmp_le_i32_e32 vcc, s25, v7
	v_mul_u32_u24_e32 v13, 0x108, v7
	s_and_saveexec_b64 s[40:41], vcc
	s_xor_b64 s[40:41], exec, s[40:41]
; %bb.45:
	v_mov_b32_e32 v14, 0
	v_add_u32_e32 v16, v8, v13
	v_mov_b32_e32 v15, v14
	ds_write_b64 v16, v[14:15]
; %bb.46:
	s_andn2_saveexec_b64 s[40:41], s[40:41]
	s_cbranch_execz .LBB185_48
; %bb.47:
	flat_load_dwordx2 v[14:15], v[3:4]
	v_add_u32_e32 v16, v8, v13
	s_waitcnt vmcnt(0) lgkmcnt(0)
	ds_write_b64 v16, v[14:15]
.LBB185_48:
	s_or_b64 exec, exec, s[40:41]
	v_add_u32_e32 v14, 8, v7
	v_cmp_le_i32_e32 vcc, s25, v14
	s_and_saveexec_b64 s[40:41], vcc
	s_xor_b64 s[40:41], exec, s[40:41]
; %bb.49:
	v_mov_b32_e32 v14, 0
	v_add_u32_e32 v16, v13, v8
	v_mov_b32_e32 v15, v14
	ds_write_b64 v16, v[14:15] offset:2112
; %bb.50:
	s_andn2_saveexec_b64 s[40:41], s[40:41]
	s_cbranch_execz .LBB185_52
; %bb.51:
	s_lshl_b32 s44, s24, 3
	s_ashr_i32 s45, s44, 31
	s_lshl_b64 s[44:45], s[44:45], 3
	v_mov_b32_e32 v15, s45
	v_add_co_u32_e32 v14, vcc, s44, v3
	v_addc_co_u32_e32 v15, vcc, v4, v15, vcc
	flat_load_dwordx2 v[14:15], v[14:15]
	v_add_u32_e32 v16, v13, v8
	s_waitcnt vmcnt(0) lgkmcnt(0)
	ds_write_b64 v16, v[14:15] offset:2112
.LBB185_52:
	s_or_b64 exec, exec, s[40:41]
	v_add_u32_e32 v14, 16, v7
	v_cmp_le_i32_e32 vcc, s25, v14
	s_and_saveexec_b64 s[40:41], vcc
	s_xor_b64 s[40:41], exec, s[40:41]
; %bb.53:
	v_mov_b32_e32 v14, 0
	v_add_u32_e32 v16, v13, v8
	v_mov_b32_e32 v15, v14
	ds_write_b64 v16, v[14:15] offset:4224
; %bb.54:
	s_andn2_saveexec_b64 s[40:41], s[40:41]
	s_cbranch_execz .LBB185_56
; %bb.55:
	s_lshl_b32 s44, s24, 4
	s_ashr_i32 s45, s44, 31
	s_lshl_b64 s[44:45], s[44:45], 3
	v_mov_b32_e32 v15, s45
	v_add_co_u32_e32 v14, vcc, s44, v3
	v_addc_co_u32_e32 v15, vcc, v4, v15, vcc
	flat_load_dwordx2 v[14:15], v[14:15]
	v_add_u32_e32 v16, v13, v8
	s_waitcnt vmcnt(0) lgkmcnt(0)
	ds_write_b64 v16, v[14:15] offset:4224
.LBB185_56:
	s_or_b64 exec, exec, s[40:41]
	v_add_u32_e32 v14, 24, v7
	v_cmp_le_i32_e32 vcc, s25, v14
	s_and_saveexec_b64 s[40:41], vcc
	s_xor_b64 s[40:41], exec, s[40:41]
; %bb.57:
	v_add_u32_e32 v15, v13, v8
	v_mov_b32_e32 v13, 0
	v_mov_b32_e32 v14, v13
	ds_write_b64 v15, v[13:14] offset:6336
                                        ; implicit-def: $vgpr13
; %bb.58:
	s_andn2_saveexec_b64 s[40:41], s[40:41]
	s_cbranch_execz .LBB185_60
; %bb.59:
	s_mul_i32 s44, s24, 24
	s_ashr_i32 s45, s44, 31
	s_lshl_b64 s[44:45], s[44:45], 3
	v_mov_b32_e32 v15, s45
	v_add_co_u32_e32 v14, vcc, s44, v3
	v_addc_co_u32_e32 v15, vcc, v4, v15, vcc
	flat_load_dwordx2 v[14:15], v[14:15]
	v_add_u32_e32 v13, v13, v8
	s_waitcnt vmcnt(0) lgkmcnt(0)
	ds_write_b64 v13, v[14:15] offset:6336
.LBB185_60:
	s_or_b64 exec, exec, s[40:41]
	v_add_co_u32_e32 v3, vcc, v3, v8
	v_addc_co_u32_e32 v4, vcc, 0, v4, vcc
	v_mov_b32_e32 v13, s39
	v_subrev_co_u32_e32 v3, vcc, s38, v3
	v_subb_co_u32_e32 v4, vcc, v4, v13, vcc
	v_add_co_u32_e32 v3, vcc, 0x108, v3
	v_addc_co_u32_e32 v4, vcc, 0, v4, vcc
	v_cndmask_b32_e64 v11, v4, v11, s[16:17]
	v_cndmask_b32_e64 v10, v3, v10, s[16:17]
.LBB185_61:
	v_mul_u32_u24_e32 v4, 0x420, v7
	v_add_u32_e32 v6, 0x2380, v6
	v_mul_u32_u24_e32 v3, 0x108, v9
	v_add_u32_e32 v4, v8, v4
	s_waitcnt lgkmcnt(0)
	s_barrier
	s_and_saveexec_b64 s[16:17], s[18:19]
	s_cbranch_execnz .LBB185_70
; %bb.62:
	s_or_b64 exec, exec, s[16:17]
	v_add_u32_e32 v3, v8, v3
	s_and_saveexec_b64 s[16:17], s[8:9]
	s_cbranch_execnz .LBB185_71
.LBB185_63:
	s_or_b64 exec, exec, s[16:17]
	s_and_saveexec_b64 s[8:9], s[10:11]
	s_cbranch_execnz .LBB185_72
.LBB185_64:
	s_or_b64 exec, exec, s[8:9]
	s_and_saveexec_b64 s[8:9], s[12:13]
	s_cbranch_execz .LBB185_66
.LBB185_65:
	ds_read_b64 v[13:14], v12
	v_lshl_add_u32 v9, v5, 3, v26
	s_waitcnt lgkmcnt(0)
	ds_write_b64 v9, v[13:14] offset:24
.LBB185_66:
	s_or_b64 exec, exec, s[8:9]
	s_waitcnt lgkmcnt(0)
	s_barrier
	ds_read_b64 v[17:18], v4
	ds_read_b128 v[13:16], v6 offset:256
	ds_read_b128 v[28:31], v6 offset:272
	ds_read_b64 v[23:24], v12
	ds_read2_b64 v[38:41], v3 offset1:33
	v_cmp_eq_u32_e64 s[10:11], 1, v7
	s_waitcnt lgkmcnt(3)
	v_mul_f32_e32 v4, v14, v18
	v_mul_f32_e32 v3, v13, v18
	v_fma_f32 v4, v13, v17, -v4
	v_fmac_f32_e32 v3, v14, v17
	s_waitcnt lgkmcnt(0)
	v_mul_f32_e32 v9, v16, v39
	v_mul_f32_e32 v12, v15, v39
	v_add_f32_e32 v4, 0, v4
	v_add_f32_e32 v3, 0, v3
	v_fma_f32 v9, v15, v38, -v9
	v_fmac_f32_e32 v12, v16, v38
	v_add_f32_e32 v4, v4, v9
	v_add_f32_e32 v3, v3, v12
	v_mul_f32_e32 v9, v29, v41
	v_mul_f32_e32 v12, v28, v41
	v_fma_f32 v9, v28, v40, -v9
	v_fmac_f32_e32 v12, v29, v40
	v_add_f32_e32 v4, v4, v9
	v_add_f32_e32 v9, v3, v12
	v_mul_f32_e32 v3, v31, v24
	v_mul_f32_e32 v12, v30, v24
	v_fma_f32 v3, v30, v23, -v3
	v_fmac_f32_e32 v12, v31, v23
	v_add_f32_e32 v3, v4, v3
	v_add_f32_e32 v4, v9, v12
	s_barrier
	ds_write_b64 v27, v[3:4]
	s_waitcnt lgkmcnt(0)
	s_barrier
	s_and_saveexec_b64 s[8:9], s[10:11]
	s_cbranch_execz .LBB185_68
; %bb.67:
	ds_read2_b64 v[12:15], v26 offset1:7
	ds_read2_b64 v[28:31], v26 offset0:1 offset1:2
	ds_read2_b64 v[36:39], v26 offset0:3 offset1:4
	s_waitcnt lgkmcnt(1)
	v_add_f32_e32 v3, v28, v12
	v_add_f32_e32 v4, v29, v13
	;; [unrolled: 1-line block ×4, first 2 shown]
	ds_read2_b64 v[28:31], v26 offset0:5 offset1:6
	s_waitcnt lgkmcnt(1)
	v_add_f32_e32 v3, v3, v36
	v_add_f32_e32 v4, v4, v37
	;; [unrolled: 1-line block ×4, first 2 shown]
	s_waitcnt lgkmcnt(0)
	v_add_f32_e32 v3, v3, v28
	v_add_f32_e32 v4, v4, v29
	;; [unrolled: 1-line block ×6, first 2 shown]
.LBB185_68:
	s_or_b64 exec, exec, s[8:9]
	v_mov_b32_e32 v3, s37
	v_subrev_co_u32_e64 v23, s[8:9], s36, v10
	s_and_b64 vcc, exec, s[14:15]
	v_subb_co_u32_e64 v24, s[8:9], v11, v3, s[8:9]
	s_barrier
	s_cbranch_vccnz .LBB185_73
; %bb.69:
	s_lshl_b32 s8, s24, 3
	s_ashr_i32 s9, s8, 31
	s_lshl_b64 s[8:9], s[8:9], 3
	v_mov_b32_e32 v4, s9
	v_add_co_u32_e32 v3, vcc, s8, v23
	s_ashr_i32 s25, s24, 31
	v_addc_co_u32_e32 v4, vcc, v24, v4, vcc
	s_lshl_b64 s[8:9], s[24:25], 6
	v_mov_b32_e32 v12, s9
	v_add_co_u32_e32 v9, vcc, s8, v3
	v_addc_co_u32_e32 v10, vcc, v4, v12, vcc
	v_add_co_u32_e32 v11, vcc, s8, v9
	v_addc_co_u32_e32 v12, vcc, v10, v12, vcc
	flat_load_dwordx2 v[14:15], v[23:24]
	flat_load_dwordx2 v[16:17], v[3:4]
	flat_load_dwordx2 v[28:29], v[9:10]
	flat_load_dwordx2 v[30:31], v[11:12]
	s_movk_i32 s8, 0x108
	v_mov_b32_e32 v3, 0x840
	v_mov_b32_e32 v13, 0x1080
	;; [unrolled: 1-line block ×3, first 2 shown]
	v_mul_u32_u24_e32 v9, 0x108, v7
	v_add_u32_e32 v10, 8, v7
	v_add_u32_e32 v11, 16, v7
	;; [unrolled: 1-line block ×3, first 2 shown]
	v_mad_u32_u24 v32, v7, s8, v8
	v_mad_u32_u24 v4, v7, s8, v3
	;; [unrolled: 1-line block ×4, first 2 shown]
	v_add_u32_e32 v18, v8, v4
	v_add_u32_e32 v33, v8, v3
	;; [unrolled: 1-line block ×3, first 2 shown]
	s_waitcnt vmcnt(0) lgkmcnt(0)
	ds_write_b64 v32, v[14:15]
	ds_write_b64 v18, v[16:17]
	;; [unrolled: 1-line block ×4, first 2 shown]
	s_cbranch_execz .LBB185_74
	s_branch .LBB185_91
.LBB185_70:
	ds_read_b64 v[13:14], v4
	v_lshl_add_u32 v9, v5, 3, v26
	s_waitcnt lgkmcnt(0)
	ds_write_b64 v9, v[13:14]
	s_or_b64 exec, exec, s[16:17]
	v_add_u32_e32 v3, v8, v3
	s_and_saveexec_b64 s[16:17], s[8:9]
	s_cbranch_execz .LBB185_63
.LBB185_71:
	ds_read_b64 v[13:14], v3
	v_lshl_add_u32 v9, v5, 3, v26
	s_waitcnt lgkmcnt(0)
	ds_write_b64 v9, v[13:14] offset:8
	s_or_b64 exec, exec, s[16:17]
	s_and_saveexec_b64 s[8:9], s[10:11]
	s_cbranch_execz .LBB185_64
.LBB185_72:
	ds_read_b64 v[13:14], v3 offset:264
	v_lshl_add_u32 v9, v5, 3, v26
	s_waitcnt lgkmcnt(0)
	ds_write_b64 v9, v[13:14] offset:16
	s_or_b64 exec, exec, s[8:9]
	s_and_saveexec_b64 s[8:9], s[12:13]
	s_cbranch_execnz .LBB185_65
	s_branch .LBB185_66
.LBB185_73:
                                        ; implicit-def: $vgpr9
                                        ; implicit-def: $vgpr10
                                        ; implicit-def: $vgpr4
                                        ; implicit-def: $vgpr11
                                        ; implicit-def: $vgpr3
                                        ; implicit-def: $vgpr12
                                        ; implicit-def: $vgpr13
.LBB185_74:
	v_or_b32_e32 v1, 32, v1
	v_lshlrev_b32_e32 v3, 3, v1
	v_sub_co_u32_e32 v3, vcc, v23, v3
	s_ashr_i32 s27, s26, 31
	v_subbrev_co_u32_e32 v4, vcc, 0, v24, vcc
	s_lshl_b64 s[12:13], s[26:27], 3
	v_mov_b32_e32 v9, s13
	v_add_co_u32_e32 v3, vcc, s12, v3
	v_addc_co_u32_e32 v4, vcc, v4, v9, vcc
	v_add_co_u32_e32 v3, vcc, -8, v3
	v_addc_co_u32_e32 v4, vcc, -1, v4, vcc
	v_cmp_gt_i32_e64 s[8:9], s26, v1
	v_cndmask_b32_e64 v4, v4, v24, s[8:9]
	v_cndmask_b32_e64 v3, v3, v23, s[8:9]
	v_cmp_le_i32_e32 vcc, s26, v7
	v_mul_u32_u24_e32 v9, 0x108, v7
	s_and_saveexec_b64 s[14:15], vcc
	s_xor_b64 s[14:15], exec, s[14:15]
; %bb.75:
	v_mov_b32_e32 v10, 0
	v_add_u32_e32 v1, v8, v9
	v_mov_b32_e32 v11, v10
	ds_write_b64 v1, v[10:11]
; %bb.76:
	s_andn2_saveexec_b64 s[14:15], s[14:15]
	s_cbranch_execz .LBB185_78
; %bb.77:
	flat_load_dwordx2 v[10:11], v[3:4]
	v_add_u32_e32 v1, v8, v9
	s_waitcnt vmcnt(0) lgkmcnt(0)
	ds_write_b64 v1, v[10:11]
.LBB185_78:
	s_or_b64 exec, exec, s[14:15]
	v_add_u32_e32 v10, 8, v7
	v_cmp_le_i32_e32 vcc, s26, v10
	s_and_saveexec_b64 s[14:15], vcc
	s_xor_b64 s[14:15], exec, s[14:15]
; %bb.79:
	v_mov_b32_e32 v11, 0
	v_add_u32_e32 v1, v9, v8
	v_mov_b32_e32 v12, v11
	ds_write_b64 v1, v[11:12] offset:2112
; %bb.80:
	s_andn2_saveexec_b64 s[14:15], s[14:15]
	s_cbranch_execz .LBB185_82
; %bb.81:
	s_lshl_b32 s16, s24, 3
	s_ashr_i32 s17, s16, 31
	s_lshl_b64 s[16:17], s[16:17], 3
	v_mov_b32_e32 v1, s17
	v_add_co_u32_e32 v11, vcc, s16, v3
	v_addc_co_u32_e32 v12, vcc, v4, v1, vcc
	flat_load_dwordx2 v[11:12], v[11:12]
	v_add_u32_e32 v1, v9, v8
	s_waitcnt vmcnt(0) lgkmcnt(0)
	ds_write_b64 v1, v[11:12] offset:2112
.LBB185_82:
	s_or_b64 exec, exec, s[14:15]
	v_add_u32_e32 v11, 16, v7
	v_cmp_le_i32_e32 vcc, s26, v11
	s_and_saveexec_b64 s[14:15], vcc
	s_xor_b64 s[14:15], exec, s[14:15]
; %bb.83:
	v_mov_b32_e32 v12, 0
	v_add_u32_e32 v1, v9, v8
	v_mov_b32_e32 v13, v12
	ds_write_b64 v1, v[12:13] offset:4224
; %bb.84:
	s_andn2_saveexec_b64 s[14:15], s[14:15]
	s_cbranch_execz .LBB185_86
; %bb.85:
	s_lshl_b32 s16, s24, 4
	s_ashr_i32 s17, s16, 31
	s_lshl_b64 s[16:17], s[16:17], 3
	v_mov_b32_e32 v1, s17
	v_add_co_u32_e32 v12, vcc, s16, v3
	v_addc_co_u32_e32 v13, vcc, v4, v1, vcc
	flat_load_dwordx2 v[12:13], v[12:13]
	v_add_u32_e32 v1, v9, v8
	s_waitcnt vmcnt(0) lgkmcnt(0)
	ds_write_b64 v1, v[12:13] offset:4224
.LBB185_86:
	s_or_b64 exec, exec, s[14:15]
	v_add_u32_e32 v12, 24, v7
	v_cmp_le_i32_e32 vcc, s26, v12
                                        ; implicit-def: $vgpr13
	s_and_saveexec_b64 s[14:15], vcc
	s_xor_b64 s[14:15], exec, s[14:15]
; %bb.87:
	v_add_u32_e32 v13, 0x18c0, v9
	v_mov_b32_e32 v14, 0
	v_add_u32_e32 v1, v8, v13
	v_mov_b32_e32 v15, v14
	ds_write_b64 v1, v[14:15]
; %bb.88:
	s_andn2_saveexec_b64 s[14:15], s[14:15]
	s_cbranch_execz .LBB185_90
; %bb.89:
	s_mul_i32 s16, s24, 24
	s_ashr_i32 s17, s16, 31
	s_lshl_b64 s[16:17], s[16:17], 3
	v_mov_b32_e32 v1, s17
	v_add_co_u32_e32 v13, vcc, s16, v3
	v_addc_co_u32_e32 v14, vcc, v4, v1, vcc
	flat_load_dwordx2 v[14:15], v[13:14]
	v_add_u32_e32 v13, 0x18c0, v9
	v_add_u32_e32 v1, v8, v13
	s_waitcnt vmcnt(0) lgkmcnt(0)
	ds_write_b64 v1, v[14:15]
.LBB185_90:
	s_or_b64 exec, exec, s[14:15]
	v_add_co_u32_e32 v1, vcc, v3, v8
	v_addc_co_u32_e32 v3, vcc, 0, v4, vcc
	v_mov_b32_e32 v4, s13
	v_subrev_co_u32_e32 v1, vcc, s12, v1
	v_subb_co_u32_e32 v3, vcc, v3, v4, vcc
	v_add_co_u32_e32 v1, vcc, 0x108, v1
	v_addc_co_u32_e32 v3, vcc, 0, v3, vcc
	v_cndmask_b32_e64 v24, v3, v24, s[8:9]
	v_cndmask_b32_e64 v23, v1, v23, s[8:9]
	v_add_u32_e32 v4, 0x840, v9
	v_add_u32_e32 v3, 0x1080, v9
.LBB185_91:
	v_add_u32_e32 v1, v8, v9
	s_waitcnt lgkmcnt(0)
	s_barrier
	v_lshlrev_b32_e32 v7, 3, v7
	ds_read_b64 v[15:16], v1
	ds_read_b64 v[17:18], v7 offset:9088
	v_add_u32_e32 v1, v8, v4
	v_lshlrev_b32_e32 v4, 3, v10
	ds_read_b64 v[28:29], v1
	ds_read_b64 v[30:31], v4 offset:9088
	v_add_u32_e32 v3, v8, v3
	;; [unrolled: 4-line block ×3, first 2 shown]
	v_lshlrev_b32_e32 v7, 3, v12
	ds_read2_b32 v[40:41], v3 offset1:1
	ds_read_b64 v[42:43], v7 offset:9088
	s_waitcnt lgkmcnt(6)
	v_mul_f32_e32 v1, v18, v16
	v_fma_f32 v1, v17, v15, -v1
	s_waitcnt lgkmcnt(4)
	v_mul_f32_e32 v4, v31, v29
	v_add_f32_e32 v1, 0, v1
	v_fma_f32 v4, v30, v28, -v4
	s_waitcnt lgkmcnt(2)
	v_mul_f32_e32 v3, v39, v33
	v_add_f32_e32 v1, v1, v4
	v_fma_f32 v3, v38, v32, -v3
	v_add_f32_e32 v1, v1, v3
	s_waitcnt lgkmcnt(0)
	v_mul_f32_e32 v3, v43, v41
	v_fma_f32 v3, v42, v40, -v3
	v_mul_f32_e32 v34, v17, v16
	v_add_f32_e32 v44, v1, v3
	v_lshl_add_u32 v1, v5, 3, v26
	v_fmac_f32_e32 v34, v18, v15
	v_mul_f32_e32 v29, v30, v29
	ds_read_b128 v[11:14], v6 offset:256
	ds_read_b128 v[3:6], v6 offset:272
	ds_read2_b64 v[15:18], v1 offset1:1
	ds_read2_b64 v[7:10], v1 offset0:2 offset1:3
	v_add_f32_e32 v1, 0, v34
	v_fmac_f32_e32 v29, v31, v28
	v_mul_f32_e32 v28, v38, v33
	v_add_f32_e32 v1, v1, v29
	v_fmac_f32_e32 v28, v39, v32
	v_add_f32_e32 v1, v1, v28
	v_mul_f32_e32 v28, v42, v41
	v_fmac_f32_e32 v28, v43, v40
	v_add_f32_e32 v45, v1, v28
	s_waitcnt lgkmcnt(0)
	s_barrier
	ds_write_b64 v27, v[44:45]
	s_waitcnt lgkmcnt(0)
	s_barrier
	s_and_saveexec_b64 s[8:9], s[10:11]
	s_cbranch_execz .LBB185_93
; %bb.92:
	ds_read2_b64 v[28:31], v26 offset1:1
	ds_read2_b64 v[38:41], v26 offset0:2 offset1:3
	ds_read2_b64 v[42:45], v26 offset0:4 offset1:5
	s_waitcnt lgkmcnt(2)
	v_add_f32_e32 v1, v36, v28
	v_add_f32_e32 v28, v37, v29
	;; [unrolled: 1-line block ×3, first 2 shown]
	s_waitcnt lgkmcnt(1)
	v_add_f32_e32 v28, v28, v39
	v_add_f32_e32 v1, v1, v30
	;; [unrolled: 1-line block ×3, first 2 shown]
	ds_read2_b64 v[28:31], v26 offset0:6 offset1:7
	v_add_f32_e32 v1, v1, v38
	v_add_f32_e32 v1, v1, v40
	s_waitcnt lgkmcnt(1)
	v_add_f32_e32 v1, v1, v42
	v_add_f32_e32 v32, v32, v43
	;; [unrolled: 1-line block ×4, first 2 shown]
	s_waitcnt lgkmcnt(0)
	v_add_f32_e32 v1, v1, v28
	v_add_f32_e32 v28, v32, v29
	;; [unrolled: 1-line block ×4, first 2 shown]
.LBB185_93:
	s_or_b64 exec, exec, s[8:9]
	v_mul_f32_e32 v1, v12, v16
	v_fma_f32 v1, v11, v15, -v1
	v_mul_f32_e32 v11, v11, v16
	v_fmac_f32_e32 v11, v12, v15
	v_mul_f32_e32 v12, v14, v18
	v_add_f32_e32 v1, 0, v1
	v_fma_f32 v12, v13, v17, -v12
	v_mul_f32_e32 v13, v13, v18
	v_add_f32_e32 v1, v1, v12
	v_mul_f32_e32 v12, v4, v8
	v_add_f32_e32 v11, 0, v11
	v_fmac_f32_e32 v13, v14, v17
	v_fma_f32 v12, v3, v7, -v12
	v_mul_f32_e32 v3, v3, v8
	v_add_f32_e32 v11, v11, v13
	v_fmac_f32_e32 v3, v4, v7
	v_add_f32_e32 v4, v11, v3
	v_mul_f32_e32 v3, v6, v10
	v_fma_f32 v3, v5, v9, -v3
	v_mul_f32_e32 v5, v5, v10
	v_add_f32_e32 v1, v1, v12
	v_fmac_f32_e32 v5, v6, v9
	v_add_f32_e32 v3, v1, v3
	v_add_f32_e32 v4, v4, v5
	s_barrier
	ds_write_b64 v27, v[3:4]
	s_waitcnt lgkmcnt(0)
	s_barrier
	s_and_saveexec_b64 s[8:9], s[4:5]
	s_cbranch_execz .LBB185_95
; %bb.94:
	ds_read2_b64 v[3:6], v26 offset1:1
	ds_read2_b64 v[7:10], v26 offset0:2 offset1:3
	ds_read2_b64 v[11:14], v26 offset0:4 offset1:5
	s_waitcnt lgkmcnt(2)
	v_add_f32_e32 v1, v36, v3
	v_add_f32_e32 v3, v37, v4
	;; [unrolled: 1-line block ×4, first 2 shown]
	s_waitcnt lgkmcnt(1)
	v_add_f32_e32 v3, v3, v8
	v_add_f32_e32 v1, v1, v7
	;; [unrolled: 1-line block ×3, first 2 shown]
	ds_read2_b64 v[3:6], v26 offset0:6 offset1:7
	v_add_f32_e32 v1, v1, v9
	s_waitcnt lgkmcnt(1)
	v_add_f32_e32 v1, v1, v11
	v_add_f32_e32 v7, v7, v12
	v_add_f32_e32 v1, v1, v13
	v_add_f32_e32 v7, v7, v14
	s_waitcnt lgkmcnt(0)
	v_add_f32_e32 v1, v1, v3
	v_add_f32_e32 v3, v7, v4
	;; [unrolled: 1-line block ×4, first 2 shown]
.LBB185_95:
	s_or_b64 exec, exec, s[8:9]
	s_mul_hi_u32 s4, s21, s20
	s_mul_i32 s42, s42, s20
	s_add_i32 s4, s4, s42
	s_mul_i32 s8, s21, s20
	s_mul_i32 s4, s4, s33
	s_mul_hi_u32 s5, s8, s33
	s_add_i32 s5, s5, s4
	s_mul_i32 s4, s8, s33
	s_lshl_b64 s[4:5], s[4:5], 3
	s_add_u32 s8, s22, s4
	s_mul_i32 s4, s21, s6
	s_addc_u32 s9, s23, s5
	s_ashr_i32 s5, s4, 31
	s_lshl_b64 s[4:5], s[4:5], 3
	s_add_u32 s29, s8, s4
	v_cmp_le_i32_e32 vcc, s26, v0
	s_addc_u32 s33, s9, s5
	s_and_b64 s[4:5], s[34:35], vcc
	s_cmp_lt_i32 s6, 1
	v_lshlrev_b32_e32 v72, 3, v0
	s_barrier
	s_cbranch_scc1 .LBB185_102
; %bb.96:
	s_mul_i32 s8, s7, s28
	s_ashr_i32 s9, s8, 31
	s_lshl_b64 s[8:9], s[8:9], 3
	v_mov_b32_e32 v1, s9
	v_subrev_co_u32_e32 v73, vcc, s8, v19
	v_subb_co_u32_e32 v74, vcc, v20, v1, vcc
	v_mov_b32_e32 v1, s31
	v_subrev_co_u32_e32 v3, vcc, s30, v23
	v_mul_lo_u32 v4, v2, s24
	v_subb_co_u32_e32 v1, vcc, v24, v1, vcc
	v_add_co_u32_e32 v3, vcc, 0xffffff00, v3
	v_addc_co_u32_e32 v1, vcc, -1, v1, vcc
	v_sub_co_u32_e32 v7, vcc, v3, v21
	v_lshl_add_u32 v3, v4, 2, v0
	v_ashrrev_i32_e32 v4, 31, v3
	v_lshlrev_b64 v[3:4], 3, v[3:4]
	v_subb_co_u32_e32 v1, vcc, v1, v22, vcc
	v_add_co_u32_e32 v3, vcc, v7, v3
	v_addc_co_u32_e32 v4, vcc, v1, v4, vcc
	v_sub_co_u32_e32 v7, vcc, v3, v72
	s_ashr_i32 s27, s26, 31
	v_subbrev_co_u32_e32 v8, vcc, 0, v4, vcc
	s_lshl_b64 s[8:9], s[26:27], 3
	v_mov_b32_e32 v9, s9
	v_add_co_u32_e32 v7, vcc, s8, v7
	v_addc_co_u32_e32 v8, vcc, v8, v9, vcc
	v_add_co_u32_e32 v7, vcc, -8, v7
	v_addc_co_u32_e32 v8, vcc, -1, v8, vcc
	v_cndmask_b32_e64 v39, v4, v8, s[4:5]
	s_movk_i32 s8, 0x860
	v_and_b32_e32 v4, 48, v0
	v_lshrrev_b32_e32 v5, 4, v25
	v_and_b32_e32 v6, 15, v0
	v_cndmask_b32_e64 v38, v3, v7, s[4:5]
	v_mov_b32_e32 v3, 0x2180
	v_mad_u32_u24 v78, v2, s8, v72
	s_movk_i32 s8, 0x218
	v_lshlrev_b32_e32 v4, 3, v4
	v_lshl_add_u32 v76, v2, 5, v3
	v_lshlrev_b32_e32 v3, 5, v5
	v_mad_u32_u24 v80, v6, s8, v4
	v_or_b32_e32 v4, 0x78, v72
	s_ashr_i32 s25, s24, 31
	v_mad_u32_u24 v79, v6, s8, v3
	v_mul_i32_i24_e32 v3, 0xffffffe8, v5
	v_mad_u32_u24 v81, v6, s8, v4
	s_lshl_b64 s[10:11], s[24:25], 3
	s_lshl_b64 s[12:13], s[24:25], 4
	;; [unrolled: 1-line block ×3, first 2 shown]
	s_mul_hi_i32 s8, s24, 24
	s_lshl_b64 s[16:17], s[24:25], 7
	s_mul_hi_i32 s9, s24, 0x90
	s_mul_hi_i32 s21, s24, 0x98
	s_lshl_b64 s[18:19], s[24:25], 8
	s_mul_hi_i32 s22, s24, 0x110
	s_mul_hi_i32 s23, s24, 0x118
	;; [unrolled: 1-line block ×8, first 2 shown]
	v_mov_b32_e32 v1, 0
	s_lshl_b32 s7, s7, 6
	v_add_u32_e32 v75, 0x2180, v72
	v_add_u32_e32 v77, 0x2380, v72
	v_cmp_gt_u32_e32 vcc, 64, v25
	s_mul_i32 s26, s24, 24
	s_mul_i32 s27, s24, 0x90
	;; [unrolled: 1-line block ×10, first 2 shown]
	s_mulk_i32 s24, 0x88
	s_mov_b32 s20, 0
	v_mov_b32_e32 v82, s11
	v_mov_b32_e32 v83, s13
	;; [unrolled: 1-line block ×15, first 2 shown]
	v_add_u32_e32 v97, v79, v3
	v_mov_b32_e32 v98, s15
	s_branch .LBB185_98
.LBB185_97:                             ;   in Loop: Header=BB185_98 Depth=1
	s_or_b64 exec, exec, s[22:23]
	v_mul_f32_e32 v99, v8, v41
	v_fma_f32 v99, v7, v40, -v99
	v_mul_f32_e32 v8, v8, v40
	v_mul_f32_e32 v40, v10, v43
	v_add_f32_e32 v36, v36, v99
	v_fma_f32 v40, v9, v42, -v40
	v_mul_f32_e32 v10, v10, v42
	v_add_f32_e32 v36, v36, v40
	v_mul_f32_e32 v40, v4, v45
	v_fmac_f32_e32 v8, v7, v41
	v_fma_f32 v40, v3, v44, -v40
	v_mul_f32_e32 v4, v4, v44
	v_add_f32_e32 v7, v37, v8
	v_fmac_f32_e32 v10, v9, v43
	v_add_f32_e32 v36, v36, v40
	v_mul_f32_e32 v40, v6, v47
	v_mul_f32_e32 v6, v6, v46
	v_add_f32_e32 v7, v7, v10
	v_fmac_f32_e32 v4, v3, v45
	v_fma_f32 v40, v5, v46, -v40
	v_add_f32_e32 v3, v7, v4
	v_fmac_f32_e32 v6, v5, v47
	v_mul_f32_e32 v4, v16, v53
	v_add_f32_e32 v36, v36, v40
	v_add_f32_e32 v3, v3, v6
	v_fma_f32 v4, v15, v52, -v4
	v_mul_f32_e32 v6, v18, v51
	v_add_f32_e32 v4, v36, v4
	v_fma_f32 v6, v17, v50, -v6
	v_add_f32_e32 v4, v4, v6
	v_mul_f32_e32 v6, v12, v49
	v_mul_f32_e32 v5, v16, v52
	v_fma_f32 v6, v11, v48, -v6
	v_add_f32_e32 v4, v4, v6
	v_mul_f32_e32 v6, v14, v55
	v_fmac_f32_e32 v5, v15, v53
	v_fma_f32 v6, v13, v54, -v6
	v_add_f32_e32 v3, v3, v5
	v_mul_f32_e32 v5, v24, v61
	v_add_f32_e32 v4, v4, v6
	v_fma_f32 v5, v23, v60, -v5
	v_add_f32_e32 v4, v4, v5
	v_mul_f32_e32 v5, v26, v57
	v_fma_f32 v5, v25, v56, -v5
	v_mul_f32_e32 v7, v18, v50
	v_add_f32_e32 v4, v4, v5
	v_mul_f32_e32 v5, v20, v59
	v_mul_f32_e32 v8, v12, v48
	v_fmac_f32_e32 v7, v17, v51
	v_fma_f32 v5, v19, v58, -v5
	v_mul_f32_e32 v9, v14, v54
	v_add_f32_e32 v3, v3, v7
	v_fmac_f32_e32 v8, v11, v49
	v_add_f32_e32 v4, v4, v5
	v_mul_f32_e32 v5, v22, v63
	v_add_f32_e32 v3, v3, v8
	v_fmac_f32_e32 v9, v13, v55
	v_mul_f32_e32 v6, v24, v60
	v_fma_f32 v5, v21, v62, -v5
	v_add_f32_e32 v3, v3, v9
	v_mul_f32_e32 v7, v26, v56
	v_add_f32_e32 v4, v4, v5
	v_fmac_f32_e32 v6, v23, v61
	v_mul_f32_e32 v5, v32, v69
	v_mul_f32_e32 v8, v20, v58
	v_add_f32_e32 v3, v3, v6
	v_fmac_f32_e32 v7, v25, v57
	v_fma_f32 v5, v31, v68, -v5
	v_mul_f32_e32 v9, v22, v62
	v_add_f32_e32 v3, v3, v7
	v_fmac_f32_e32 v8, v19, v59
	v_add_f32_e32 v4, v4, v5
	v_mul_f32_e32 v5, v34, v67
	v_add_f32_e32 v3, v3, v8
	v_fmac_f32_e32 v9, v21, v63
	v_mul_f32_e32 v6, v32, v68
	v_fma_f32 v5, v33, v66, -v5
	v_add_f32_e32 v3, v3, v9
	v_mul_f32_e32 v7, v34, v66
	v_add_f32_e32 v4, v4, v5
	v_mul_f32_e32 v5, v28, v65
	v_fmac_f32_e32 v6, v31, v69
	v_fma_f32 v5, v27, v64, -v5
	v_mul_f32_e32 v8, v28, v64
	v_fmac_f32_e32 v7, v33, v67
	v_add_f32_e32 v3, v3, v6
	v_add_f32_e32 v4, v4, v5
	v_mul_f32_e32 v5, v30, v71
	v_mul_f32_e32 v9, v30, v70
	v_fmac_f32_e32 v8, v27, v65
	v_add_f32_e32 v3, v3, v7
	v_fma_f32 v5, v29, v70, -v5
	v_fmac_f32_e32 v9, v29, v71
	v_add_f32_e32 v3, v3, v8
	v_add_co_u32_e64 v38, s[8:9], s14, v38
	s_add_i32 s6, s6, -1
	s_add_i32 s20, s20, s7
	v_add_f32_e32 v36, v4, v5
	v_add_f32_e32 v37, v3, v9
	v_addc_co_u32_e64 v39, s[8:9], v39, v98, s[8:9]
	s_cmp_eq_u32 s6, 0
	v_add_u32_e32 v0, 64, v0
	s_waitcnt vmcnt(0)
	s_barrier
	s_cbranch_scc1 .LBB185_102
.LBB185_98:                             ; =>This Inner Loop Header: Depth=1
	s_and_saveexec_b64 s[22:23], s[2:3]
	s_cbranch_execz .LBB185_100
; %bb.99:                               ;   in Loop: Header=BB185_98 Depth=1
	s_ashr_i32 s21, s20, 31
	s_lshl_b64 s[8:9], s[20:21], 3
	v_mov_b32_e32 v4, s9
	v_add_co_u32_e64 v3, s[8:9], s8, v73
	v_addc_co_u32_e64 v4, s[8:9], v74, v4, s[8:9]
	flat_load_dwordx2 v[3:4], v[3:4]
	s_waitcnt vmcnt(0) lgkmcnt(0)
	ds_write_b64 v75, v[3:4]
.LBB185_100:                            ;   in Loop: Header=BB185_98 Depth=1
	s_or_b64 exec, exec, s[22:23]
	v_add_co_u32_e64 v3, s[8:9], s10, v38
	v_addc_co_u32_e64 v4, s[8:9], v39, v82, s[8:9]
	v_add_co_u32_e64 v5, s[8:9], s12, v38
	v_addc_co_u32_e64 v6, s[8:9], v39, v83, s[8:9]
	s_waitcnt lgkmcnt(0)
	s_barrier
	flat_load_dwordx2 v[40:41], v[38:39]
	flat_load_dwordx2 v[42:43], v[3:4]
	;; [unrolled: 1-line block ×3, first 2 shown]
	v_add_co_u32_e64 v3, s[8:9], s26, v38
	v_addc_co_u32_e64 v4, s[8:9], v39, v84, s[8:9]
	flat_load_dwordx2 v[46:47], v[3:4]
	v_add_co_u32_e64 v13, s[8:9], s16, v38
	v_addc_co_u32_e64 v14, s[8:9], v39, v85, s[8:9]
	ds_read_b64 v[11:12], v77
	ds_read_b128 v[7:10], v76
	ds_read_b128 v[3:6], v76 offset:16
	v_add_co_u32_e64 v15, s[8:9], s24, v38
	v_addc_co_u32_e64 v16, s[8:9], v39, v86, s[8:9]
	v_add_co_u32_e64 v17, s[8:9], s27, v38
	v_addc_co_u32_e64 v18, s[8:9], v39, v87, s[8:9]
	s_waitcnt vmcnt(0) lgkmcnt(0)
	v_mul_f32_e32 v19, v12, v41
	v_mul_f32_e32 v20, v12, v40
	v_mul_f32_e32 v21, v12, v43
	v_mul_f32_e32 v22, v12, v42
	v_mul_f32_e32 v23, v12, v45
	v_mul_f32_e32 v24, v12, v44
	v_mul_f32_e32 v25, v12, v47
	v_fma_f32 v19, v11, v40, -v19
	v_fmac_f32_e32 v20, v11, v41
	v_mul_f32_e32 v26, v11, v47
	v_fma_f32 v21, v11, v42, -v21
	v_fmac_f32_e32 v22, v11, v43
	v_fma_f32 v23, v11, v44, -v23
	v_fma_f32 v25, v11, v46, -v25
	v_fmac_f32_e32 v24, v11, v45
	v_add_co_u32_e64 v11, s[8:9], s28, v38
	v_fmac_f32_e32 v26, v12, v46
	ds_write2_b64 v78, v[19:20], v[21:22] offset1:67
	ds_write2_b64 v78, v[23:24], v[25:26] offset0:134 offset1:201
	s_waitcnt lgkmcnt(0)
	s_barrier
	ds_read2_b64 v[27:30], v79 offset1:1
	ds_read2_b64 v[31:34], v79 offset0:2 offset1:3
	s_waitcnt lgkmcnt(0)
	s_barrier
	flat_load_dwordx2 v[52:53], v[13:14]
	flat_load_dwordx2 v[50:51], v[15:16]
	;; [unrolled: 1-line block ×3, first 2 shown]
	v_addc_co_u32_e64 v12, s[8:9], v39, v88, s[8:9]
	flat_load_dwordx2 v[54:55], v[11:12]
	ds_read_b64 v[23:24], v77
	v_add_co_u32_e64 v19, s[8:9], s18, v38
	v_addc_co_u32_e64 v20, s[8:9], v39, v89, s[8:9]
	v_add_co_u32_e64 v21, s[8:9], s37, v38
	v_addc_co_u32_e64 v22, s[8:9], v39, v90, s[8:9]
	;; [unrolled: 2-line block ×3, first 2 shown]
	ds_read_b128 v[15:18], v76 offset:128
	ds_read_b128 v[11:14], v76 offset:144
	v_add_f32_e32 v27, 0, v27
	v_add_f32_e32 v28, 0, v28
	v_add_f32_e32 v27, v27, v29
	v_add_f32_e32 v28, v28, v30
	v_add_f32_e32 v27, v27, v31
	v_add_f32_e32 v28, v28, v32
	s_waitcnt vmcnt(0) lgkmcnt(0)
	v_mul_f32_e32 v56, v24, v53
	v_mul_f32_e32 v57, v24, v52
	;; [unrolled: 1-line block ×8, first 2 shown]
	v_fma_f32 v56, v23, v52, -v56
	v_fma_f32 v58, v23, v50, -v58
	;; [unrolled: 1-line block ×3, first 2 shown]
	v_fmac_f32_e32 v57, v23, v53
	v_fmac_f32_e32 v59, v23, v51
	;; [unrolled: 1-line block ×3, first 2 shown]
	v_fma_f32 v62, v23, v54, -v62
	v_fmac_f32_e32 v63, v24, v54
	ds_write2_b64 v78, v[56:57], v[58:59] offset1:67
	ds_write2_b64 v78, v[60:61], v[62:63] offset0:134 offset1:201
	s_waitcnt lgkmcnt(0)
	s_barrier
	ds_read2_b64 v[99:102], v79 offset1:1
	ds_read2_b64 v[103:106], v79 offset0:2 offset1:3
	s_waitcnt lgkmcnt(0)
	s_barrier
	flat_load_dwordx2 v[60:61], v[19:20]
	flat_load_dwordx2 v[56:57], v[21:22]
	;; [unrolled: 1-line block ×3, first 2 shown]
	v_add_co_u32_e64 v19, s[8:9], s30, v38
	v_addc_co_u32_e64 v20, s[8:9], v39, v92, s[8:9]
	flat_load_dwordx2 v[62:63], v[19:20]
	ds_read_b64 v[64:65], v77
	v_add_co_u32_e64 v70, s[8:9], s31, v38
	v_addc_co_u32_e64 v71, s[8:9], v39, v93, s[8:9]
	v_add_co_u32_e64 v115, s[8:9], s36, v38
	v_addc_co_u32_e64 v116, s[8:9], v39, v94, s[8:9]
	;; [unrolled: 2-line block ×3, first 2 shown]
	ds_read_b128 v[23:26], v76 offset:256
	ds_read_b128 v[19:22], v76 offset:272
	s_waitcnt vmcnt(0) lgkmcnt(0)
	v_mul_f32_e32 v66, v65, v61
	v_mul_f32_e32 v67, v65, v60
	;; [unrolled: 1-line block ×6, first 2 shown]
	v_fma_f32 v66, v64, v60, -v66
	v_mul_f32_e32 v109, v65, v63
	v_mul_f32_e32 v110, v64, v63
	v_fma_f32 v68, v64, v56, -v68
	v_fmac_f32_e32 v67, v64, v61
	v_fmac_f32_e32 v69, v64, v57
	v_fma_f32 v107, v64, v58, -v107
	v_fma_f32 v109, v64, v62, -v109
	v_fmac_f32_e32 v108, v64, v59
	v_fmac_f32_e32 v110, v65, v62
	ds_write2_b64 v78, v[66:67], v[68:69] offset1:67
	ds_write2_b64 v78, v[107:108], v[109:110] offset0:134 offset1:201
	s_waitcnt lgkmcnt(0)
	s_barrier
	ds_read2_b64 v[107:110], v79 offset1:1
	ds_read2_b64 v[111:114], v79 offset0:2 offset1:3
	s_waitcnt lgkmcnt(0)
	s_barrier
	flat_load_dwordx2 v[68:69], v[70:71]
	flat_load_dwordx2 v[66:67], v[115:116]
	;; [unrolled: 1-line block ×3, first 2 shown]
	v_add_co_u32_e64 v70, s[8:9], s35, v38
	v_addc_co_u32_e64 v71, s[8:9], v39, v96, s[8:9]
	flat_load_dwordx2 v[70:71], v[70:71]
	v_add_f32_e32 v115, v27, v33
	v_add_f32_e32 v116, v28, v34
	;; [unrolled: 1-line block ×10, first 2 shown]
	ds_read_b64 v[99:100], v77
	ds_read_b128 v[31:34], v76 offset:384
	ds_read_b128 v[27:30], v76 offset:400
	v_add_f32_e32 v101, 0, v107
	v_add_f32_e32 v102, 0, v108
	;; [unrolled: 1-line block ×8, first 2 shown]
	s_waitcnt vmcnt(0) lgkmcnt(0)
	v_mul_f32_e32 v101, v100, v69
	v_mul_f32_e32 v102, v100, v68
	;; [unrolled: 1-line block ×6, first 2 shown]
	v_fma_f32 v101, v99, v68, -v101
	v_mul_f32_e32 v109, v100, v71
	v_mul_f32_e32 v110, v99, v71
	v_fma_f32 v103, v99, v66, -v103
	v_fmac_f32_e32 v102, v99, v69
	v_fmac_f32_e32 v104, v99, v67
	v_fma_f32 v105, v99, v64, -v105
	v_fmac_f32_e32 v106, v99, v65
	v_fma_f32 v109, v99, v70, -v109
	v_fmac_f32_e32 v110, v100, v70
	ds_write2_b64 v78, v[101:102], v[103:104] offset1:67
	ds_write2_b64 v78, v[105:106], v[109:110] offset0:134 offset1:201
	s_waitcnt lgkmcnt(0)
	s_barrier
	ds_read2_b64 v[99:102], v79 offset1:1
	ds_read2_b64 v[103:106], v79 offset0:2 offset1:3
	s_waitcnt lgkmcnt(0)
	s_barrier
	v_add_f32_e32 v99, 0, v99
	v_add_f32_e32 v100, 0, v100
	;; [unrolled: 1-line block ×8, first 2 shown]
	ds_write2_b64 v97, v[115:116], v[117:118] offset1:16
	ds_write2_b64 v97, v[107:108], v[99:100] offset0:32 offset1:48
	s_waitcnt lgkmcnt(0)
	s_barrier
	s_and_saveexec_b64 s[22:23], vcc
	s_cbranch_execz .LBB185_97
; %bb.101:                              ;   in Loop: Header=BB185_98 Depth=1
	ds_read_b64 v[107:108], v80
	ds_read2_b64 v[99:102], v80 offset0:1 offset1:2
	ds_read2_b64 v[103:106], v80 offset0:3 offset1:4
	s_waitcnt lgkmcnt(1)
	v_add_f32_e32 v99, v99, v107
	v_add_f32_e32 v100, v100, v108
	;; [unrolled: 1-line block ×4, first 2 shown]
	ds_read2_b64 v[99:102], v80 offset0:5 offset1:6
	s_waitcnt lgkmcnt(1)
	v_add_f32_e32 v103, v107, v103
	v_add_f32_e32 v104, v108, v104
	;; [unrolled: 1-line block ×4, first 2 shown]
	s_waitcnt lgkmcnt(0)
	v_add_f32_e32 v99, v103, v99
	ds_read2_b64 v[103:106], v80 offset0:7 offset1:8
	v_add_f32_e32 v100, v107, v100
	v_add_f32_e32 v107, v99, v101
	;; [unrolled: 1-line block ×3, first 2 shown]
	ds_read2_b64 v[99:102], v80 offset0:9 offset1:10
	s_waitcnt lgkmcnt(1)
	v_add_f32_e32 v103, v107, v103
	v_add_f32_e32 v104, v108, v104
	;; [unrolled: 1-line block ×4, first 2 shown]
	s_waitcnt lgkmcnt(0)
	v_add_f32_e32 v99, v103, v99
	ds_read2_b64 v[103:106], v80 offset0:11 offset1:12
	v_add_f32_e32 v100, v107, v100
	v_add_f32_e32 v107, v99, v101
	;; [unrolled: 1-line block ×3, first 2 shown]
	ds_read2_b64 v[99:102], v80 offset0:13 offset1:14
	s_waitcnt lgkmcnt(1)
	v_add_f32_e32 v103, v107, v103
	v_add_f32_e32 v104, v108, v104
	;; [unrolled: 1-line block ×4, first 2 shown]
	ds_read_b64 v[103:104], v81
	s_waitcnt lgkmcnt(1)
	v_add_f32_e32 v99, v105, v99
	v_add_f32_e32 v100, v106, v100
	v_add_f32_e32 v99, v99, v101
	v_add_f32_e32 v100, v100, v102
	v_lshlrev_b64 v[101:102], 3, v[0:1]
	s_waitcnt lgkmcnt(0)
	v_add_f32_e32 v99, v99, v103
	v_mov_b32_e32 v103, s33
	v_add_co_u32_e64 v101, s[8:9], s29, v101
	v_add_f32_e32 v100, v100, v104
	v_addc_co_u32_e64 v102, s[8:9], v103, v102, s[8:9]
	global_store_dwordx2 v[101:102], v[99:100], off
	s_branch .LBB185_97
.LBB185_102:
	s_movk_i32 s2, 0x218
	v_mad_u32_u24 v0, v2, s2, v72
	s_nor_b64 s[0:1], s[0:1], s[4:5]
	ds_write_b64 v0, v[36:37]
	s_waitcnt lgkmcnt(0)
	s_barrier
	s_and_saveexec_b64 s[2:3], s[0:1]
	s_cbranch_execz .LBB185_104
; %bb.103:
	ds_read2_b64 v[0:3], v72 offset1:67
	ds_read2_b64 v[4:7], v72 offset0:134 offset1:201
	v_ashrrev_i32_e32 v36, 31, v35
	s_waitcnt lgkmcnt(1)
	v_add_f32_e32 v0, v2, v0
	v_add_f32_e32 v1, v3, v1
	v_lshlrev_b64 v[2:3], 3, v[35:36]
	s_waitcnt lgkmcnt(0)
	v_add_f32_e32 v0, v4, v0
	v_add_f32_e32 v1, v5, v1
	v_mov_b32_e32 v4, s33
	v_add_co_u32_e32 v2, vcc, s29, v2
	v_add_f32_e32 v0, v0, v6
	v_add_f32_e32 v1, v1, v7
	v_addc_co_u32_e32 v3, vcc, v4, v3, vcc
	global_store_dwordx2 v[2:3], v[0:1], off
.LBB185_104:
	s_endpgm
	.section	.rodata,"a",@progbits
	.p2align	6, 0x0
	.amdhsa_kernel _ZL26rocblas_hemvn_kernel_lowerILb0ELi64ELi4ELi33ELi32ELi16EiPK19rocblas_complex_numIfEPKS3_PS1_EviT6_lT7_lT5_lS8_lS9_lS7_lT8_i
		.amdhsa_group_segment_fixed_size 9600
		.amdhsa_private_segment_fixed_size 0
		.amdhsa_kernarg_size 376
		.amdhsa_user_sgpr_count 6
		.amdhsa_user_sgpr_private_segment_buffer 1
		.amdhsa_user_sgpr_dispatch_ptr 0
		.amdhsa_user_sgpr_queue_ptr 0
		.amdhsa_user_sgpr_kernarg_segment_ptr 1
		.amdhsa_user_sgpr_dispatch_id 0
		.amdhsa_user_sgpr_flat_scratch_init 0
		.amdhsa_user_sgpr_private_segment_size 0
		.amdhsa_uses_dynamic_stack 0
		.amdhsa_system_sgpr_private_segment_wavefront_offset 0
		.amdhsa_system_sgpr_workgroup_id_x 1
		.amdhsa_system_sgpr_workgroup_id_y 0
		.amdhsa_system_sgpr_workgroup_id_z 1
		.amdhsa_system_sgpr_workgroup_info 0
		.amdhsa_system_vgpr_workitem_id 1
		.amdhsa_next_free_vgpr 119
		.amdhsa_next_free_sgpr 93
		.amdhsa_reserve_vcc 1
		.amdhsa_reserve_flat_scratch 0
		.amdhsa_float_round_mode_32 0
		.amdhsa_float_round_mode_16_64 0
		.amdhsa_float_denorm_mode_32 3
		.amdhsa_float_denorm_mode_16_64 3
		.amdhsa_dx10_clamp 1
		.amdhsa_ieee_mode 1
		.amdhsa_fp16_overflow 0
		.amdhsa_exception_fp_ieee_invalid_op 0
		.amdhsa_exception_fp_denorm_src 0
		.amdhsa_exception_fp_ieee_div_zero 0
		.amdhsa_exception_fp_ieee_overflow 0
		.amdhsa_exception_fp_ieee_underflow 0
		.amdhsa_exception_fp_ieee_inexact 0
		.amdhsa_exception_int_div_zero 0
	.end_amdhsa_kernel
	.section	.text._ZL26rocblas_hemvn_kernel_lowerILb0ELi64ELi4ELi33ELi32ELi16EiPK19rocblas_complex_numIfEPKS3_PS1_EviT6_lT7_lT5_lS8_lS9_lS7_lT8_i,"axG",@progbits,_ZL26rocblas_hemvn_kernel_lowerILb0ELi64ELi4ELi33ELi32ELi16EiPK19rocblas_complex_numIfEPKS3_PS1_EviT6_lT7_lT5_lS8_lS9_lS7_lT8_i,comdat
.Lfunc_end185:
	.size	_ZL26rocblas_hemvn_kernel_lowerILb0ELi64ELi4ELi33ELi32ELi16EiPK19rocblas_complex_numIfEPKS3_PS1_EviT6_lT7_lT5_lS8_lS9_lS7_lT8_i, .Lfunc_end185-_ZL26rocblas_hemvn_kernel_lowerILb0ELi64ELi4ELi33ELi32ELi16EiPK19rocblas_complex_numIfEPKS3_PS1_EviT6_lT7_lT5_lS8_lS9_lS7_lT8_i
                                        ; -- End function
	.set _ZL26rocblas_hemvn_kernel_lowerILb0ELi64ELi4ELi33ELi32ELi16EiPK19rocblas_complex_numIfEPKS3_PS1_EviT6_lT7_lT5_lS8_lS9_lS7_lT8_i.num_vgpr, 119
	.set _ZL26rocblas_hemvn_kernel_lowerILb0ELi64ELi4ELi33ELi32ELi16EiPK19rocblas_complex_numIfEPKS3_PS1_EviT6_lT7_lT5_lS8_lS9_lS7_lT8_i.num_agpr, 0
	.set _ZL26rocblas_hemvn_kernel_lowerILb0ELi64ELi4ELi33ELi32ELi16EiPK19rocblas_complex_numIfEPKS3_PS1_EviT6_lT7_lT5_lS8_lS9_lS7_lT8_i.numbered_sgpr, 46
	.set _ZL26rocblas_hemvn_kernel_lowerILb0ELi64ELi4ELi33ELi32ELi16EiPK19rocblas_complex_numIfEPKS3_PS1_EviT6_lT7_lT5_lS8_lS9_lS7_lT8_i.num_named_barrier, 0
	.set _ZL26rocblas_hemvn_kernel_lowerILb0ELi64ELi4ELi33ELi32ELi16EiPK19rocblas_complex_numIfEPKS3_PS1_EviT6_lT7_lT5_lS8_lS9_lS7_lT8_i.private_seg_size, 0
	.set _ZL26rocblas_hemvn_kernel_lowerILb0ELi64ELi4ELi33ELi32ELi16EiPK19rocblas_complex_numIfEPKS3_PS1_EviT6_lT7_lT5_lS8_lS9_lS7_lT8_i.uses_vcc, 1
	.set _ZL26rocblas_hemvn_kernel_lowerILb0ELi64ELi4ELi33ELi32ELi16EiPK19rocblas_complex_numIfEPKS3_PS1_EviT6_lT7_lT5_lS8_lS9_lS7_lT8_i.uses_flat_scratch, 0
	.set _ZL26rocblas_hemvn_kernel_lowerILb0ELi64ELi4ELi33ELi32ELi16EiPK19rocblas_complex_numIfEPKS3_PS1_EviT6_lT7_lT5_lS8_lS9_lS7_lT8_i.has_dyn_sized_stack, 0
	.set _ZL26rocblas_hemvn_kernel_lowerILb0ELi64ELi4ELi33ELi32ELi16EiPK19rocblas_complex_numIfEPKS3_PS1_EviT6_lT7_lT5_lS8_lS9_lS7_lT8_i.has_recursion, 0
	.set _ZL26rocblas_hemvn_kernel_lowerILb0ELi64ELi4ELi33ELi32ELi16EiPK19rocblas_complex_numIfEPKS3_PS1_EviT6_lT7_lT5_lS8_lS9_lS7_lT8_i.has_indirect_call, 0
	.section	.AMDGPU.csdata,"",@progbits
; Kernel info:
; codeLenInByte = 7384
; TotalNumSgprs: 50
; NumVgprs: 119
; ScratchSize: 0
; MemoryBound: 1
; FloatMode: 240
; IeeeMode: 1
; LDSByteSize: 9600 bytes/workgroup (compile time only)
; SGPRBlocks: 12
; VGPRBlocks: 29
; NumSGPRsForWavesPerEU: 97
; NumVGPRsForWavesPerEU: 119
; Occupancy: 2
; WaveLimiterHint : 1
; COMPUTE_PGM_RSRC2:SCRATCH_EN: 0
; COMPUTE_PGM_RSRC2:USER_SGPR: 6
; COMPUTE_PGM_RSRC2:TRAP_HANDLER: 0
; COMPUTE_PGM_RSRC2:TGID_X_EN: 1
; COMPUTE_PGM_RSRC2:TGID_Y_EN: 0
; COMPUTE_PGM_RSRC2:TGID_Z_EN: 1
; COMPUTE_PGM_RSRC2:TIDIG_COMP_CNT: 1
	.section	.text._ZL26rocblas_hemvn_kernel_lowerILb0ELi64ELi4ELi33ELi32ELi16El19rocblas_complex_numIfEPKPKS1_PS1_EviT6_lT7_lT5_lS8_lS9_lS7_lT8_i,"axG",@progbits,_ZL26rocblas_hemvn_kernel_lowerILb0ELi64ELi4ELi33ELi32ELi16El19rocblas_complex_numIfEPKPKS1_PS1_EviT6_lT7_lT5_lS8_lS9_lS7_lT8_i,comdat
	.globl	_ZL26rocblas_hemvn_kernel_lowerILb0ELi64ELi4ELi33ELi32ELi16El19rocblas_complex_numIfEPKPKS1_PS1_EviT6_lT7_lT5_lS8_lS9_lS7_lT8_i ; -- Begin function _ZL26rocblas_hemvn_kernel_lowerILb0ELi64ELi4ELi33ELi32ELi16El19rocblas_complex_numIfEPKPKS1_PS1_EviT6_lT7_lT5_lS8_lS9_lS7_lT8_i
	.p2align	8
	.type	_ZL26rocblas_hemvn_kernel_lowerILb0ELi64ELi4ELi33ELi32ELi16El19rocblas_complex_numIfEPKPKS1_PS1_EviT6_lT7_lT5_lS8_lS9_lS7_lT8_i,@function
_ZL26rocblas_hemvn_kernel_lowerILb0ELi64ELi4ELi33ELi32ELi16El19rocblas_complex_numIfEPKPKS1_PS1_EviT6_lT7_lT5_lS8_lS9_lS7_lT8_i: ; @_ZL26rocblas_hemvn_kernel_lowerILb0ELi64ELi4ELi33ELi32ELi16El19rocblas_complex_numIfEPKPKS1_PS1_EviT6_lT7_lT5_lS8_lS9_lS7_lT8_i
; %bb.0:
	s_load_dwordx2 s[2:3], s[4:5], 0x84
	s_add_u32 s0, s4, 0x78
	s_mov_b32 s28, s7
	s_addc_u32 s1, s5, 0
	s_waitcnt lgkmcnt(0)
	s_lshr_b32 s7, s2, 16
	s_and_b32 s2, s2, 0xffff
	s_and_b32 s3, s3, 0xffff
	s_mul_i32 s2, s7, s2
	s_mul_i32 s2, s2, s3
	s_cmpk_lg_i32 s2, 0x100
	s_cbranch_scc1 .LBB186_104
; %bb.1:
	s_load_dwordx2 s[2:3], s[4:5], 0x4
	s_waitcnt lgkmcnt(0)
	s_or_b32 s2, s2, s3
	s_bitset0_b32 s2, 31
	s_cmp_lg_u32 s2, 0
	s_mov_b64 s[2:3], -1
	s_cbranch_scc1 .LBB186_3
; %bb.2:
	s_load_dwordx2 s[2:3], s[4:5], 0x58
	s_waitcnt lgkmcnt(0)
	v_cmp_eq_f32_e64 s[8:9], s2, 1.0
	v_cmp_eq_f32_e64 s[2:3], s3, 0
	s_and_b64 s[2:3], s[8:9], s[2:3]
	s_andn2_b64 vcc, exec, s[2:3]
	s_mov_b64 s[2:3], 0
.LBB186_3:
	s_andn2_b64 vcc, exec, s[2:3]
	s_cbranch_vccnz .LBB186_104
; %bb.4:
	s_load_dword s7, s[4:5], 0x0
	s_load_dwordx4 s[8:11], s[4:5], 0x18
	s_load_dwordx2 s[26:27], s[4:5], 0x28
	s_load_dwordx4 s[12:15], s[4:5], 0x38
	s_mov_b32 s29, 0
	s_lshl_b64 s[2:3], s[28:29], 3
	s_waitcnt lgkmcnt(0)
	s_add_u32 s16, s8, s2
	s_addc_u32 s17, s9, s3
	s_add_u32 s2, s12, s2
	s_addc_u32 s3, s13, s3
	s_load_dwordx2 s[12:13], s[2:3], 0x0
	s_load_dword s29, s[0:1], 0x0
	s_load_dwordx2 s[22:23], s[4:5], 0x48
	s_load_dwordx2 s[8:9], s[16:17], 0x0
	s_lshl_b64 s[0:1], s[14:15], 3
	s_waitcnt lgkmcnt(0)
	s_add_u32 s2, s12, s0
	s_addc_u32 s3, s13, s1
	s_lshl_b32 s34, s6, 6
	s_ashr_i32 s33, s7, 31
	s_lshr_b32 s0, s33, 26
	v_add_u32_e32 v34, s34, v0
	s_add_i32 s0, s7, s0
	v_ashrrev_i32_e32 v35, 31, v34
	s_and_b32 s13, s0, 0xffffffc0
	v_mul_lo_u32 v4, s22, v35
	v_mul_lo_u32 v5, s23, v34
	v_mad_u64_u32 v[2:3], s[0:1], s22, v34, 0
	s_add_i32 s12, s29, -1
	s_sub_i32 s0, s7, s13
	v_add3_u32 v3, v3, v4, v5
	v_lshlrev_b64 v[2:3], 3, v[2:3]
	s_cmp_eq_u32 s6, s12
	v_mov_b32_e32 v4, s3
	v_add_co_u32_e32 v18, vcc, s2, v2
	s_cselect_b32 s30, s0, 0
	v_addc_co_u32_e32 v19, vcc, v4, v3, vcc
	v_cmp_ne_u32_e64 s[0:1], 0, v1
	v_cmp_eq_u32_e64 s[2:3], 0, v1
	s_and_saveexec_b64 s[12:13], s[2:3]
	s_cbranch_execz .LBB186_9
; %bb.5:
	s_cmp_lg_u32 s30, 0
	s_cselect_b64 s[14:15], -1, 0
	v_cmp_le_i32_e32 vcc, s30, v0
	v_mov_b32_e32 v2, 0x2380
	s_and_b64 s[14:15], s[14:15], vcc
	v_lshl_add_u32 v2, v0, 3, v2
	s_and_saveexec_b64 s[16:17], s[14:15]
	s_xor_b64 s[14:15], exec, s[16:17]
; %bb.6:
	v_mov_b32_e32 v3, 0
	v_mov_b32_e32 v4, v3
	ds_write_b64 v2, v[3:4]
                                        ; implicit-def: $vgpr2
; %bb.7:
	s_andn2_saveexec_b64 s[14:15], s[14:15]
	s_cbranch_execz .LBB186_9
; %bb.8:
	flat_load_dwordx2 v[3:4], v[18:19]
	s_waitcnt vmcnt(0) lgkmcnt(0)
	ds_write_b64 v2, v[3:4]
.LBB186_9:
	s_or_b64 exec, exec, s[12:13]
	v_lshl_add_u32 v24, v1, 6, v0
	v_and_b32_e32 v2, 31, v0
	v_lshrrev_b32_e32 v7, 5, v24
	v_mov_b32_e32 v3, 0
	v_mad_u64_u32 v[3:4], s[12:13], s26, v7, v[2:3]
	s_lshl_b64 s[10:11], s[10:11], 3
	s_add_u32 s10, s8, s10
	s_addc_u32 s11, s9, s11
	v_mad_u64_u32 v[4:5], s[8:9], s27, v7, v[4:5]
	s_ashr_i32 s35, s34, 31
	s_lshl_b64 s[8:9], s[34:35], 3
	s_add_u32 s8, s10, s8
	v_lshlrev_b64 v[20:21], 3, v[3:4]
	s_addc_u32 s9, s11, s9
	v_mov_b32_e32 v3, s9
	v_add_co_u32_e32 v4, vcc, s8, v20
	s_mul_hi_u32 s8, s26, s34
	s_mul_i32 s9, s26, s35
	s_add_i32 s8, s8, s9
	s_mul_i32 s9, s27, s34
	s_add_i32 s9, s8, s9
	s_mul_i32 s8, s26, s34
	v_addc_co_u32_e32 v5, vcc, v3, v21, vcc
	s_lshl_b64 s[36:37], s[8:9], 3
	v_mov_b32_e32 v6, s37
	v_add_co_u32_e32 v3, vcc, s36, v4
	s_cmp_lg_u32 s30, 0
	v_addc_co_u32_e32 v4, vcc, v5, v6, vcc
	s_cselect_b64 s[38:39], -1, 0
	s_cmp_eq_u32 s30, 0
	s_cselect_b64 s[18:19], -1, 0
	s_mov_b64 s[8:9], -1
	s_and_b64 vcc, exec, s[38:39]
	s_cbranch_vccnz .LBB186_11
; %bb.10:
	s_lshl_b64 s[8:9], s[26:27], 6
	v_mov_b32_e32 v11, s9
	v_add_co_u32_e32 v5, vcc, s8, v3
	v_addc_co_u32_e32 v6, vcc, v4, v11, vcc
	v_add_co_u32_e32 v8, vcc, s8, v5
	v_addc_co_u32_e32 v9, vcc, v6, v11, vcc
	;; [unrolled: 2-line block ×3, first 2 shown]
	flat_load_dwordx2 v[12:13], v[3:4]
	flat_load_dwordx2 v[14:15], v[5:6]
	;; [unrolled: 1-line block ×4, first 2 shown]
	v_mul_u32_u24_e32 v5, 0x108, v7
	v_lshl_add_u32 v5, v2, 3, v5
	s_mov_b64 s[8:9], 0
	s_waitcnt vmcnt(0) lgkmcnt(0)
	ds_write_b64 v5, v[12:13]
	ds_write_b64 v5, v[14:15] offset:2112
	ds_write_b64 v5, v[16:17] offset:4224
	;; [unrolled: 1-line block ×3, first 2 shown]
.LBB186_11:
	s_andn2_b64 vcc, exec, s[8:9]
	v_lshlrev_b32_e32 v8, 3, v2
	s_cbranch_vccnz .LBB186_29
; %bb.12:
	v_lshlrev_b32_e32 v9, 3, v2
	v_sub_co_u32_e32 v5, vcc, v3, v9
	s_ashr_i32 s31, s30, 31
	v_subbrev_co_u32_e32 v6, vcc, 0, v4, vcc
	s_lshl_b64 s[10:11], s[30:31], 3
	v_mov_b32_e32 v10, s11
	v_add_co_u32_e32 v5, vcc, s10, v5
	v_addc_co_u32_e32 v6, vcc, v6, v10, vcc
	v_add_co_u32_e32 v5, vcc, -8, v5
	v_addc_co_u32_e32 v6, vcc, -1, v6, vcc
	v_cmp_gt_i32_e32 vcc, s30, v2
	v_cndmask_b32_e32 v6, v6, v4, vcc
	v_cndmask_b32_e32 v5, v5, v3, vcc
	v_cmp_le_i32_e64 s[8:9], s30, v7
	v_mul_u32_u24_e32 v10, 0x108, v7
	s_and_saveexec_b64 s[12:13], s[8:9]
	s_xor_b64 s[8:9], exec, s[12:13]
; %bb.13:
	v_mov_b32_e32 v11, 0
	v_add_u32_e32 v13, v8, v10
	v_mov_b32_e32 v12, v11
	ds_write_b64 v13, v[11:12]
; %bb.14:
	s_andn2_saveexec_b64 s[8:9], s[8:9]
	s_cbranch_execz .LBB186_16
; %bb.15:
	flat_load_dwordx2 v[11:12], v[5:6]
	v_add_u32_e32 v13, v8, v10
	s_waitcnt vmcnt(0) lgkmcnt(0)
	ds_write_b64 v13, v[11:12]
.LBB186_16:
	s_or_b64 exec, exec, s[8:9]
	v_add_u32_e32 v11, 8, v7
	v_cmp_le_i32_e64 s[8:9], s30, v11
	s_and_saveexec_b64 s[12:13], s[8:9]
	s_xor_b64 s[8:9], exec, s[12:13]
; %bb.17:
	v_mov_b32_e32 v11, 0
	v_add_u32_e32 v13, v10, v8
	v_mov_b32_e32 v12, v11
	ds_write_b64 v13, v[11:12] offset:2112
; %bb.18:
	s_andn2_saveexec_b64 s[12:13], s[8:9]
	s_cbranch_execz .LBB186_20
; %bb.19:
	s_lshl_b64 s[8:9], s[26:27], 6
	v_mov_b32_e32 v12, s9
	v_add_co_u32_e64 v11, s[8:9], s8, v5
	v_addc_co_u32_e64 v12, s[8:9], v6, v12, s[8:9]
	flat_load_dwordx2 v[11:12], v[11:12]
	v_add_u32_e32 v13, v10, v8
	s_waitcnt vmcnt(0) lgkmcnt(0)
	ds_write_b64 v13, v[11:12] offset:2112
.LBB186_20:
	s_or_b64 exec, exec, s[12:13]
	v_add_u32_e32 v11, 16, v7
	v_cmp_le_i32_e64 s[8:9], s30, v11
	s_and_saveexec_b64 s[12:13], s[8:9]
	s_xor_b64 s[8:9], exec, s[12:13]
; %bb.21:
	v_mov_b32_e32 v11, 0
	v_add_u32_e32 v13, v10, v8
	v_mov_b32_e32 v12, v11
	ds_write_b64 v13, v[11:12] offset:4224
; %bb.22:
	s_andn2_saveexec_b64 s[12:13], s[8:9]
	s_cbranch_execz .LBB186_24
; %bb.23:
	s_lshl_b64 s[8:9], s[26:27], 7
	v_mov_b32_e32 v12, s9
	v_add_co_u32_e64 v11, s[8:9], s8, v5
	v_addc_co_u32_e64 v12, s[8:9], v6, v12, s[8:9]
	flat_load_dwordx2 v[11:12], v[11:12]
	v_add_u32_e32 v13, v10, v8
	s_waitcnt vmcnt(0) lgkmcnt(0)
	ds_write_b64 v13, v[11:12] offset:4224
.LBB186_24:
	s_or_b64 exec, exec, s[12:13]
	v_add_u32_e32 v11, 24, v7
	v_cmp_le_i32_e64 s[8:9], s30, v11
	s_and_saveexec_b64 s[12:13], s[8:9]
	s_xor_b64 s[8:9], exec, s[12:13]
; %bb.25:
	v_add_u32_e32 v12, v10, v8
	v_mov_b32_e32 v10, 0
	v_mov_b32_e32 v11, v10
	ds_write_b64 v12, v[10:11] offset:6336
                                        ; implicit-def: $vgpr10
; %bb.26:
	s_andn2_saveexec_b64 s[8:9], s[8:9]
	s_cbranch_execz .LBB186_28
; %bb.27:
	v_mov_b32_e32 v11, 0xc0
	v_mad_u64_u32 v[11:12], s[12:13], s26, v11, v[5:6]
	s_mul_i32 s12, s27, 0xc0
	v_add_u32_e32 v10, v10, v8
	v_add_u32_e32 v12, s12, v12
	flat_load_dwordx2 v[11:12], v[11:12]
	s_waitcnt vmcnt(0) lgkmcnt(0)
	ds_write_b64 v10, v[11:12] offset:6336
.LBB186_28:
	s_or_b64 exec, exec, s[8:9]
	v_add_co_u32_e64 v5, s[8:9], v5, v9
	v_addc_co_u32_e64 v6, s[8:9], 0, v6, s[8:9]
	v_mov_b32_e32 v9, s11
	v_subrev_co_u32_e64 v5, s[8:9], s10, v5
	v_subb_co_u32_e64 v6, s[8:9], v6, v9, s[8:9]
	v_add_co_u32_e64 v5, s[8:9], 8, v5
	v_addc_co_u32_e64 v6, s[8:9], 0, v6, s[8:9]
	v_cndmask_b32_e32 v4, v6, v4, vcc
	v_cndmask_b32_e32 v3, v5, v3, vcc
.LBB186_29:
	v_lshlrev_b32_e32 v5, 2, v7
	v_lshl_or_b32 v6, v2, 8, v8
	v_cmp_lt_u32_e64 s[8:9], v5, v2
	s_waitcnt lgkmcnt(0)
	s_barrier
	s_and_saveexec_b64 s[10:11], s[8:9]
	s_cbranch_execz .LBB186_31
; %bb.30:
	s_movk_i32 s12, 0x420
	v_mad_u32_u24 v9, v7, s12, v8
	ds_read_b64 v[9:10], v9
	v_lshl_add_u32 v11, v5, 3, v6
	s_waitcnt lgkmcnt(0)
	ds_write_b64 v11, v[9:10]
.LBB186_31:
	s_or_b64 exec, exec, s[10:11]
	v_or_b32_e32 v9, 1, v5
	v_cmp_lt_u32_e64 s[10:11], v9, v2
	s_and_saveexec_b64 s[12:13], s[10:11]
	s_cbranch_execz .LBB186_33
; %bb.32:
	s_movk_i32 s14, 0x108
	v_mad_u32_u24 v10, v9, s14, v8
	ds_read_b64 v[10:11], v10
	v_lshl_add_u32 v12, v5, 3, v6
	s_waitcnt lgkmcnt(0)
	ds_write_b64 v12, v[10:11] offset:8
.LBB186_33:
	s_or_b64 exec, exec, s[12:13]
	v_or_b32_e32 v10, 2, v5
	v_cmp_lt_u32_e64 s[12:13], v10, v2
	s_and_saveexec_b64 s[14:15], s[12:13]
	s_cbranch_execz .LBB186_35
; %bb.34:
	s_movk_i32 s16, 0x108
	v_mad_u32_u24 v10, v10, s16, v8
	ds_read_b64 v[10:11], v10
	v_lshl_add_u32 v12, v5, 3, v6
	s_waitcnt lgkmcnt(0)
	ds_write_b64 v12, v[10:11] offset:16
.LBB186_35:
	s_or_b64 exec, exec, s[14:15]
	v_or_b32_e32 v11, 3, v5
	v_cmp_lt_u32_e64 s[14:15], v11, v2
	v_cmp_ge_u32_e32 vcc, v11, v2
                                        ; implicit-def: $vgpr10
	s_and_saveexec_b64 s[16:17], vcc
	s_xor_b64 s[16:17], exec, s[16:17]
; %bb.36:
	v_mul_u32_u24_e32 v10, 0x108, v11
                                        ; implicit-def: $vgpr6
                                        ; implicit-def: $vgpr11
; %bb.37:
	s_andn2_saveexec_b64 s[16:17], s[16:17]
	s_cbranch_execz .LBB186_39
; %bb.38:
	s_movk_i32 s20, 0x108
	v_mad_u32_u24 v10, v11, s20, v8
	ds_read_b64 v[12:13], v10
	v_lshl_add_u32 v6, v5, 3, v6
	v_mul_u32_u24_e32 v10, 0x108, v11
	s_waitcnt lgkmcnt(0)
	ds_write_b64 v6, v[12:13] offset:24
.LBB186_39:
	s_or_b64 exec, exec, s[16:17]
	s_movk_i32 s16, 0x420
	v_mad_u32_u24 v11, v7, s16, v8
	s_waitcnt lgkmcnt(0)
	s_barrier
	v_lshlrev_b32_e32 v6, 3, v5
	ds_read_b64 v[15:16], v11
	ds_read_b128 v[11:14], v6 offset:9088
	ds_read_b128 v[25:28], v6 offset:9104
	s_movk_i32 s16, 0x108
	v_mov_b32_e32 v36, 0
	v_cmp_gt_u32_e64 s[20:21], 32, v24
	s_waitcnt lgkmcnt(1)
	v_mul_f32_e32 v17, v12, v16
	v_fma_f32 v17, v11, v15, -v17
	v_mul_f32_e32 v11, v11, v16
	v_mad_u32_u24 v16, v9, s16, v8
	ds_read2_b64 v[29:32], v16 offset1:33
	v_fmac_f32_e32 v11, v12, v15
	v_add_f32_e32 v12, 0, v17
	v_add_f32_e32 v11, 0, v11
	v_mov_b32_e32 v37, 0
	s_waitcnt lgkmcnt(0)
	v_mul_f32_e32 v15, v14, v30
	v_fma_f32 v15, v13, v29, -v15
	v_mul_f32_e32 v13, v13, v30
	v_fmac_f32_e32 v13, v14, v29
	v_add_f32_e32 v14, v12, v15
	v_add_u32_e32 v12, v8, v10
	v_add_f32_e32 v13, v11, v13
	ds_read_b64 v[10:11], v12
	v_mul_f32_e32 v15, v26, v32
	v_fma_f32 v15, v25, v31, -v15
	v_mul_f32_e32 v16, v25, v32
	v_fmac_f32_e32 v16, v26, v31
	v_add_f32_e32 v14, v14, v15
	s_waitcnt lgkmcnt(0)
	v_mul_f32_e32 v15, v28, v11
	v_mul_f32_e32 v11, v27, v11
	v_add_f32_e32 v13, v13, v16
	v_fmac_f32_e32 v11, v28, v10
	v_add_f32_e32 v11, v13, v11
	v_mul_u32_u24_e32 v13, 33, v2
	v_fma_f32 v15, v27, v10, -v15
	v_lshlrev_b32_e32 v25, 3, v13
	v_add_f32_e32 v10, v14, v15
	v_lshl_add_u32 v26, v7, 3, v25
	s_barrier
	ds_write_b64 v26, v[10:11]
	s_waitcnt lgkmcnt(0)
	s_barrier
	s_and_saveexec_b64 s[16:17], s[20:21]
	s_cbranch_execz .LBB186_41
; %bb.40:
	ds_read2_b64 v[13:16], v25 offset1:7
	ds_read2_b64 v[27:30], v25 offset0:1 offset1:2
	ds_read2_b64 v[36:39], v25 offset0:3 offset1:4
	s_waitcnt lgkmcnt(1)
	v_add_f32_e32 v10, v27, v13
	v_add_f32_e32 v11, v28, v14
	;; [unrolled: 1-line block ×4, first 2 shown]
	ds_read2_b64 v[27:30], v25 offset0:5 offset1:6
	s_waitcnt lgkmcnt(1)
	v_add_f32_e32 v10, v10, v36
	v_add_f32_e32 v11, v11, v37
	;; [unrolled: 1-line block ×4, first 2 shown]
	s_waitcnt lgkmcnt(0)
	v_add_f32_e32 v10, v10, v27
	v_add_f32_e32 v11, v11, v28
	;; [unrolled: 1-line block ×6, first 2 shown]
.LBB186_41:
	s_or_b64 exec, exec, s[16:17]
	s_lshl_b64 s[24:25], s[26:27], 8
	v_mov_b32_e32 v10, s25
	v_add_co_u32_e32 v3, vcc, s24, v3
	v_addc_co_u32_e32 v4, vcc, v4, v10, vcc
	v_add_co_u32_e32 v10, vcc, 0x100, v3
	v_addc_co_u32_e32 v11, vcc, 0, v4, vcc
	v_cndmask_b32_e64 v13, 0, 1, s[18:19]
	v_cmp_ne_u32_e64 s[16:17], 1, v13
	s_andn2_b64 vcc, exec, s[18:19]
	s_mov_b64 s[18:19], -1
	s_barrier
	s_cbranch_vccnz .LBB186_43
; %bb.42:
	s_lshl_b64 s[18:19], s[26:27], 6
	v_mov_b32_e32 v17, s19
	v_add_co_u32_e32 v13, vcc, s18, v3
	v_addc_co_u32_e32 v14, vcc, v4, v17, vcc
	v_add_co_u32_e32 v15, vcc, s18, v13
	v_addc_co_u32_e32 v16, vcc, v14, v17, vcc
	;; [unrolled: 2-line block ×3, first 2 shown]
	flat_load_dwordx2 v[27:28], v[3:4] offset:256
	flat_load_dwordx2 v[29:30], v[13:14] offset:256
	;; [unrolled: 1-line block ×4, first 2 shown]
	s_movk_i32 s18, 0x108
	v_mad_u32_u24 v13, v7, s18, v8
	s_mov_b64 s[18:19], 0
	s_waitcnt vmcnt(0) lgkmcnt(0)
	ds_write_b64 v13, v[27:28]
	ds_write_b64 v13, v[29:30] offset:2112
	ds_write_b64 v13, v[31:32] offset:4224
	;; [unrolled: 1-line block ×3, first 2 shown]
.LBB186_43:
	s_andn2_b64 vcc, exec, s[18:19]
	s_cbranch_vccnz .LBB186_61
; %bb.44:
	v_lshlrev_b32_e32 v13, 3, v2
	v_sub_co_u32_e32 v3, vcc, v3, v13
	s_ashr_i32 s31, s30, 31
	v_subbrev_co_u32_e32 v4, vcc, 0, v4, vcc
	s_lshl_b64 s[40:41], s[30:31], 3
	v_mov_b32_e32 v15, s41
	v_add_co_u32_e32 v3, vcc, s40, v3
	v_addc_co_u32_e32 v4, vcc, v4, v15, vcc
	v_or_b32_e32 v14, 32, v2
	v_add_co_u32_e32 v3, vcc, -8, v3
	v_addc_co_u32_e32 v4, vcc, -1, v4, vcc
	v_cmp_gt_i32_e64 s[18:19], s30, v14
	s_sub_i32 s31, s30, 32
	v_cndmask_b32_e64 v4, v4, v11, s[18:19]
	v_cndmask_b32_e64 v3, v3, v10, s[18:19]
	v_cmp_le_i32_e32 vcc, s31, v7
	v_mul_u32_u24_e32 v14, 0x108, v7
	s_and_saveexec_b64 s[42:43], vcc
	s_xor_b64 s[42:43], exec, s[42:43]
; %bb.45:
	v_mov_b32_e32 v15, 0
	v_add_u32_e32 v17, v8, v14
	v_mov_b32_e32 v16, v15
	ds_write_b64 v17, v[15:16]
; %bb.46:
	s_andn2_saveexec_b64 s[42:43], s[42:43]
	s_cbranch_execz .LBB186_48
; %bb.47:
	flat_load_dwordx2 v[15:16], v[3:4]
	v_add_u32_e32 v17, v8, v14
	s_waitcnt vmcnt(0) lgkmcnt(0)
	ds_write_b64 v17, v[15:16]
.LBB186_48:
	s_or_b64 exec, exec, s[42:43]
	v_add_u32_e32 v15, 8, v7
	v_cmp_le_i32_e32 vcc, s31, v15
	s_and_saveexec_b64 s[42:43], vcc
	s_xor_b64 s[42:43], exec, s[42:43]
; %bb.49:
	v_mov_b32_e32 v15, 0
	v_add_u32_e32 v17, v14, v8
	v_mov_b32_e32 v16, v15
	ds_write_b64 v17, v[15:16] offset:2112
; %bb.50:
	s_andn2_saveexec_b64 s[42:43], s[42:43]
	s_cbranch_execz .LBB186_52
; %bb.51:
	s_lshl_b64 s[44:45], s[26:27], 6
	v_mov_b32_e32 v16, s45
	v_add_co_u32_e32 v15, vcc, s44, v3
	v_addc_co_u32_e32 v16, vcc, v4, v16, vcc
	flat_load_dwordx2 v[15:16], v[15:16]
	v_add_u32_e32 v17, v14, v8
	s_waitcnt vmcnt(0) lgkmcnt(0)
	ds_write_b64 v17, v[15:16] offset:2112
.LBB186_52:
	s_or_b64 exec, exec, s[42:43]
	v_add_u32_e32 v15, 16, v7
	v_cmp_le_i32_e32 vcc, s31, v15
	s_and_saveexec_b64 s[42:43], vcc
	s_xor_b64 s[42:43], exec, s[42:43]
; %bb.53:
	v_mov_b32_e32 v15, 0
	v_add_u32_e32 v17, v14, v8
	v_mov_b32_e32 v16, v15
	ds_write_b64 v17, v[15:16] offset:4224
; %bb.54:
	s_andn2_saveexec_b64 s[42:43], s[42:43]
	s_cbranch_execz .LBB186_56
; %bb.55:
	s_lshl_b64 s[44:45], s[26:27], 7
	v_mov_b32_e32 v16, s45
	v_add_co_u32_e32 v15, vcc, s44, v3
	v_addc_co_u32_e32 v16, vcc, v4, v16, vcc
	flat_load_dwordx2 v[15:16], v[15:16]
	v_add_u32_e32 v17, v14, v8
	s_waitcnt vmcnt(0) lgkmcnt(0)
	ds_write_b64 v17, v[15:16] offset:4224
.LBB186_56:
	s_or_b64 exec, exec, s[42:43]
	v_add_u32_e32 v15, 24, v7
	v_cmp_le_i32_e32 vcc, s31, v15
	s_and_saveexec_b64 s[42:43], vcc
	s_xor_b64 s[42:43], exec, s[42:43]
; %bb.57:
	v_add_u32_e32 v16, v14, v8
	v_mov_b32_e32 v14, 0
	v_mov_b32_e32 v15, v14
	ds_write_b64 v16, v[14:15] offset:6336
                                        ; implicit-def: $vgpr14
; %bb.58:
	s_andn2_saveexec_b64 s[42:43], s[42:43]
	s_cbranch_execz .LBB186_60
; %bb.59:
	v_mov_b32_e32 v15, 0xc0
	v_mad_u64_u32 v[15:16], s[44:45], s26, v15, v[3:4]
	s_mul_i32 s31, s27, 0xc0
	v_add_u32_e32 v14, v14, v8
	v_add_u32_e32 v16, s31, v16
	flat_load_dwordx2 v[15:16], v[15:16]
	s_waitcnt vmcnt(0) lgkmcnt(0)
	ds_write_b64 v14, v[15:16] offset:6336
.LBB186_60:
	s_or_b64 exec, exec, s[42:43]
	v_add_co_u32_e32 v3, vcc, v3, v13
	v_addc_co_u32_e32 v4, vcc, 0, v4, vcc
	v_mov_b32_e32 v13, s41
	v_subrev_co_u32_e32 v3, vcc, s40, v3
	v_subb_co_u32_e32 v4, vcc, v4, v13, vcc
	v_add_co_u32_e32 v3, vcc, 0x108, v3
	v_addc_co_u32_e32 v4, vcc, 0, v4, vcc
	v_cndmask_b32_e64 v11, v4, v11, s[18:19]
	v_cndmask_b32_e64 v10, v3, v10, s[18:19]
.LBB186_61:
	v_mul_u32_u24_e32 v4, 0x420, v7
	v_add_u32_e32 v6, 0x2380, v6
	v_mul_u32_u24_e32 v3, 0x108, v9
	s_lshl_b64 s[18:19], s[26:27], 5
	v_add_u32_e32 v4, v8, v4
	s_waitcnt lgkmcnt(0)
	s_barrier
	s_and_saveexec_b64 s[40:41], s[8:9]
	s_cbranch_execnz .LBB186_70
; %bb.62:
	s_or_b64 exec, exec, s[40:41]
	v_add_u32_e32 v3, v8, v3
	s_and_saveexec_b64 s[8:9], s[10:11]
	s_cbranch_execnz .LBB186_71
.LBB186_63:
	s_or_b64 exec, exec, s[8:9]
	s_and_saveexec_b64 s[8:9], s[12:13]
	s_cbranch_execnz .LBB186_72
.LBB186_64:
	s_or_b64 exec, exec, s[8:9]
	s_and_saveexec_b64 s[8:9], s[14:15]
	s_cbranch_execz .LBB186_66
.LBB186_65:
	ds_read_b64 v[13:14], v12
	v_lshl_add_u32 v9, v5, 3, v25
	s_waitcnt lgkmcnt(0)
	ds_write_b64 v9, v[13:14] offset:24
.LBB186_66:
	s_or_b64 exec, exec, s[8:9]
	s_waitcnt lgkmcnt(0)
	s_barrier
	ds_read_b64 v[22:23], v4
	ds_read_b128 v[13:16], v6 offset:256
	ds_read_b128 v[27:30], v6 offset:272
	ds_read_b64 v[31:32], v12
	ds_read2_b64 v[38:41], v3 offset1:33
	v_cmp_eq_u32_e64 s[8:9], 1, v7
	s_waitcnt lgkmcnt(3)
	v_mul_f32_e32 v4, v14, v23
	v_mul_f32_e32 v3, v13, v23
	v_fma_f32 v4, v13, v22, -v4
	v_fmac_f32_e32 v3, v14, v22
	s_waitcnt lgkmcnt(0)
	v_mul_f32_e32 v9, v16, v39
	v_mul_f32_e32 v12, v15, v39
	v_add_f32_e32 v4, 0, v4
	v_add_f32_e32 v3, 0, v3
	v_fma_f32 v9, v15, v38, -v9
	v_fmac_f32_e32 v12, v16, v38
	v_add_f32_e32 v4, v4, v9
	v_add_f32_e32 v3, v3, v12
	v_mul_f32_e32 v9, v28, v41
	v_mul_f32_e32 v12, v27, v41
	v_fma_f32 v9, v27, v40, -v9
	v_fmac_f32_e32 v12, v28, v40
	v_add_f32_e32 v4, v4, v9
	v_add_f32_e32 v9, v3, v12
	v_mul_f32_e32 v3, v30, v32
	v_mul_f32_e32 v12, v29, v32
	v_fma_f32 v3, v29, v31, -v3
	v_fmac_f32_e32 v12, v30, v31
	v_add_f32_e32 v3, v4, v3
	v_add_f32_e32 v4, v9, v12
	s_barrier
	ds_write_b64 v26, v[3:4]
	s_waitcnt lgkmcnt(0)
	s_barrier
	s_and_saveexec_b64 s[10:11], s[8:9]
	s_cbranch_execz .LBB186_68
; %bb.67:
	ds_read2_b64 v[12:15], v25 offset1:7
	ds_read2_b64 v[27:30], v25 offset0:1 offset1:2
	ds_read2_b64 v[36:39], v25 offset0:3 offset1:4
	s_waitcnt lgkmcnt(1)
	v_add_f32_e32 v3, v27, v12
	v_add_f32_e32 v4, v28, v13
	v_add_f32_e32 v3, v29, v3
	v_add_f32_e32 v4, v30, v4
	ds_read2_b64 v[27:30], v25 offset0:5 offset1:6
	s_waitcnt lgkmcnt(1)
	v_add_f32_e32 v3, v3, v36
	v_add_f32_e32 v4, v4, v37
	;; [unrolled: 1-line block ×4, first 2 shown]
	s_waitcnt lgkmcnt(0)
	v_add_f32_e32 v3, v3, v27
	v_add_f32_e32 v4, v4, v28
	;; [unrolled: 1-line block ×6, first 2 shown]
.LBB186_68:
	s_or_b64 exec, exec, s[10:11]
	s_lshl_b64 s[10:11], s[18:19], 3
	v_mov_b32_e32 v3, s11
	v_subrev_co_u32_e64 v22, s[10:11], s10, v10
	s_and_b64 vcc, exec, s[16:17]
	v_subb_co_u32_e64 v23, s[10:11], v11, v3, s[10:11]
	s_barrier
	s_cbranch_vccnz .LBB186_73
; %bb.69:
	s_lshl_b64 s[10:11], s[26:27], 6
	v_mov_b32_e32 v12, s11
	v_add_co_u32_e32 v3, vcc, s10, v22
	v_addc_co_u32_e32 v4, vcc, v23, v12, vcc
	v_add_co_u32_e32 v9, vcc, s10, v3
	v_addc_co_u32_e32 v10, vcc, v4, v12, vcc
	v_add_co_u32_e32 v11, vcc, s10, v9
	v_addc_co_u32_e32 v12, vcc, v10, v12, vcc
	flat_load_dwordx2 v[14:15], v[22:23]
	flat_load_dwordx2 v[16:17], v[3:4]
	;; [unrolled: 1-line block ×4, first 2 shown]
	s_movk_i32 s10, 0x108
	v_mov_b32_e32 v3, 0x840
	v_mov_b32_e32 v13, 0x1080
	;; [unrolled: 1-line block ×3, first 2 shown]
	v_mul_u32_u24_e32 v9, 0x108, v7
	v_add_u32_e32 v10, 8, v7
	v_add_u32_e32 v11, 16, v7
	;; [unrolled: 1-line block ×3, first 2 shown]
	v_mad_u32_u24 v32, v7, s10, v8
	v_mad_u32_u24 v4, v7, s10, v3
	v_mad_u32_u24 v3, v7, s10, v13
	v_mad_u32_u24 v13, v7, s10, v31
	v_add_u32_e32 v31, v8, v4
	v_add_u32_e32 v33, v8, v3
	;; [unrolled: 1-line block ×3, first 2 shown]
	s_waitcnt vmcnt(0) lgkmcnt(0)
	ds_write_b64 v32, v[14:15]
	ds_write_b64 v31, v[16:17]
	;; [unrolled: 1-line block ×4, first 2 shown]
	s_cbranch_execz .LBB186_74
	s_branch .LBB186_91
.LBB186_70:
	ds_read_b64 v[13:14], v4
	v_lshl_add_u32 v9, v5, 3, v25
	s_waitcnt lgkmcnt(0)
	ds_write_b64 v9, v[13:14]
	s_or_b64 exec, exec, s[40:41]
	v_add_u32_e32 v3, v8, v3
	s_and_saveexec_b64 s[8:9], s[10:11]
	s_cbranch_execz .LBB186_63
.LBB186_71:
	ds_read_b64 v[13:14], v3
	v_lshl_add_u32 v9, v5, 3, v25
	s_waitcnt lgkmcnt(0)
	ds_write_b64 v9, v[13:14] offset:8
	s_or_b64 exec, exec, s[8:9]
	s_and_saveexec_b64 s[8:9], s[12:13]
	s_cbranch_execz .LBB186_64
.LBB186_72:
	ds_read_b64 v[13:14], v3 offset:264
	v_lshl_add_u32 v9, v5, 3, v25
	s_waitcnt lgkmcnt(0)
	ds_write_b64 v9, v[13:14] offset:16
	s_or_b64 exec, exec, s[8:9]
	s_and_saveexec_b64 s[8:9], s[14:15]
	s_cbranch_execnz .LBB186_65
	s_branch .LBB186_66
.LBB186_73:
                                        ; implicit-def: $vgpr9
                                        ; implicit-def: $vgpr10
                                        ; implicit-def: $vgpr4
                                        ; implicit-def: $vgpr11
                                        ; implicit-def: $vgpr3
                                        ; implicit-def: $vgpr12
                                        ; implicit-def: $vgpr13
.LBB186_74:
	v_or_b32_e32 v3, 32, v2
	v_lshlrev_b32_e32 v4, 3, v3
	v_sub_co_u32_e32 v4, vcc, v22, v4
	s_ashr_i32 s31, s30, 31
	v_subbrev_co_u32_e32 v9, vcc, 0, v23, vcc
	s_lshl_b64 s[12:13], s[30:31], 3
	v_mov_b32_e32 v10, s13
	v_add_co_u32_e32 v4, vcc, s12, v4
	v_addc_co_u32_e32 v9, vcc, v9, v10, vcc
	v_add_co_u32_e32 v10, vcc, -8, v4
	v_addc_co_u32_e32 v4, vcc, -1, v9, vcc
	v_cmp_gt_i32_e64 s[10:11], s30, v3
	v_cndmask_b32_e64 v4, v4, v23, s[10:11]
	v_cndmask_b32_e64 v3, v10, v22, s[10:11]
	v_cmp_le_i32_e32 vcc, s30, v7
	v_mul_u32_u24_e32 v9, 0x108, v7
	s_and_saveexec_b64 s[14:15], vcc
	s_xor_b64 s[14:15], exec, s[14:15]
; %bb.75:
	v_mov_b32_e32 v10, 0
	v_add_u32_e32 v12, v8, v9
	v_mov_b32_e32 v11, v10
	ds_write_b64 v12, v[10:11]
; %bb.76:
	s_andn2_saveexec_b64 s[14:15], s[14:15]
	s_cbranch_execz .LBB186_78
; %bb.77:
	flat_load_dwordx2 v[10:11], v[3:4]
	v_add_u32_e32 v12, v8, v9
	s_waitcnt vmcnt(0) lgkmcnt(0)
	ds_write_b64 v12, v[10:11]
.LBB186_78:
	s_or_b64 exec, exec, s[14:15]
	v_add_u32_e32 v10, 8, v7
	v_cmp_le_i32_e32 vcc, s30, v10
	s_and_saveexec_b64 s[14:15], vcc
	s_xor_b64 s[14:15], exec, s[14:15]
; %bb.79:
	v_mov_b32_e32 v11, 0
	v_add_u32_e32 v13, v9, v8
	v_mov_b32_e32 v12, v11
	ds_write_b64 v13, v[11:12] offset:2112
; %bb.80:
	s_andn2_saveexec_b64 s[14:15], s[14:15]
	s_cbranch_execz .LBB186_82
; %bb.81:
	s_lshl_b64 s[16:17], s[26:27], 6
	v_mov_b32_e32 v12, s17
	v_add_co_u32_e32 v11, vcc, s16, v3
	v_addc_co_u32_e32 v12, vcc, v4, v12, vcc
	flat_load_dwordx2 v[11:12], v[11:12]
	v_add_u32_e32 v13, v9, v8
	s_waitcnt vmcnt(0) lgkmcnt(0)
	ds_write_b64 v13, v[11:12] offset:2112
.LBB186_82:
	s_or_b64 exec, exec, s[14:15]
	v_add_u32_e32 v11, 16, v7
	v_cmp_le_i32_e32 vcc, s30, v11
	s_and_saveexec_b64 s[14:15], vcc
	s_xor_b64 s[14:15], exec, s[14:15]
; %bb.83:
	v_mov_b32_e32 v12, 0
	v_add_u32_e32 v14, v9, v8
	v_mov_b32_e32 v13, v12
	ds_write_b64 v14, v[12:13] offset:4224
; %bb.84:
	s_andn2_saveexec_b64 s[14:15], s[14:15]
	s_cbranch_execz .LBB186_86
; %bb.85:
	s_lshl_b64 s[16:17], s[26:27], 7
	v_mov_b32_e32 v13, s17
	v_add_co_u32_e32 v12, vcc, s16, v3
	v_addc_co_u32_e32 v13, vcc, v4, v13, vcc
	flat_load_dwordx2 v[12:13], v[12:13]
	v_add_u32_e32 v14, v9, v8
	s_waitcnt vmcnt(0) lgkmcnt(0)
	ds_write_b64 v14, v[12:13] offset:4224
.LBB186_86:
	s_or_b64 exec, exec, s[14:15]
	v_add_u32_e32 v12, 24, v7
	v_cmp_le_i32_e32 vcc, s30, v12
                                        ; implicit-def: $vgpr13
	s_and_saveexec_b64 s[14:15], vcc
	s_xor_b64 s[14:15], exec, s[14:15]
; %bb.87:
	v_add_u32_e32 v13, 0x18c0, v9
	v_mov_b32_e32 v14, 0
	v_add_u32_e32 v16, v8, v13
	v_mov_b32_e32 v15, v14
	ds_write_b64 v16, v[14:15]
; %bb.88:
	s_andn2_saveexec_b64 s[14:15], s[14:15]
	s_cbranch_execz .LBB186_90
; %bb.89:
	v_mov_b32_e32 v13, 0xc0
	v_mad_u64_u32 v[13:14], s[16:17], s26, v13, v[3:4]
	s_mul_i32 s16, s27, 0xc0
	v_add_u32_e32 v14, s16, v14
	flat_load_dwordx2 v[14:15], v[13:14]
	v_add_u32_e32 v13, 0x18c0, v9
	v_add_u32_e32 v16, v8, v13
	s_waitcnt vmcnt(0) lgkmcnt(0)
	ds_write_b64 v16, v[14:15]
.LBB186_90:
	s_or_b64 exec, exec, s[14:15]
	v_lshlrev_b32_e32 v2, 3, v2
	v_add_co_u32_e32 v2, vcc, v3, v2
	v_addc_co_u32_e32 v3, vcc, 0, v4, vcc
	v_mov_b32_e32 v4, s13
	v_subrev_co_u32_e32 v2, vcc, s12, v2
	v_subb_co_u32_e32 v3, vcc, v3, v4, vcc
	v_add_co_u32_e32 v2, vcc, 0x108, v2
	v_addc_co_u32_e32 v3, vcc, 0, v3, vcc
	v_cndmask_b32_e64 v23, v3, v23, s[10:11]
	v_cndmask_b32_e64 v22, v2, v22, s[10:11]
	v_add_u32_e32 v4, 0x840, v9
	v_add_u32_e32 v3, 0x1080, v9
.LBB186_91:
	v_add_u32_e32 v2, v8, v9
	s_waitcnt lgkmcnt(0)
	s_barrier
	v_lshlrev_b32_e32 v7, 3, v7
	ds_read_b64 v[14:15], v2
	ds_read_b64 v[16:17], v7 offset:9088
	v_add_u32_e32 v2, v8, v4
	v_lshlrev_b32_e32 v4, 3, v10
	ds_read_b64 v[27:28], v2
	ds_read_b64 v[29:30], v4 offset:9088
	v_add_u32_e32 v3, v8, v3
	;; [unrolled: 4-line block ×3, first 2 shown]
	v_lshlrev_b32_e32 v7, 3, v12
	ds_read2_b32 v[40:41], v3 offset1:1
	ds_read_b64 v[42:43], v7 offset:9088
	s_waitcnt lgkmcnt(6)
	v_mul_f32_e32 v2, v17, v15
	v_fma_f32 v2, v16, v14, -v2
	s_waitcnt lgkmcnt(4)
	v_mul_f32_e32 v4, v30, v28
	v_add_f32_e32 v2, 0, v2
	v_fma_f32 v4, v29, v27, -v4
	s_waitcnt lgkmcnt(2)
	v_mul_f32_e32 v3, v39, v32
	v_add_f32_e32 v2, v2, v4
	v_fma_f32 v3, v38, v31, -v3
	v_mul_f32_e32 v33, v16, v15
	v_add_f32_e32 v2, v2, v3
	s_waitcnt lgkmcnt(0)
	v_mul_f32_e32 v3, v43, v41
	v_fmac_f32_e32 v33, v17, v14
	v_mul_f32_e32 v28, v29, v28
	v_fma_f32 v3, v42, v40, -v3
	v_lshl_add_u32 v7, v5, 3, v25
	v_add_f32_e32 v33, 0, v33
	v_fmac_f32_e32 v28, v30, v27
	v_add_f32_e32 v44, v2, v3
	ds_read_b128 v[10:13], v6 offset:256
	ds_read_b128 v[2:5], v6 offset:272
	ds_read2_b64 v[14:17], v7 offset1:1
	ds_read2_b64 v[6:9], v7 offset0:2 offset1:3
	v_add_f32_e32 v27, v33, v28
	v_mul_f32_e32 v28, v38, v32
	v_fmac_f32_e32 v28, v39, v31
	v_add_f32_e32 v27, v27, v28
	v_mul_f32_e32 v28, v42, v41
	v_fmac_f32_e32 v28, v43, v40
	v_add_f32_e32 v45, v27, v28
	s_waitcnt lgkmcnt(0)
	s_barrier
	ds_write_b64 v26, v[44:45]
	s_waitcnt lgkmcnt(0)
	s_barrier
	s_and_saveexec_b64 s[10:11], s[8:9]
	s_cbranch_execz .LBB186_93
; %bb.92:
	ds_read2_b64 v[27:30], v25 offset1:1
	ds_read2_b64 v[38:41], v25 offset0:2 offset1:3
	ds_read2_b64 v[42:45], v25 offset0:4 offset1:5
	s_waitcnt lgkmcnt(2)
	v_add_f32_e32 v27, v36, v27
	v_add_f32_e32 v28, v37, v28
	v_add_f32_e32 v27, v27, v29
	v_add_f32_e32 v28, v28, v30
	s_waitcnt lgkmcnt(1)
	v_add_f32_e32 v27, v27, v38
	v_add_f32_e32 v28, v28, v39
	;; [unrolled: 1-line block ×4, first 2 shown]
	ds_read2_b64 v[27:30], v25 offset0:6 offset1:7
	s_waitcnt lgkmcnt(1)
	v_add_f32_e32 v31, v31, v42
	v_add_f32_e32 v32, v32, v43
	;; [unrolled: 1-line block ×4, first 2 shown]
	s_waitcnt lgkmcnt(0)
	v_add_f32_e32 v27, v31, v27
	v_add_f32_e32 v28, v32, v28
	;; [unrolled: 1-line block ×4, first 2 shown]
.LBB186_93:
	s_or_b64 exec, exec, s[10:11]
	v_mul_f32_e32 v27, v11, v15
	v_fma_f32 v27, v10, v14, -v27
	v_mul_f32_e32 v10, v10, v15
	v_fmac_f32_e32 v10, v11, v14
	v_mul_f32_e32 v14, v13, v17
	v_fma_f32 v14, v12, v16, -v14
	v_mul_f32_e32 v12, v12, v17
	v_add_f32_e32 v10, 0, v10
	v_fmac_f32_e32 v12, v13, v16
	v_add_f32_e32 v10, v10, v12
	v_mul_f32_e32 v12, v3, v7
	v_fma_f32 v12, v2, v6, -v12
	v_mul_f32_e32 v2, v2, v7
	v_fmac_f32_e32 v2, v3, v6
	v_add_f32_e32 v11, 0, v27
	v_add_f32_e32 v6, v10, v2
	v_mul_f32_e32 v2, v5, v9
	v_add_f32_e32 v11, v11, v14
	v_fma_f32 v2, v4, v8, -v2
	v_mul_f32_e32 v4, v4, v9
	v_add_f32_e32 v3, v11, v12
	v_fmac_f32_e32 v4, v5, v8
	v_add_f32_e32 v2, v3, v2
	v_add_f32_e32 v3, v6, v4
	s_barrier
	ds_write_b64 v26, v[2:3]
	s_waitcnt lgkmcnt(0)
	s_barrier
	s_and_saveexec_b64 s[8:9], s[20:21]
	s_cbranch_execz .LBB186_95
; %bb.94:
	ds_read2_b64 v[2:5], v25 offset1:1
	ds_read2_b64 v[6:9], v25 offset0:2 offset1:3
	ds_read2_b64 v[10:13], v25 offset0:4 offset1:5
	s_waitcnt lgkmcnt(2)
	v_add_f32_e32 v2, v36, v2
	v_add_f32_e32 v3, v37, v3
	;; [unrolled: 1-line block ×4, first 2 shown]
	s_waitcnt lgkmcnt(1)
	v_add_f32_e32 v2, v2, v6
	v_add_f32_e32 v3, v3, v7
	v_add_f32_e32 v6, v2, v8
	v_add_f32_e32 v7, v3, v9
	ds_read2_b64 v[2:5], v25 offset0:6 offset1:7
	s_waitcnt lgkmcnt(1)
	v_add_f32_e32 v6, v6, v10
	v_add_f32_e32 v7, v7, v11
	;; [unrolled: 1-line block ×4, first 2 shown]
	s_waitcnt lgkmcnt(0)
	v_add_f32_e32 v2, v6, v2
	v_add_f32_e32 v3, v7, v3
	;; [unrolled: 1-line block ×4, first 2 shown]
.LBB186_95:
	s_or_b64 exec, exec, s[8:9]
	s_load_dwordx2 s[4:5], s[4:5], 0x68
	s_mul_hi_u32 s8, s7, s28
	s_mul_i32 s33, s33, s28
	s_add_i32 s8, s8, s33
	s_mul_i32 s10, s7, s28
	s_mul_i32 s8, s8, s29
	s_mul_hi_u32 s9, s10, s29
	s_add_i32 s9, s9, s8
	s_mul_i32 s8, s10, s29
	s_lshl_b64 s[8:9], s[8:9], 3
	s_waitcnt lgkmcnt(0)
	s_add_u32 s8, s4, s8
	s_mul_i32 s4, s7, s6
	s_addc_u32 s9, s5, s9
	s_ashr_i32 s5, s4, 31
	s_lshl_b64 s[4:5], s[4:5], 3
	s_add_u32 s7, s8, s4
	v_cmp_le_i32_e32 vcc, s30, v0
	s_addc_u32 s20, s9, s5
	s_and_b64 vcc, s[38:39], vcc
	s_cmp_lt_i32 s6, 1
	v_lshlrev_b32_e32 v74, 3, v0
	s_barrier
	s_cbranch_scc1 .LBB186_102
; %bb.96:
	s_mul_i32 s4, s22, s35
	s_mul_hi_u32 s5, s22, s34
	s_add_i32 s4, s5, s4
	s_mul_i32 s5, s23, s34
	s_add_i32 s5, s4, s5
	s_mul_i32 s4, s22, s34
	s_lshl_b64 s[4:5], s[4:5], 3
	v_mov_b32_e32 v2, s5
	v_subrev_co_u32_e64 v75, s[4:5], s4, v18
	v_subb_co_u32_e64 v76, s[4:5], v19, v2, s[4:5]
	v_mov_b32_e32 v2, s37
	v_subrev_co_u32_e64 v4, s[4:5], s36, v22
	v_lshlrev_b32_e32 v8, 2, v1
	v_subb_co_u32_e64 v7, s[4:5], v23, v2, s[4:5]
	v_mad_u64_u32 v[2:3], s[4:5], s26, v8, 0
	s_movk_i32 s8, 0xff00
	v_add_co_u32_e64 v9, s[4:5], s8, v4
	v_addc_co_u32_e64 v7, s[4:5], -1, v7, s[4:5]
	v_mad_u64_u32 v[3:4], s[4:5], s27, v8, v[3:4]
	v_sub_co_u32_e64 v4, s[4:5], v9, v20
	v_lshlrev_b64 v[2:3], 3, v[2:3]
	v_subb_co_u32_e64 v7, s[4:5], v7, v21, s[4:5]
	v_add_co_u32_e64 v2, s[4:5], v4, v2
	v_addc_co_u32_e64 v3, s[4:5], v7, v3, s[4:5]
	s_ashr_i32 s31, s30, 31
	s_lshl_b64 s[4:5], s[30:31], 3
	v_mov_b32_e32 v4, s5
	v_add_co_u32_e64 v7, s[4:5], s4, v2
	v_addc_co_u32_e64 v4, s[4:5], v3, v4, s[4:5]
	v_add_co_u32_e64 v7, s[4:5], -8, v7
	v_addc_co_u32_e64 v4, s[4:5], -1, v4, s[4:5]
	v_add_co_u32_e64 v2, s[4:5], v2, v74
	v_addc_co_u32_e64 v3, s[4:5], 0, v3, s[4:5]
	v_cndmask_b32_e32 v41, v3, v4, vcc
	v_and_b32_e32 v3, 48, v0
	v_lshrrev_b32_e32 v5, 4, v24
	v_and_b32_e32 v6, 15, v0
	v_cndmask_b32_e32 v40, v2, v7, vcc
	v_mov_b32_e32 v2, 0x2180
	s_movk_i32 s8, 0x218
	v_lshlrev_b32_e32 v3, 3, v3
	s_mul_i32 s31, s27, 0x118
	s_mul_hi_u32 s33, s26, 0x118
	v_lshl_add_u32 v78, v1, 5, v2
	v_lshlrev_b32_e32 v2, 5, v5
	v_mad_u32_u24 v82, v6, s8, v3
	v_or_b32_e32 v3, 0x78, v74
	s_add_i32 s38, s33, s31
	s_mul_i32 s33, s27, 0x180
	s_mul_hi_u32 s34, s26, 0x180
	v_mad_u32_u24 v81, v6, s8, v2
	v_mad_u32_u24 v83, v6, s8, v3
	s_mul_i32 s8, s27, 24
	s_mul_hi_u32 s9, s26, 24
	s_add_i32 s39, s34, s33
	s_mul_i32 s34, s27, 0x190
	s_mul_hi_u32 s35, s26, 0x190
	s_add_i32 s8, s9, s8
	;; [unrolled: 3-line block ×5, first 2 shown]
	s_mul_i32 s36, s27, 0x188
	s_mul_hi_u32 s37, s26, 0x188
	s_lshl_b64 s[10:11], s[26:27], 3
	s_lshl_b64 s[12:13], s[26:27], 4
	;; [unrolled: 1-line block ×4, first 2 shown]
	s_add_i32 s18, s19, s18
	s_mul_i32 s19, s27, 0x110
	s_mul_hi_u32 s30, s26, 0x110
	s_add_i32 s42, s37, s36
	s_mul_i32 s37, s27, 0x108
	s_mul_hi_u32 s43, s26, 0x108
	s_mulk_i32 s27, 0x88
	s_mul_hi_u32 s44, s26, 0x88
	s_movk_i32 s4, 0x860
	v_mul_i32_i24_e32 v2, 0xffffffe8, v5
	s_add_i32 s19, s30, s19
	s_add_i32 s43, s43, s37
	;; [unrolled: 1-line block ×3, first 2 shown]
	v_mov_b32_e32 v39, 0
	v_add_u32_e32 v77, 0x2180, v74
	v_add_u32_e32 v79, 0x2380, v74
	v_mad_u32_u24 v80, v1, s4, v74
	v_cmp_gt_u32_e64 s[4:5], 64, v24
	s_mul_i32 s21, s26, 24
	s_mul_i32 s28, s26, 0x90
	;; [unrolled: 1-line block ×10, first 2 shown]
	s_mulk_i32 s26, 0x88
	s_mov_b32 s27, 0
	v_mov_b32_e32 v84, s11
	v_mov_b32_e32 v85, s13
	;; [unrolled: 1-line block ×15, first 2 shown]
	v_add_u32_e32 v99, v81, v2
	v_mov_b32_e32 v100, s15
	s_branch .LBB186_98
.LBB186_97:                             ;   in Loop: Header=BB186_98 Depth=1
	s_or_b64 exec, exec, s[18:19]
	v_mul_f32_e32 v38, v7, v43
	v_fma_f32 v38, v6, v42, -v38
	v_add_f32_e32 v36, v36, v38
	v_mul_f32_e32 v38, v9, v45
	v_mul_f32_e32 v7, v7, v42
	v_fma_f32 v38, v8, v44, -v38
	v_mul_f32_e32 v9, v9, v44
	v_add_f32_e32 v36, v36, v38
	v_mul_f32_e32 v38, v3, v47
	v_fmac_f32_e32 v7, v6, v43
	v_fma_f32 v38, v2, v46, -v38
	v_mul_f32_e32 v3, v3, v46
	v_add_f32_e32 v6, v37, v7
	v_fmac_f32_e32 v9, v8, v45
	v_add_f32_e32 v36, v36, v38
	v_mul_f32_e32 v38, v5, v49
	v_mul_f32_e32 v5, v5, v48
	v_add_f32_e32 v6, v6, v9
	v_fmac_f32_e32 v3, v2, v47
	v_fma_f32 v38, v4, v48, -v38
	v_add_f32_e32 v2, v6, v3
	v_fmac_f32_e32 v5, v4, v49
	v_mul_f32_e32 v3, v15, v55
	v_add_f32_e32 v36, v36, v38
	v_add_f32_e32 v2, v2, v5
	v_fma_f32 v3, v14, v54, -v3
	v_mul_f32_e32 v5, v17, v53
	v_add_f32_e32 v3, v36, v3
	v_fma_f32 v5, v16, v52, -v5
	v_add_f32_e32 v3, v3, v5
	v_mul_f32_e32 v5, v11, v51
	v_mul_f32_e32 v4, v15, v54
	v_fma_f32 v5, v10, v50, -v5
	v_add_f32_e32 v3, v3, v5
	v_mul_f32_e32 v5, v13, v57
	v_fmac_f32_e32 v4, v14, v55
	v_fma_f32 v5, v12, v56, -v5
	v_add_f32_e32 v2, v2, v4
	v_mul_f32_e32 v4, v23, v63
	v_add_f32_e32 v3, v3, v5
	v_fma_f32 v4, v22, v62, -v4
	v_add_f32_e32 v3, v3, v4
	v_mul_f32_e32 v4, v25, v59
	v_fma_f32 v4, v24, v58, -v4
	v_mul_f32_e32 v6, v17, v52
	v_add_f32_e32 v3, v3, v4
	v_mul_f32_e32 v4, v19, v61
	v_mul_f32_e32 v7, v11, v50
	v_fmac_f32_e32 v6, v16, v53
	v_fma_f32 v4, v18, v60, -v4
	v_mul_f32_e32 v8, v13, v56
	v_add_f32_e32 v2, v2, v6
	v_fmac_f32_e32 v7, v10, v51
	v_add_f32_e32 v3, v3, v4
	v_mul_f32_e32 v4, v21, v65
	v_add_f32_e32 v2, v2, v7
	v_fmac_f32_e32 v8, v12, v57
	v_mul_f32_e32 v5, v23, v62
	v_fma_f32 v4, v20, v64, -v4
	v_add_f32_e32 v2, v2, v8
	v_mul_f32_e32 v6, v25, v58
	v_add_f32_e32 v3, v3, v4
	v_fmac_f32_e32 v5, v22, v63
	v_mul_f32_e32 v4, v31, v71
	v_mul_f32_e32 v7, v19, v60
	v_add_f32_e32 v2, v2, v5
	v_fmac_f32_e32 v6, v24, v59
	v_fma_f32 v4, v30, v70, -v4
	v_mul_f32_e32 v8, v21, v64
	v_add_f32_e32 v2, v2, v6
	v_fmac_f32_e32 v7, v18, v61
	v_add_f32_e32 v3, v3, v4
	v_mul_f32_e32 v4, v33, v69
	v_add_f32_e32 v2, v2, v7
	v_fmac_f32_e32 v8, v20, v65
	v_mul_f32_e32 v5, v31, v70
	v_fma_f32 v4, v32, v68, -v4
	v_add_f32_e32 v2, v2, v8
	v_mul_f32_e32 v6, v33, v68
	v_add_f32_e32 v3, v3, v4
	v_mul_f32_e32 v4, v27, v67
	v_fmac_f32_e32 v5, v30, v71
	v_fma_f32 v4, v26, v66, -v4
	v_mul_f32_e32 v7, v27, v66
	v_fmac_f32_e32 v6, v32, v69
	v_add_f32_e32 v2, v2, v5
	v_add_f32_e32 v3, v3, v4
	v_mul_f32_e32 v4, v29, v73
	v_mul_f32_e32 v8, v29, v72
	v_fmac_f32_e32 v7, v26, v67
	v_add_f32_e32 v2, v2, v6
	v_fma_f32 v4, v28, v72, -v4
	v_fmac_f32_e32 v8, v28, v73
	v_add_f32_e32 v2, v2, v7
	s_add_i32 s27, s27, 64
	s_add_i32 s6, s6, -1
	v_add_co_u32_e64 v40, s[8:9], s14, v40
	v_add_f32_e32 v36, v3, v4
	v_add_f32_e32 v37, v2, v8
	s_cmp_eq_u32 s6, 0
	v_addc_co_u32_e64 v41, s[8:9], v41, v100, s[8:9]
	s_waitcnt vmcnt(0)
	s_barrier
	s_cbranch_scc1 .LBB186_102
.LBB186_98:                             ; =>This Inner Loop Header: Depth=1
	s_and_saveexec_b64 s[18:19], s[2:3]
	s_cbranch_execz .LBB186_100
; %bb.99:                               ;   in Loop: Header=BB186_98 Depth=1
	s_mul_i32 s8, s23, s27
	s_mul_hi_u32 s9, s22, s27
	s_add_i32 s9, s9, s8
	s_mul_i32 s8, s22, s27
	s_lshl_b64 s[8:9], s[8:9], 3
	v_mov_b32_e32 v3, s9
	v_add_co_u32_e64 v2, s[8:9], s8, v75
	v_addc_co_u32_e64 v3, s[8:9], v76, v3, s[8:9]
	flat_load_dwordx2 v[2:3], v[2:3]
	s_waitcnt vmcnt(0) lgkmcnt(0)
	ds_write_b64 v77, v[2:3]
.LBB186_100:                            ;   in Loop: Header=BB186_98 Depth=1
	s_or_b64 exec, exec, s[18:19]
	v_add_co_u32_e64 v2, s[8:9], s10, v40
	v_addc_co_u32_e64 v3, s[8:9], v41, v84, s[8:9]
	v_add_co_u32_e64 v4, s[8:9], s12, v40
	v_addc_co_u32_e64 v5, s[8:9], v41, v85, s[8:9]
	s_waitcnt lgkmcnt(0)
	s_barrier
	flat_load_dwordx2 v[42:43], v[40:41]
	flat_load_dwordx2 v[44:45], v[2:3]
	;; [unrolled: 1-line block ×3, first 2 shown]
	v_add_co_u32_e64 v2, s[8:9], s21, v40
	v_addc_co_u32_e64 v3, s[8:9], v41, v86, s[8:9]
	flat_load_dwordx2 v[48:49], v[2:3]
	v_add_co_u32_e64 v12, s[8:9], s16, v40
	v_addc_co_u32_e64 v13, s[8:9], v41, v87, s[8:9]
	ds_read_b64 v[10:11], v79
	ds_read_b128 v[6:9], v78
	ds_read_b128 v[2:5], v78 offset:16
	v_add_co_u32_e64 v14, s[8:9], s26, v40
	v_addc_co_u32_e64 v15, s[8:9], v41, v88, s[8:9]
	v_add_co_u32_e64 v16, s[8:9], s28, v40
	v_addc_co_u32_e64 v17, s[8:9], v41, v89, s[8:9]
	s_waitcnt vmcnt(0) lgkmcnt(0)
	v_mul_f32_e32 v18, v11, v43
	v_mul_f32_e32 v19, v11, v42
	;; [unrolled: 1-line block ×7, first 2 shown]
	v_fma_f32 v18, v10, v42, -v18
	v_fmac_f32_e32 v19, v10, v43
	v_mul_f32_e32 v25, v10, v49
	v_fma_f32 v20, v10, v44, -v20
	v_fmac_f32_e32 v21, v10, v45
	v_fma_f32 v22, v10, v46, -v22
	v_fma_f32 v24, v10, v48, -v24
	v_fmac_f32_e32 v23, v10, v47
	v_add_co_u32_e64 v10, s[8:9], s29, v40
	v_fmac_f32_e32 v25, v11, v48
	ds_write2_b64 v80, v[18:19], v[20:21] offset1:67
	ds_write2_b64 v80, v[22:23], v[24:25] offset0:134 offset1:201
	s_waitcnt lgkmcnt(0)
	s_barrier
	ds_read2_b64 v[26:29], v81 offset1:1
	ds_read2_b64 v[30:33], v81 offset0:2 offset1:3
	s_waitcnt lgkmcnt(0)
	s_barrier
	flat_load_dwordx2 v[54:55], v[12:13]
	flat_load_dwordx2 v[52:53], v[14:15]
	flat_load_dwordx2 v[50:51], v[16:17]
	v_addc_co_u32_e64 v11, s[8:9], v41, v90, s[8:9]
	flat_load_dwordx2 v[56:57], v[10:11]
	ds_read_b64 v[22:23], v79
	v_add_co_u32_e64 v18, s[8:9], s24, v40
	v_addc_co_u32_e64 v19, s[8:9], v41, v91, s[8:9]
	v_add_co_u32_e64 v20, s[8:9], s37, v40
	v_addc_co_u32_e64 v21, s[8:9], v41, v92, s[8:9]
	v_add_co_u32_e64 v24, s[8:9], s30, v40
	v_addc_co_u32_e64 v25, s[8:9], v41, v93, s[8:9]
	ds_read_b128 v[14:17], v78 offset:128
	ds_read_b128 v[10:13], v78 offset:144
	v_add_f32_e32 v26, 0, v26
	v_add_f32_e32 v27, 0, v27
	;; [unrolled: 1-line block ×6, first 2 shown]
	s_waitcnt vmcnt(0) lgkmcnt(0)
	v_mul_f32_e32 v38, v23, v55
	v_mul_f32_e32 v59, v23, v54
	;; [unrolled: 1-line block ×8, first 2 shown]
	v_fma_f32 v58, v22, v54, -v38
	v_fma_f32 v60, v22, v52, -v60
	;; [unrolled: 1-line block ×3, first 2 shown]
	v_fmac_f32_e32 v59, v22, v55
	v_fmac_f32_e32 v61, v22, v53
	;; [unrolled: 1-line block ×3, first 2 shown]
	v_fma_f32 v64, v22, v56, -v64
	v_fmac_f32_e32 v65, v23, v56
	ds_write2_b64 v80, v[58:59], v[60:61] offset1:67
	ds_write2_b64 v80, v[62:63], v[64:65] offset0:134 offset1:201
	s_waitcnt lgkmcnt(0)
	s_barrier
	ds_read2_b64 v[101:104], v81 offset1:1
	ds_read2_b64 v[105:108], v81 offset0:2 offset1:3
	s_waitcnt lgkmcnt(0)
	s_barrier
	flat_load_dwordx2 v[62:63], v[18:19]
	flat_load_dwordx2 v[58:59], v[20:21]
	;; [unrolled: 1-line block ×3, first 2 shown]
	v_add_co_u32_e64 v18, s[8:9], s31, v40
	v_addc_co_u32_e64 v19, s[8:9], v41, v94, s[8:9]
	flat_load_dwordx2 v[64:65], v[18:19]
	ds_read_b64 v[66:67], v79
	v_add_co_u32_e64 v72, s[8:9], s33, v40
	v_addc_co_u32_e64 v73, s[8:9], v41, v95, s[8:9]
	v_add_co_u32_e64 v117, s[8:9], s36, v40
	v_addc_co_u32_e64 v118, s[8:9], v41, v96, s[8:9]
	v_add_co_u32_e64 v119, s[8:9], s34, v40
	v_addc_co_u32_e64 v120, s[8:9], v41, v97, s[8:9]
	ds_read_b128 v[22:25], v78 offset:256
	ds_read_b128 v[18:21], v78 offset:272
	s_waitcnt vmcnt(0) lgkmcnt(0)
	v_mul_f32_e32 v38, v67, v63
	v_mul_f32_e32 v69, v67, v62
	;; [unrolled: 1-line block ×6, first 2 shown]
	v_fma_f32 v68, v66, v62, -v38
	v_mul_f32_e32 v111, v67, v65
	v_mul_f32_e32 v112, v66, v65
	v_fma_f32 v70, v66, v58, -v70
	v_fmac_f32_e32 v69, v66, v63
	v_fmac_f32_e32 v71, v66, v59
	v_fma_f32 v109, v66, v60, -v109
	v_fma_f32 v111, v66, v64, -v111
	v_fmac_f32_e32 v110, v66, v61
	v_fmac_f32_e32 v112, v67, v64
	ds_write2_b64 v80, v[68:69], v[70:71] offset1:67
	ds_write2_b64 v80, v[109:110], v[111:112] offset0:134 offset1:201
	s_waitcnt lgkmcnt(0)
	s_barrier
	ds_read2_b64 v[109:112], v81 offset1:1
	ds_read2_b64 v[113:116], v81 offset0:2 offset1:3
	s_waitcnt lgkmcnt(0)
	s_barrier
	flat_load_dwordx2 v[70:71], v[72:73]
	flat_load_dwordx2 v[68:69], v[117:118]
	;; [unrolled: 1-line block ×3, first 2 shown]
	v_add_co_u32_e64 v72, s[8:9], s35, v40
	v_addc_co_u32_e64 v73, s[8:9], v41, v98, s[8:9]
	flat_load_dwordx2 v[72:73], v[72:73]
	v_add_f32_e32 v117, v26, v32
	v_add_f32_e32 v118, v27, v33
	;; [unrolled: 1-line block ×10, first 2 shown]
	ds_read_b64 v[101:102], v79
	ds_read_b128 v[30:33], v78 offset:384
	ds_read_b128 v[26:29], v78 offset:400
	v_add_f32_e32 v38, 0, v109
	v_add_f32_e32 v103, 0, v110
	;; [unrolled: 1-line block ×8, first 2 shown]
	s_waitcnt vmcnt(0) lgkmcnt(0)
	v_mul_f32_e32 v38, v102, v71
	v_mul_f32_e32 v104, v102, v70
	;; [unrolled: 1-line block ×6, first 2 shown]
	v_fma_f32 v103, v101, v70, -v38
	v_mul_f32_e32 v111, v102, v73
	v_mul_f32_e32 v112, v101, v73
	v_fma_f32 v105, v101, v68, -v105
	v_fmac_f32_e32 v104, v101, v71
	v_fmac_f32_e32 v106, v101, v69
	v_fma_f32 v107, v101, v66, -v107
	v_fmac_f32_e32 v108, v101, v67
	v_fma_f32 v111, v101, v72, -v111
	v_fmac_f32_e32 v112, v102, v72
	ds_write2_b64 v80, v[103:104], v[105:106] offset1:67
	ds_write2_b64 v80, v[107:108], v[111:112] offset0:134 offset1:201
	s_waitcnt lgkmcnt(0)
	s_barrier
	ds_read2_b64 v[101:104], v81 offset1:1
	ds_read2_b64 v[105:108], v81 offset0:2 offset1:3
	s_waitcnt lgkmcnt(0)
	s_barrier
	v_add_f32_e32 v38, 0, v101
	v_add_f32_e32 v101, 0, v102
	;; [unrolled: 1-line block ×8, first 2 shown]
	ds_write2_b64 v99, v[117:118], v[119:120] offset1:16
	ds_write2_b64 v99, v[109:110], v[101:102] offset0:32 offset1:48
	s_waitcnt lgkmcnt(0)
	s_barrier
	s_and_saveexec_b64 s[18:19], s[4:5]
	s_cbranch_execz .LBB186_97
; %bb.101:                              ;   in Loop: Header=BB186_98 Depth=1
	ds_read_b64 v[109:110], v82
	ds_read2_b64 v[101:104], v82 offset0:1 offset1:2
	ds_read2_b64 v[105:108], v82 offset0:3 offset1:4
	s_waitcnt lgkmcnt(1)
	v_add_f32_e32 v38, v101, v109
	v_add_f32_e32 v101, v102, v110
	v_add_f32_e32 v38, v103, v38
	v_add_f32_e32 v109, v104, v101
	ds_read2_b64 v[101:104], v82 offset0:5 offset1:6
	s_waitcnt lgkmcnt(1)
	v_add_f32_e32 v38, v38, v105
	v_add_f32_e32 v105, v109, v106
	v_add_f32_e32 v38, v38, v107
	v_add_f32_e32 v109, v105, v108
	;; [unrolled: 6-line block ×6, first 2 shown]
	ds_read_b64 v[105:106], v83
	s_waitcnt lgkmcnt(1)
	v_add_f32_e32 v38, v38, v101
	v_add_f32_e32 v101, v107, v102
	v_add_f32_e32 v38, v38, v103
	v_add_f32_e32 v102, v101, v104
	s_waitcnt lgkmcnt(0)
	v_add_f32_e32 v101, v38, v105
	v_add_u32_e32 v38, s27, v0
	v_lshlrev_b64 v[103:104], 3, v[38:39]
	v_mov_b32_e32 v38, s20
	v_add_co_u32_e64 v103, s[8:9], s7, v103
	v_add_f32_e32 v102, v102, v106
	v_addc_co_u32_e64 v104, s[8:9], v38, v104, s[8:9]
	global_store_dwordx2 v[103:104], v[101:102], off
	s_branch .LBB186_97
.LBB186_102:
	s_movk_i32 s2, 0x218
	v_mad_u32_u24 v0, v1, s2, v74
	s_nor_b64 s[0:1], s[0:1], vcc
	ds_write_b64 v0, v[36:37]
	s_waitcnt lgkmcnt(0)
	s_barrier
	s_and_saveexec_b64 s[2:3], s[0:1]
	s_cbranch_execz .LBB186_104
; %bb.103:
	ds_read2_b64 v[0:3], v74 offset1:67
	ds_read2_b64 v[4:7], v74 offset0:134 offset1:201
	s_waitcnt lgkmcnt(1)
	v_add_f32_e32 v0, v2, v0
	v_add_f32_e32 v1, v3, v1
	v_lshlrev_b64 v[2:3], 3, v[34:35]
	s_waitcnt lgkmcnt(0)
	v_add_f32_e32 v0, v4, v0
	v_add_f32_e32 v1, v5, v1
	v_mov_b32_e32 v4, s20
	v_add_co_u32_e32 v2, vcc, s7, v2
	v_add_f32_e32 v0, v0, v6
	v_add_f32_e32 v1, v1, v7
	v_addc_co_u32_e32 v3, vcc, v4, v3, vcc
	global_store_dwordx2 v[2:3], v[0:1], off
.LBB186_104:
	s_endpgm
	.section	.rodata,"a",@progbits
	.p2align	6, 0x0
	.amdhsa_kernel _ZL26rocblas_hemvn_kernel_lowerILb0ELi64ELi4ELi33ELi32ELi16El19rocblas_complex_numIfEPKPKS1_PS1_EviT6_lT7_lT5_lS8_lS9_lS7_lT8_i
		.amdhsa_group_segment_fixed_size 9600
		.amdhsa_private_segment_fixed_size 0
		.amdhsa_kernarg_size 376
		.amdhsa_user_sgpr_count 6
		.amdhsa_user_sgpr_private_segment_buffer 1
		.amdhsa_user_sgpr_dispatch_ptr 0
		.amdhsa_user_sgpr_queue_ptr 0
		.amdhsa_user_sgpr_kernarg_segment_ptr 1
		.amdhsa_user_sgpr_dispatch_id 0
		.amdhsa_user_sgpr_flat_scratch_init 0
		.amdhsa_user_sgpr_private_segment_size 0
		.amdhsa_uses_dynamic_stack 0
		.amdhsa_system_sgpr_private_segment_wavefront_offset 0
		.amdhsa_system_sgpr_workgroup_id_x 1
		.amdhsa_system_sgpr_workgroup_id_y 0
		.amdhsa_system_sgpr_workgroup_id_z 1
		.amdhsa_system_sgpr_workgroup_info 0
		.amdhsa_system_vgpr_workitem_id 1
		.amdhsa_next_free_vgpr 121
		.amdhsa_next_free_sgpr 93
		.amdhsa_reserve_vcc 1
		.amdhsa_reserve_flat_scratch 0
		.amdhsa_float_round_mode_32 0
		.amdhsa_float_round_mode_16_64 0
		.amdhsa_float_denorm_mode_32 3
		.amdhsa_float_denorm_mode_16_64 3
		.amdhsa_dx10_clamp 1
		.amdhsa_ieee_mode 1
		.amdhsa_fp16_overflow 0
		.amdhsa_exception_fp_ieee_invalid_op 0
		.amdhsa_exception_fp_denorm_src 0
		.amdhsa_exception_fp_ieee_div_zero 0
		.amdhsa_exception_fp_ieee_overflow 0
		.amdhsa_exception_fp_ieee_underflow 0
		.amdhsa_exception_fp_ieee_inexact 0
		.amdhsa_exception_int_div_zero 0
	.end_amdhsa_kernel
	.section	.text._ZL26rocblas_hemvn_kernel_lowerILb0ELi64ELi4ELi33ELi32ELi16El19rocblas_complex_numIfEPKPKS1_PS1_EviT6_lT7_lT5_lS8_lS9_lS7_lT8_i,"axG",@progbits,_ZL26rocblas_hemvn_kernel_lowerILb0ELi64ELi4ELi33ELi32ELi16El19rocblas_complex_numIfEPKPKS1_PS1_EviT6_lT7_lT5_lS8_lS9_lS7_lT8_i,comdat
.Lfunc_end186:
	.size	_ZL26rocblas_hemvn_kernel_lowerILb0ELi64ELi4ELi33ELi32ELi16El19rocblas_complex_numIfEPKPKS1_PS1_EviT6_lT7_lT5_lS8_lS9_lS7_lT8_i, .Lfunc_end186-_ZL26rocblas_hemvn_kernel_lowerILb0ELi64ELi4ELi33ELi32ELi16El19rocblas_complex_numIfEPKPKS1_PS1_EviT6_lT7_lT5_lS8_lS9_lS7_lT8_i
                                        ; -- End function
	.set _ZL26rocblas_hemvn_kernel_lowerILb0ELi64ELi4ELi33ELi32ELi16El19rocblas_complex_numIfEPKPKS1_PS1_EviT6_lT7_lT5_lS8_lS9_lS7_lT8_i.num_vgpr, 121
	.set _ZL26rocblas_hemvn_kernel_lowerILb0ELi64ELi4ELi33ELi32ELi16El19rocblas_complex_numIfEPKPKS1_PS1_EviT6_lT7_lT5_lS8_lS9_lS7_lT8_i.num_agpr, 0
	.set _ZL26rocblas_hemvn_kernel_lowerILb0ELi64ELi4ELi33ELi32ELi16El19rocblas_complex_numIfEPKPKS1_PS1_EviT6_lT7_lT5_lS8_lS9_lS7_lT8_i.numbered_sgpr, 46
	.set _ZL26rocblas_hemvn_kernel_lowerILb0ELi64ELi4ELi33ELi32ELi16El19rocblas_complex_numIfEPKPKS1_PS1_EviT6_lT7_lT5_lS8_lS9_lS7_lT8_i.num_named_barrier, 0
	.set _ZL26rocblas_hemvn_kernel_lowerILb0ELi64ELi4ELi33ELi32ELi16El19rocblas_complex_numIfEPKPKS1_PS1_EviT6_lT7_lT5_lS8_lS9_lS7_lT8_i.private_seg_size, 0
	.set _ZL26rocblas_hemvn_kernel_lowerILb0ELi64ELi4ELi33ELi32ELi16El19rocblas_complex_numIfEPKPKS1_PS1_EviT6_lT7_lT5_lS8_lS9_lS7_lT8_i.uses_vcc, 1
	.set _ZL26rocblas_hemvn_kernel_lowerILb0ELi64ELi4ELi33ELi32ELi16El19rocblas_complex_numIfEPKPKS1_PS1_EviT6_lT7_lT5_lS8_lS9_lS7_lT8_i.uses_flat_scratch, 0
	.set _ZL26rocblas_hemvn_kernel_lowerILb0ELi64ELi4ELi33ELi32ELi16El19rocblas_complex_numIfEPKPKS1_PS1_EviT6_lT7_lT5_lS8_lS9_lS7_lT8_i.has_dyn_sized_stack, 0
	.set _ZL26rocblas_hemvn_kernel_lowerILb0ELi64ELi4ELi33ELi32ELi16El19rocblas_complex_numIfEPKPKS1_PS1_EviT6_lT7_lT5_lS8_lS9_lS7_lT8_i.has_recursion, 0
	.set _ZL26rocblas_hemvn_kernel_lowerILb0ELi64ELi4ELi33ELi32ELi16El19rocblas_complex_numIfEPKPKS1_PS1_EviT6_lT7_lT5_lS8_lS9_lS7_lT8_i.has_indirect_call, 0
	.section	.AMDGPU.csdata,"",@progbits
; Kernel info:
; codeLenInByte = 7468
; TotalNumSgprs: 50
; NumVgprs: 121
; ScratchSize: 0
; MemoryBound: 1
; FloatMode: 240
; IeeeMode: 1
; LDSByteSize: 9600 bytes/workgroup (compile time only)
; SGPRBlocks: 12
; VGPRBlocks: 30
; NumSGPRsForWavesPerEU: 97
; NumVGPRsForWavesPerEU: 121
; Occupancy: 2
; WaveLimiterHint : 1
; COMPUTE_PGM_RSRC2:SCRATCH_EN: 0
; COMPUTE_PGM_RSRC2:USER_SGPR: 6
; COMPUTE_PGM_RSRC2:TRAP_HANDLER: 0
; COMPUTE_PGM_RSRC2:TGID_X_EN: 1
; COMPUTE_PGM_RSRC2:TGID_Y_EN: 0
; COMPUTE_PGM_RSRC2:TGID_Z_EN: 1
; COMPUTE_PGM_RSRC2:TIDIG_COMP_CNT: 1
	.section	.text._ZL26rocblas_hemvn_kernel_lowerILb0ELi64ELi4ELi33ELi32ELi16Ei19rocblas_complex_numIfEPKPKS1_PS1_EviT6_lT7_lT5_lS8_lS9_lS7_lT8_i,"axG",@progbits,_ZL26rocblas_hemvn_kernel_lowerILb0ELi64ELi4ELi33ELi32ELi16Ei19rocblas_complex_numIfEPKPKS1_PS1_EviT6_lT7_lT5_lS8_lS9_lS7_lT8_i,comdat
	.globl	_ZL26rocblas_hemvn_kernel_lowerILb0ELi64ELi4ELi33ELi32ELi16Ei19rocblas_complex_numIfEPKPKS1_PS1_EviT6_lT7_lT5_lS8_lS9_lS7_lT8_i ; -- Begin function _ZL26rocblas_hemvn_kernel_lowerILb0ELi64ELi4ELi33ELi32ELi16Ei19rocblas_complex_numIfEPKPKS1_PS1_EviT6_lT7_lT5_lS8_lS9_lS7_lT8_i
	.p2align	8
	.type	_ZL26rocblas_hemvn_kernel_lowerILb0ELi64ELi4ELi33ELi32ELi16Ei19rocblas_complex_numIfEPKPKS1_PS1_EviT6_lT7_lT5_lS8_lS9_lS7_lT8_i,@function
_ZL26rocblas_hemvn_kernel_lowerILb0ELi64ELi4ELi33ELi32ELi16Ei19rocblas_complex_numIfEPKPKS1_PS1_EviT6_lT7_lT5_lS8_lS9_lS7_lT8_i: ; @_ZL26rocblas_hemvn_kernel_lowerILb0ELi64ELi4ELi33ELi32ELi16Ei19rocblas_complex_numIfEPKPKS1_PS1_EviT6_lT7_lT5_lS8_lS9_lS7_lT8_i
; %bb.0:
	s_load_dwordx2 s[2:3], s[4:5], 0x84
	s_add_u32 s0, s4, 0x78
	s_mov_b32 s22, s7
	s_addc_u32 s1, s5, 0
	s_waitcnt lgkmcnt(0)
	s_lshr_b32 s7, s2, 16
	s_and_b32 s2, s2, 0xffff
	s_and_b32 s3, s3, 0xffff
	s_mul_i32 s2, s7, s2
	s_mul_i32 s2, s2, s3
	s_cmpk_lg_i32 s2, 0x100
	s_cbranch_scc1 .LBB187_104
; %bb.1:
	s_load_dwordx2 s[2:3], s[4:5], 0x4
	v_mov_b32_e32 v2, v1
	s_waitcnt lgkmcnt(0)
	s_or_b32 s2, s2, s3
	s_bitset0_b32 s2, 31
	s_cmp_lg_u32 s2, 0
	s_mov_b64 s[2:3], -1
	s_cbranch_scc1 .LBB187_3
; %bb.2:
	s_load_dwordx2 s[2:3], s[4:5], 0x58
	s_waitcnt lgkmcnt(0)
	v_cmp_eq_f32_e64 s[8:9], s2, 1.0
	v_cmp_eq_f32_e64 s[2:3], s3, 0
	s_and_b64 s[2:3], s[8:9], s[2:3]
	s_andn2_b64 vcc, exec, s[2:3]
	s_mov_b64 s[2:3], 0
.LBB187_3:
	s_andn2_b64 vcc, exec, s[2:3]
	s_cbranch_vccnz .LBB187_104
; %bb.4:
	s_load_dwordx4 s[8:11], s[4:5], 0x18
	s_load_dwordx4 s[12:15], s[4:5], 0x38
	s_load_dword s7, s[4:5], 0x48
	s_mov_b32 s23, 0
	s_lshl_b64 s[2:3], s[22:23], 3
	s_waitcnt lgkmcnt(0)
	s_add_u32 s16, s8, s2
	s_addc_u32 s17, s9, s3
	s_add_u32 s2, s12, s2
	s_addc_u32 s3, s13, s3
	s_load_dwordx2 s[12:13], s[2:3], 0x0
	s_load_dword s23, s[4:5], 0x0
	s_load_dword s33, s[0:1], 0x0
	s_load_dwordx2 s[8:9], s[16:17], 0x0
	s_lshl_b64 s[0:1], s[14:15], 3
	s_waitcnt lgkmcnt(0)
	s_add_u32 s0, s12, s0
	s_addc_u32 s1, s13, s1
	s_lshl_b32 s28, s6, 6
	v_add_u32_e32 v35, s28, v0
	v_mul_lo_u32 v3, s7, v35
	s_ashr_i32 s42, s23, 31
	s_lshr_b32 s3, s42, 26
	s_add_i32 s3, s23, s3
	v_ashrrev_i32_e32 v4, 31, v3
	s_andn2_b32 s3, s3, 63
	v_lshlrev_b64 v[3:4], 3, v[3:4]
	s_add_i32 s2, s33, -1
	s_sub_i32 s3, s23, s3
	s_cmp_eq_u32 s6, s2
	v_mov_b32_e32 v1, s1
	v_add_co_u32_e32 v19, vcc, s0, v3
	s_cselect_b32 s26, s3, 0
	v_addc_co_u32_e32 v20, vcc, v1, v4, vcc
	v_cmp_ne_u32_e64 s[0:1], 0, v2
	v_cmp_eq_u32_e64 s[2:3], 0, v2
	s_and_saveexec_b64 s[12:13], s[2:3]
	s_cbranch_execz .LBB187_9
; %bb.5:
	s_cmp_lg_u32 s26, 0
	s_cselect_b64 s[14:15], -1, 0
	v_cmp_le_i32_e32 vcc, s26, v0
	v_mov_b32_e32 v1, 0x2380
	s_and_b64 s[14:15], s[14:15], vcc
	v_lshl_add_u32 v1, v0, 3, v1
	s_and_saveexec_b64 s[16:17], s[14:15]
	s_xor_b64 s[14:15], exec, s[16:17]
; %bb.6:
	v_mov_b32_e32 v3, 0
	v_mov_b32_e32 v4, v3
	ds_write_b64 v1, v[3:4]
                                        ; implicit-def: $vgpr1
; %bb.7:
	s_andn2_saveexec_b64 s[14:15], s[14:15]
	s_cbranch_execz .LBB187_9
; %bb.8:
	flat_load_dwordx2 v[3:4], v[19:20]
	s_waitcnt vmcnt(0) lgkmcnt(0)
	ds_write_b64 v1, v[3:4]
.LBB187_9:
	s_or_b64 exec, exec, s[12:13]
	s_load_dword s24, s[4:5], 0x28
	s_lshl_b64 s[10:11], s[10:11], 3
	v_lshl_add_u32 v25, v2, 6, v0
	s_add_u32 s10, s8, s10
	v_and_b32_e32 v1, 31, v0
	v_lshrrev_b32_e32 v7, 5, v25
	s_addc_u32 s11, s9, s11
	s_waitcnt lgkmcnt(0)
	v_mad_u64_u32 v[3:4], s[8:9], s24, v7, v[1:2]
	s_ashr_i32 s29, s28, 31
	s_lshl_b64 s[8:9], s[28:29], 3
	v_ashrrev_i32_e32 v4, 31, v3
	v_lshlrev_b64 v[21:22], 3, v[3:4]
	s_add_u32 s8, s10, s8
	s_addc_u32 s9, s11, s9
	v_add_co_u32_e32 v4, vcc, s8, v21
	s_mul_i32 s8, s24, s28
	v_mov_b32_e32 v3, s9
	s_ashr_i32 s9, s8, 31
	v_addc_co_u32_e32 v5, vcc, v3, v22, vcc
	s_lshl_b64 s[30:31], s[8:9], 3
	v_mov_b32_e32 v6, s31
	v_add_co_u32_e32 v3, vcc, s30, v4
	s_cmp_lg_u32 s26, 0
	v_addc_co_u32_e32 v4, vcc, v5, v6, vcc
	s_cselect_b64 s[34:35], -1, 0
	s_cmp_eq_u32 s26, 0
	s_cselect_b64 s[18:19], -1, 0
	s_mov_b64 s[8:9], -1
	s_and_b64 vcc, exec, s[34:35]
	s_cbranch_vccnz .LBB187_11
; %bb.10:
	s_lshl_b32 s8, s24, 3
	s_ashr_i32 s9, s8, 31
	s_lshl_b64 s[8:9], s[8:9], 3
	v_mov_b32_e32 v6, s9
	v_add_co_u32_e32 v5, vcc, s8, v3
	s_ashr_i32 s25, s24, 31
	v_addc_co_u32_e32 v6, vcc, v4, v6, vcc
	s_lshl_b64 s[8:9], s[24:25], 6
	v_mov_b32_e32 v11, s9
	v_add_co_u32_e32 v8, vcc, s8, v5
	v_addc_co_u32_e32 v9, vcc, v6, v11, vcc
	v_add_co_u32_e32 v10, vcc, s8, v8
	v_addc_co_u32_e32 v11, vcc, v9, v11, vcc
	flat_load_dwordx2 v[12:13], v[3:4]
	flat_load_dwordx2 v[14:15], v[5:6]
	;; [unrolled: 1-line block ×4, first 2 shown]
	v_mul_u32_u24_e32 v5, 0x108, v7
	v_lshl_add_u32 v5, v1, 3, v5
	s_mov_b64 s[8:9], 0
	s_waitcnt vmcnt(0) lgkmcnt(0)
	ds_write_b64 v5, v[12:13]
	ds_write_b64 v5, v[14:15] offset:2112
	ds_write_b64 v5, v[16:17] offset:4224
	ds_write_b64 v5, v[23:24] offset:6336
.LBB187_11:
	s_andn2_b64 vcc, exec, s[8:9]
	v_lshlrev_b32_e32 v8, 3, v1
	s_cbranch_vccnz .LBB187_29
; %bb.12:
	v_sub_co_u32_e32 v5, vcc, v3, v8
	s_ashr_i32 s27, s26, 31
	v_subbrev_co_u32_e32 v6, vcc, 0, v4, vcc
	s_lshl_b64 s[10:11], s[26:27], 3
	v_mov_b32_e32 v9, s11
	v_add_co_u32_e32 v5, vcc, s10, v5
	v_addc_co_u32_e32 v6, vcc, v6, v9, vcc
	v_add_co_u32_e32 v5, vcc, -8, v5
	v_addc_co_u32_e32 v6, vcc, -1, v6, vcc
	v_cmp_gt_i32_e32 vcc, s26, v1
	v_cndmask_b32_e32 v6, v6, v4, vcc
	v_cndmask_b32_e32 v5, v5, v3, vcc
	v_cmp_le_i32_e64 s[8:9], s26, v7
	v_mul_u32_u24_e32 v9, 0x108, v7
	s_and_saveexec_b64 s[12:13], s[8:9]
	s_xor_b64 s[8:9], exec, s[12:13]
; %bb.13:
	v_mov_b32_e32 v10, 0
	v_add_u32_e32 v12, v8, v9
	v_mov_b32_e32 v11, v10
	ds_write_b64 v12, v[10:11]
; %bb.14:
	s_andn2_saveexec_b64 s[8:9], s[8:9]
	s_cbranch_execz .LBB187_16
; %bb.15:
	flat_load_dwordx2 v[10:11], v[5:6]
	v_add_u32_e32 v12, v8, v9
	s_waitcnt vmcnt(0) lgkmcnt(0)
	ds_write_b64 v12, v[10:11]
.LBB187_16:
	s_or_b64 exec, exec, s[8:9]
	v_add_u32_e32 v10, 8, v7
	v_cmp_le_i32_e64 s[8:9], s26, v10
	s_and_saveexec_b64 s[12:13], s[8:9]
	s_xor_b64 s[8:9], exec, s[12:13]
; %bb.17:
	v_mov_b32_e32 v10, 0
	v_add_u32_e32 v12, v9, v8
	v_mov_b32_e32 v11, v10
	ds_write_b64 v12, v[10:11] offset:2112
; %bb.18:
	s_andn2_saveexec_b64 s[12:13], s[8:9]
	s_cbranch_execz .LBB187_20
; %bb.19:
	s_lshl_b32 s8, s24, 3
	s_ashr_i32 s9, s8, 31
	s_lshl_b64 s[8:9], s[8:9], 3
	v_mov_b32_e32 v11, s9
	v_add_co_u32_e64 v10, s[8:9], s8, v5
	v_addc_co_u32_e64 v11, s[8:9], v6, v11, s[8:9]
	flat_load_dwordx2 v[10:11], v[10:11]
	v_add_u32_e32 v12, v9, v8
	s_waitcnt vmcnt(0) lgkmcnt(0)
	ds_write_b64 v12, v[10:11] offset:2112
.LBB187_20:
	s_or_b64 exec, exec, s[12:13]
	v_add_u32_e32 v10, 16, v7
	v_cmp_le_i32_e64 s[8:9], s26, v10
	s_and_saveexec_b64 s[12:13], s[8:9]
	s_xor_b64 s[8:9], exec, s[12:13]
; %bb.21:
	v_mov_b32_e32 v10, 0
	v_add_u32_e32 v12, v9, v8
	v_mov_b32_e32 v11, v10
	ds_write_b64 v12, v[10:11] offset:4224
; %bb.22:
	s_andn2_saveexec_b64 s[12:13], s[8:9]
	s_cbranch_execz .LBB187_24
; %bb.23:
	s_lshl_b32 s8, s24, 4
	s_ashr_i32 s9, s8, 31
	s_lshl_b64 s[8:9], s[8:9], 3
	v_mov_b32_e32 v11, s9
	v_add_co_u32_e64 v10, s[8:9], s8, v5
	v_addc_co_u32_e64 v11, s[8:9], v6, v11, s[8:9]
	flat_load_dwordx2 v[10:11], v[10:11]
	v_add_u32_e32 v12, v9, v8
	s_waitcnt vmcnt(0) lgkmcnt(0)
	ds_write_b64 v12, v[10:11] offset:4224
.LBB187_24:
	s_or_b64 exec, exec, s[12:13]
	v_add_u32_e32 v10, 24, v7
	v_cmp_le_i32_e64 s[8:9], s26, v10
	s_and_saveexec_b64 s[12:13], s[8:9]
	s_xor_b64 s[8:9], exec, s[12:13]
; %bb.25:
	v_add_u32_e32 v11, v9, v8
	v_mov_b32_e32 v9, 0
	v_mov_b32_e32 v10, v9
	ds_write_b64 v11, v[9:10] offset:6336
                                        ; implicit-def: $vgpr9
; %bb.26:
	s_andn2_saveexec_b64 s[12:13], s[8:9]
	s_cbranch_execz .LBB187_28
; %bb.27:
	s_mul_i32 s8, s24, 24
	s_ashr_i32 s9, s8, 31
	s_lshl_b64 s[8:9], s[8:9], 3
	v_mov_b32_e32 v11, s9
	v_add_co_u32_e64 v10, s[8:9], s8, v5
	v_addc_co_u32_e64 v11, s[8:9], v6, v11, s[8:9]
	flat_load_dwordx2 v[10:11], v[10:11]
	v_add_u32_e32 v9, v9, v8
	s_waitcnt vmcnt(0) lgkmcnt(0)
	ds_write_b64 v9, v[10:11] offset:6336
.LBB187_28:
	s_or_b64 exec, exec, s[12:13]
	v_add_co_u32_e64 v5, s[8:9], v5, v8
	v_addc_co_u32_e64 v6, s[8:9], 0, v6, s[8:9]
	v_mov_b32_e32 v9, s11
	v_subrev_co_u32_e64 v5, s[8:9], s10, v5
	v_subb_co_u32_e64 v6, s[8:9], v6, v9, s[8:9]
	v_add_co_u32_e64 v5, s[8:9], 8, v5
	v_addc_co_u32_e64 v6, s[8:9], 0, v6, s[8:9]
	v_cndmask_b32_e32 v4, v6, v4, vcc
	v_cndmask_b32_e32 v3, v5, v3, vcc
.LBB187_29:
	v_lshlrev_b32_e32 v5, 2, v7
	v_lshl_or_b32 v6, v1, 8, v8
	v_cmp_lt_u32_e64 s[8:9], v5, v1
	s_waitcnt lgkmcnt(0)
	s_barrier
	s_and_saveexec_b64 s[10:11], s[8:9]
	s_cbranch_execz .LBB187_31
; %bb.30:
	s_movk_i32 s12, 0x420
	v_mad_u32_u24 v9, v7, s12, v8
	ds_read_b64 v[9:10], v9
	v_lshl_add_u32 v11, v5, 3, v6
	s_waitcnt lgkmcnt(0)
	ds_write_b64 v11, v[9:10]
.LBB187_31:
	s_or_b64 exec, exec, s[10:11]
	v_or_b32_e32 v9, 1, v5
	v_cmp_lt_u32_e64 s[10:11], v9, v1
	s_and_saveexec_b64 s[12:13], s[10:11]
	s_cbranch_execz .LBB187_33
; %bb.32:
	s_movk_i32 s14, 0x108
	v_mad_u32_u24 v10, v9, s14, v8
	ds_read_b64 v[10:11], v10
	v_lshl_add_u32 v12, v5, 3, v6
	s_waitcnt lgkmcnt(0)
	ds_write_b64 v12, v[10:11] offset:8
.LBB187_33:
	s_or_b64 exec, exec, s[12:13]
	v_or_b32_e32 v10, 2, v5
	v_cmp_lt_u32_e64 s[12:13], v10, v1
	s_and_saveexec_b64 s[14:15], s[12:13]
	s_cbranch_execz .LBB187_35
; %bb.34:
	s_movk_i32 s16, 0x108
	v_mad_u32_u24 v10, v10, s16, v8
	ds_read_b64 v[10:11], v10
	v_lshl_add_u32 v12, v5, 3, v6
	s_waitcnt lgkmcnt(0)
	ds_write_b64 v12, v[10:11] offset:16
.LBB187_35:
	s_or_b64 exec, exec, s[14:15]
	v_or_b32_e32 v11, 3, v5
	v_cmp_lt_u32_e64 s[14:15], v11, v1
	v_cmp_ge_u32_e32 vcc, v11, v1
                                        ; implicit-def: $vgpr10
	s_and_saveexec_b64 s[16:17], vcc
	s_xor_b64 s[16:17], exec, s[16:17]
; %bb.36:
	v_mul_u32_u24_e32 v10, 0x108, v11
                                        ; implicit-def: $vgpr6
                                        ; implicit-def: $vgpr11
; %bb.37:
	s_andn2_saveexec_b64 s[16:17], s[16:17]
	s_cbranch_execz .LBB187_39
; %bb.38:
	s_movk_i32 s20, 0x108
	v_mad_u32_u24 v10, v11, s20, v8
	ds_read_b64 v[12:13], v10
	v_lshl_add_u32 v6, v5, 3, v6
	v_mul_u32_u24_e32 v10, 0x108, v11
	s_waitcnt lgkmcnt(0)
	ds_write_b64 v6, v[12:13] offset:24
.LBB187_39:
	s_or_b64 exec, exec, s[16:17]
	s_movk_i32 s16, 0x420
	v_mad_u32_u24 v11, v7, s16, v8
	s_waitcnt lgkmcnt(0)
	s_barrier
	v_lshlrev_b32_e32 v6, 3, v5
	ds_read_b64 v[23:24], v11
	ds_read_b128 v[11:14], v6 offset:9088
	ds_read_b128 v[15:18], v6 offset:9104
	s_movk_i32 s16, 0x108
	v_mov_b32_e32 v36, 0
	v_cmp_gt_u32_e64 s[20:21], 32, v25
	s_waitcnt lgkmcnt(1)
	v_mul_f32_e32 v26, v12, v24
	v_fma_f32 v30, v11, v23, -v26
	v_mul_f32_e32 v11, v11, v24
	v_mad_u32_u24 v24, v9, s16, v8
	ds_read2_b64 v[26:29], v24 offset1:33
	v_fmac_f32_e32 v11, v12, v23
	v_add_f32_e32 v12, 0, v30
	v_add_f32_e32 v11, 0, v11
	v_mov_b32_e32 v37, 0
	s_waitcnt lgkmcnt(0)
	v_mul_f32_e32 v23, v14, v27
	v_fma_f32 v23, v13, v26, -v23
	v_mul_f32_e32 v13, v13, v27
	v_fmac_f32_e32 v13, v14, v26
	v_add_f32_e32 v14, v12, v23
	v_add_u32_e32 v12, v8, v10
	v_add_f32_e32 v13, v11, v13
	ds_read_b64 v[10:11], v12
	v_mul_f32_e32 v23, v16, v29
	v_fma_f32 v23, v15, v28, -v23
	v_mul_f32_e32 v15, v15, v29
	v_fmac_f32_e32 v15, v16, v28
	v_add_f32_e32 v13, v13, v15
	s_waitcnt lgkmcnt(0)
	v_mul_f32_e32 v15, v18, v11
	v_mul_f32_e32 v11, v17, v11
	v_fmac_f32_e32 v11, v18, v10
	v_add_f32_e32 v11, v13, v11
	v_mul_u32_u24_e32 v13, 33, v1
	v_add_f32_e32 v14, v14, v23
	v_fma_f32 v15, v17, v10, -v15
	v_lshlrev_b32_e32 v26, 3, v13
	v_add_f32_e32 v10, v14, v15
	v_lshl_add_u32 v27, v7, 3, v26
	s_barrier
	ds_write_b64 v27, v[10:11]
	s_waitcnt lgkmcnt(0)
	s_barrier
	s_and_saveexec_b64 s[16:17], s[20:21]
	s_cbranch_execz .LBB187_41
; %bb.40:
	ds_read2_b64 v[13:16], v26 offset1:7
	ds_read2_b64 v[28:31], v26 offset0:1 offset1:2
	ds_read2_b64 v[36:39], v26 offset0:3 offset1:4
	s_waitcnt lgkmcnt(1)
	v_add_f32_e32 v10, v28, v13
	v_add_f32_e32 v11, v29, v14
	v_add_f32_e32 v10, v30, v10
	v_add_f32_e32 v11, v31, v11
	ds_read2_b64 v[28:31], v26 offset0:5 offset1:6
	s_waitcnt lgkmcnt(1)
	v_add_f32_e32 v10, v10, v36
	v_add_f32_e32 v11, v11, v37
	;; [unrolled: 1-line block ×4, first 2 shown]
	s_waitcnt lgkmcnt(0)
	v_add_f32_e32 v10, v10, v28
	v_add_f32_e32 v11, v11, v29
	v_add_f32_e32 v10, v10, v30
	v_add_f32_e32 v11, v11, v31
	v_add_f32_e32 v36, v10, v15
	v_add_f32_e32 v37, v11, v16
.LBB187_41:
	s_or_b64 exec, exec, s[16:17]
	s_lshl_b32 s16, s24, 5
	s_ashr_i32 s17, s16, 31
	s_lshl_b64 s[36:37], s[16:17], 3
	v_mov_b32_e32 v10, s37
	v_add_co_u32_e32 v3, vcc, s36, v3
	v_addc_co_u32_e32 v4, vcc, v4, v10, vcc
	v_add_co_u32_e32 v10, vcc, 0x100, v3
	v_addc_co_u32_e32 v11, vcc, 0, v4, vcc
	v_cndmask_b32_e64 v13, 0, 1, s[18:19]
	v_cmp_ne_u32_e64 s[16:17], 1, v13
	s_andn2_b64 vcc, exec, s[18:19]
	s_mov_b64 s[18:19], -1
	s_barrier
	s_cbranch_vccnz .LBB187_43
; %bb.42:
	s_lshl_b32 s18, s24, 3
	s_ashr_i32 s19, s18, 31
	s_lshl_b64 s[18:19], s[18:19], 3
	v_mov_b32_e32 v14, s19
	v_add_co_u32_e32 v13, vcc, s18, v3
	s_ashr_i32 s25, s24, 31
	v_addc_co_u32_e32 v14, vcc, v4, v14, vcc
	s_lshl_b64 s[18:19], s[24:25], 6
	v_mov_b32_e32 v18, s19
	v_add_co_u32_e32 v15, vcc, s18, v13
	v_addc_co_u32_e32 v16, vcc, v14, v18, vcc
	v_add_co_u32_e32 v17, vcc, s18, v15
	v_addc_co_u32_e32 v18, vcc, v16, v18, vcc
	flat_load_dwordx2 v[23:24], v[3:4] offset:256
	flat_load_dwordx2 v[28:29], v[13:14] offset:256
	;; [unrolled: 1-line block ×4, first 2 shown]
	s_movk_i32 s18, 0x108
	v_mad_u32_u24 v13, v7, s18, v8
	s_mov_b64 s[18:19], 0
	s_waitcnt vmcnt(0) lgkmcnt(0)
	ds_write_b64 v13, v[23:24]
	ds_write_b64 v13, v[28:29] offset:2112
	ds_write_b64 v13, v[30:31] offset:4224
	;; [unrolled: 1-line block ×3, first 2 shown]
.LBB187_43:
	s_andn2_b64 vcc, exec, s[18:19]
	s_cbranch_vccnz .LBB187_61
; %bb.44:
	v_sub_co_u32_e32 v3, vcc, v3, v8
	s_ashr_i32 s27, s26, 31
	v_subbrev_co_u32_e32 v4, vcc, 0, v4, vcc
	s_lshl_b64 s[38:39], s[26:27], 3
	v_mov_b32_e32 v14, s39
	v_add_co_u32_e32 v3, vcc, s38, v3
	v_addc_co_u32_e32 v4, vcc, v4, v14, vcc
	v_or_b32_e32 v13, 32, v1
	v_add_co_u32_e32 v3, vcc, -8, v3
	v_addc_co_u32_e32 v4, vcc, -1, v4, vcc
	v_cmp_gt_i32_e64 s[18:19], s26, v13
	s_sub_i32 s25, s26, 32
	v_cndmask_b32_e64 v4, v4, v11, s[18:19]
	v_cndmask_b32_e64 v3, v3, v10, s[18:19]
	v_cmp_le_i32_e32 vcc, s25, v7
	v_mul_u32_u24_e32 v13, 0x108, v7
	s_and_saveexec_b64 s[40:41], vcc
	s_xor_b64 s[40:41], exec, s[40:41]
; %bb.45:
	v_mov_b32_e32 v14, 0
	v_add_u32_e32 v16, v8, v13
	v_mov_b32_e32 v15, v14
	ds_write_b64 v16, v[14:15]
; %bb.46:
	s_andn2_saveexec_b64 s[40:41], s[40:41]
	s_cbranch_execz .LBB187_48
; %bb.47:
	flat_load_dwordx2 v[14:15], v[3:4]
	v_add_u32_e32 v16, v8, v13
	s_waitcnt vmcnt(0) lgkmcnt(0)
	ds_write_b64 v16, v[14:15]
.LBB187_48:
	s_or_b64 exec, exec, s[40:41]
	v_add_u32_e32 v14, 8, v7
	v_cmp_le_i32_e32 vcc, s25, v14
	s_and_saveexec_b64 s[40:41], vcc
	s_xor_b64 s[40:41], exec, s[40:41]
; %bb.49:
	v_mov_b32_e32 v14, 0
	v_add_u32_e32 v16, v13, v8
	v_mov_b32_e32 v15, v14
	ds_write_b64 v16, v[14:15] offset:2112
; %bb.50:
	s_andn2_saveexec_b64 s[40:41], s[40:41]
	s_cbranch_execz .LBB187_52
; %bb.51:
	s_lshl_b32 s44, s24, 3
	s_ashr_i32 s45, s44, 31
	s_lshl_b64 s[44:45], s[44:45], 3
	v_mov_b32_e32 v15, s45
	v_add_co_u32_e32 v14, vcc, s44, v3
	v_addc_co_u32_e32 v15, vcc, v4, v15, vcc
	flat_load_dwordx2 v[14:15], v[14:15]
	v_add_u32_e32 v16, v13, v8
	s_waitcnt vmcnt(0) lgkmcnt(0)
	ds_write_b64 v16, v[14:15] offset:2112
.LBB187_52:
	s_or_b64 exec, exec, s[40:41]
	v_add_u32_e32 v14, 16, v7
	v_cmp_le_i32_e32 vcc, s25, v14
	s_and_saveexec_b64 s[40:41], vcc
	s_xor_b64 s[40:41], exec, s[40:41]
; %bb.53:
	v_mov_b32_e32 v14, 0
	v_add_u32_e32 v16, v13, v8
	v_mov_b32_e32 v15, v14
	ds_write_b64 v16, v[14:15] offset:4224
; %bb.54:
	s_andn2_saveexec_b64 s[40:41], s[40:41]
	s_cbranch_execz .LBB187_56
; %bb.55:
	s_lshl_b32 s44, s24, 4
	s_ashr_i32 s45, s44, 31
	s_lshl_b64 s[44:45], s[44:45], 3
	v_mov_b32_e32 v15, s45
	v_add_co_u32_e32 v14, vcc, s44, v3
	v_addc_co_u32_e32 v15, vcc, v4, v15, vcc
	flat_load_dwordx2 v[14:15], v[14:15]
	v_add_u32_e32 v16, v13, v8
	s_waitcnt vmcnt(0) lgkmcnt(0)
	ds_write_b64 v16, v[14:15] offset:4224
.LBB187_56:
	s_or_b64 exec, exec, s[40:41]
	v_add_u32_e32 v14, 24, v7
	v_cmp_le_i32_e32 vcc, s25, v14
	s_and_saveexec_b64 s[40:41], vcc
	s_xor_b64 s[40:41], exec, s[40:41]
; %bb.57:
	v_add_u32_e32 v15, v13, v8
	v_mov_b32_e32 v13, 0
	v_mov_b32_e32 v14, v13
	ds_write_b64 v15, v[13:14] offset:6336
                                        ; implicit-def: $vgpr13
; %bb.58:
	s_andn2_saveexec_b64 s[40:41], s[40:41]
	s_cbranch_execz .LBB187_60
; %bb.59:
	s_mul_i32 s44, s24, 24
	s_ashr_i32 s45, s44, 31
	s_lshl_b64 s[44:45], s[44:45], 3
	v_mov_b32_e32 v15, s45
	v_add_co_u32_e32 v14, vcc, s44, v3
	v_addc_co_u32_e32 v15, vcc, v4, v15, vcc
	flat_load_dwordx2 v[14:15], v[14:15]
	v_add_u32_e32 v13, v13, v8
	s_waitcnt vmcnt(0) lgkmcnt(0)
	ds_write_b64 v13, v[14:15] offset:6336
.LBB187_60:
	s_or_b64 exec, exec, s[40:41]
	v_add_co_u32_e32 v3, vcc, v3, v8
	v_addc_co_u32_e32 v4, vcc, 0, v4, vcc
	v_mov_b32_e32 v13, s39
	v_subrev_co_u32_e32 v3, vcc, s38, v3
	v_subb_co_u32_e32 v4, vcc, v4, v13, vcc
	v_add_co_u32_e32 v3, vcc, 0x108, v3
	v_addc_co_u32_e32 v4, vcc, 0, v4, vcc
	v_cndmask_b32_e64 v11, v4, v11, s[18:19]
	v_cndmask_b32_e64 v10, v3, v10, s[18:19]
.LBB187_61:
	v_mul_u32_u24_e32 v4, 0x420, v7
	v_add_u32_e32 v6, 0x2380, v6
	v_mul_u32_u24_e32 v3, 0x108, v9
	v_add_u32_e32 v4, v8, v4
	s_waitcnt lgkmcnt(0)
	s_barrier
	s_and_saveexec_b64 s[18:19], s[8:9]
	s_cbranch_execnz .LBB187_70
; %bb.62:
	s_or_b64 exec, exec, s[18:19]
	v_add_u32_e32 v3, v8, v3
	s_and_saveexec_b64 s[8:9], s[10:11]
	s_cbranch_execnz .LBB187_71
.LBB187_63:
	s_or_b64 exec, exec, s[8:9]
	s_and_saveexec_b64 s[8:9], s[12:13]
	s_cbranch_execnz .LBB187_72
.LBB187_64:
	s_or_b64 exec, exec, s[8:9]
	s_and_saveexec_b64 s[8:9], s[14:15]
	s_cbranch_execz .LBB187_66
.LBB187_65:
	ds_read_b64 v[13:14], v12
	v_lshl_add_u32 v9, v5, 3, v26
	s_waitcnt lgkmcnt(0)
	ds_write_b64 v9, v[13:14] offset:24
.LBB187_66:
	s_or_b64 exec, exec, s[8:9]
	s_waitcnt lgkmcnt(0)
	s_barrier
	ds_read_b64 v[17:18], v4
	ds_read_b128 v[13:16], v6 offset:256
	ds_read_b128 v[28:31], v6 offset:272
	ds_read_b64 v[23:24], v12
	ds_read2_b64 v[38:41], v3 offset1:33
	v_cmp_eq_u32_e64 s[8:9], 1, v7
	s_waitcnt lgkmcnt(3)
	v_mul_f32_e32 v4, v14, v18
	v_mul_f32_e32 v3, v13, v18
	v_fma_f32 v4, v13, v17, -v4
	v_fmac_f32_e32 v3, v14, v17
	s_waitcnt lgkmcnt(0)
	v_mul_f32_e32 v9, v16, v39
	v_mul_f32_e32 v12, v15, v39
	v_add_f32_e32 v4, 0, v4
	v_add_f32_e32 v3, 0, v3
	v_fma_f32 v9, v15, v38, -v9
	v_fmac_f32_e32 v12, v16, v38
	v_add_f32_e32 v4, v4, v9
	v_add_f32_e32 v3, v3, v12
	v_mul_f32_e32 v9, v29, v41
	v_mul_f32_e32 v12, v28, v41
	v_fma_f32 v9, v28, v40, -v9
	v_fmac_f32_e32 v12, v29, v40
	v_add_f32_e32 v4, v4, v9
	v_add_f32_e32 v9, v3, v12
	v_mul_f32_e32 v3, v31, v24
	v_mul_f32_e32 v12, v30, v24
	v_fma_f32 v3, v30, v23, -v3
	v_fmac_f32_e32 v12, v31, v23
	v_add_f32_e32 v3, v4, v3
	v_add_f32_e32 v4, v9, v12
	s_barrier
	ds_write_b64 v27, v[3:4]
	s_waitcnt lgkmcnt(0)
	s_barrier
	s_and_saveexec_b64 s[10:11], s[8:9]
	s_cbranch_execz .LBB187_68
; %bb.67:
	ds_read2_b64 v[12:15], v26 offset1:7
	ds_read2_b64 v[28:31], v26 offset0:1 offset1:2
	ds_read2_b64 v[36:39], v26 offset0:3 offset1:4
	s_waitcnt lgkmcnt(1)
	v_add_f32_e32 v3, v28, v12
	v_add_f32_e32 v4, v29, v13
	;; [unrolled: 1-line block ×4, first 2 shown]
	ds_read2_b64 v[28:31], v26 offset0:5 offset1:6
	s_waitcnt lgkmcnt(1)
	v_add_f32_e32 v3, v3, v36
	v_add_f32_e32 v4, v4, v37
	;; [unrolled: 1-line block ×4, first 2 shown]
	s_waitcnt lgkmcnt(0)
	v_add_f32_e32 v3, v3, v28
	v_add_f32_e32 v4, v4, v29
	;; [unrolled: 1-line block ×6, first 2 shown]
.LBB187_68:
	s_or_b64 exec, exec, s[10:11]
	v_mov_b32_e32 v3, s37
	v_subrev_co_u32_e64 v23, s[10:11], s36, v10
	s_and_b64 vcc, exec, s[16:17]
	v_subb_co_u32_e64 v24, s[10:11], v11, v3, s[10:11]
	s_barrier
	s_cbranch_vccnz .LBB187_73
; %bb.69:
	s_lshl_b32 s10, s24, 3
	s_ashr_i32 s11, s10, 31
	s_lshl_b64 s[10:11], s[10:11], 3
	v_mov_b32_e32 v4, s11
	v_add_co_u32_e32 v3, vcc, s10, v23
	s_ashr_i32 s25, s24, 31
	v_addc_co_u32_e32 v4, vcc, v24, v4, vcc
	s_lshl_b64 s[10:11], s[24:25], 6
	v_mov_b32_e32 v12, s11
	v_add_co_u32_e32 v9, vcc, s10, v3
	v_addc_co_u32_e32 v10, vcc, v4, v12, vcc
	v_add_co_u32_e32 v11, vcc, s10, v9
	v_addc_co_u32_e32 v12, vcc, v10, v12, vcc
	flat_load_dwordx2 v[14:15], v[23:24]
	flat_load_dwordx2 v[16:17], v[3:4]
	flat_load_dwordx2 v[28:29], v[9:10]
	flat_load_dwordx2 v[30:31], v[11:12]
	s_movk_i32 s10, 0x108
	v_mov_b32_e32 v3, 0x840
	v_mov_b32_e32 v13, 0x1080
	;; [unrolled: 1-line block ×3, first 2 shown]
	v_mul_u32_u24_e32 v9, 0x108, v7
	v_add_u32_e32 v10, 8, v7
	v_add_u32_e32 v11, 16, v7
	;; [unrolled: 1-line block ×3, first 2 shown]
	v_mad_u32_u24 v32, v7, s10, v8
	v_mad_u32_u24 v4, v7, s10, v3
	;; [unrolled: 1-line block ×4, first 2 shown]
	v_add_u32_e32 v18, v8, v4
	v_add_u32_e32 v33, v8, v3
	;; [unrolled: 1-line block ×3, first 2 shown]
	s_waitcnt vmcnt(0) lgkmcnt(0)
	ds_write_b64 v32, v[14:15]
	ds_write_b64 v18, v[16:17]
	;; [unrolled: 1-line block ×4, first 2 shown]
	s_cbranch_execz .LBB187_74
	s_branch .LBB187_91
.LBB187_70:
	ds_read_b64 v[13:14], v4
	v_lshl_add_u32 v9, v5, 3, v26
	s_waitcnt lgkmcnt(0)
	ds_write_b64 v9, v[13:14]
	s_or_b64 exec, exec, s[18:19]
	v_add_u32_e32 v3, v8, v3
	s_and_saveexec_b64 s[8:9], s[10:11]
	s_cbranch_execz .LBB187_63
.LBB187_71:
	ds_read_b64 v[13:14], v3
	v_lshl_add_u32 v9, v5, 3, v26
	s_waitcnt lgkmcnt(0)
	ds_write_b64 v9, v[13:14] offset:8
	s_or_b64 exec, exec, s[8:9]
	s_and_saveexec_b64 s[8:9], s[12:13]
	s_cbranch_execz .LBB187_64
.LBB187_72:
	ds_read_b64 v[13:14], v3 offset:264
	v_lshl_add_u32 v9, v5, 3, v26
	s_waitcnt lgkmcnt(0)
	ds_write_b64 v9, v[13:14] offset:16
	s_or_b64 exec, exec, s[8:9]
	s_and_saveexec_b64 s[8:9], s[14:15]
	s_cbranch_execnz .LBB187_65
	s_branch .LBB187_66
.LBB187_73:
                                        ; implicit-def: $vgpr9
                                        ; implicit-def: $vgpr10
                                        ; implicit-def: $vgpr4
                                        ; implicit-def: $vgpr11
                                        ; implicit-def: $vgpr3
                                        ; implicit-def: $vgpr12
                                        ; implicit-def: $vgpr13
.LBB187_74:
	v_or_b32_e32 v1, 32, v1
	v_lshlrev_b32_e32 v3, 3, v1
	v_sub_co_u32_e32 v3, vcc, v23, v3
	s_ashr_i32 s27, s26, 31
	v_subbrev_co_u32_e32 v4, vcc, 0, v24, vcc
	s_lshl_b64 s[12:13], s[26:27], 3
	v_mov_b32_e32 v9, s13
	v_add_co_u32_e32 v3, vcc, s12, v3
	v_addc_co_u32_e32 v4, vcc, v4, v9, vcc
	v_add_co_u32_e32 v3, vcc, -8, v3
	v_addc_co_u32_e32 v4, vcc, -1, v4, vcc
	v_cmp_gt_i32_e64 s[10:11], s26, v1
	v_cndmask_b32_e64 v4, v4, v24, s[10:11]
	v_cndmask_b32_e64 v3, v3, v23, s[10:11]
	v_cmp_le_i32_e32 vcc, s26, v7
	v_mul_u32_u24_e32 v9, 0x108, v7
	s_and_saveexec_b64 s[14:15], vcc
	s_xor_b64 s[14:15], exec, s[14:15]
; %bb.75:
	v_mov_b32_e32 v10, 0
	v_add_u32_e32 v1, v8, v9
	v_mov_b32_e32 v11, v10
	ds_write_b64 v1, v[10:11]
; %bb.76:
	s_andn2_saveexec_b64 s[14:15], s[14:15]
	s_cbranch_execz .LBB187_78
; %bb.77:
	flat_load_dwordx2 v[10:11], v[3:4]
	v_add_u32_e32 v1, v8, v9
	s_waitcnt vmcnt(0) lgkmcnt(0)
	ds_write_b64 v1, v[10:11]
.LBB187_78:
	s_or_b64 exec, exec, s[14:15]
	v_add_u32_e32 v10, 8, v7
	v_cmp_le_i32_e32 vcc, s26, v10
	s_and_saveexec_b64 s[14:15], vcc
	s_xor_b64 s[14:15], exec, s[14:15]
; %bb.79:
	v_mov_b32_e32 v11, 0
	v_add_u32_e32 v1, v9, v8
	v_mov_b32_e32 v12, v11
	ds_write_b64 v1, v[11:12] offset:2112
; %bb.80:
	s_andn2_saveexec_b64 s[14:15], s[14:15]
	s_cbranch_execz .LBB187_82
; %bb.81:
	s_lshl_b32 s16, s24, 3
	s_ashr_i32 s17, s16, 31
	s_lshl_b64 s[16:17], s[16:17], 3
	v_mov_b32_e32 v1, s17
	v_add_co_u32_e32 v11, vcc, s16, v3
	v_addc_co_u32_e32 v12, vcc, v4, v1, vcc
	flat_load_dwordx2 v[11:12], v[11:12]
	v_add_u32_e32 v1, v9, v8
	s_waitcnt vmcnt(0) lgkmcnt(0)
	ds_write_b64 v1, v[11:12] offset:2112
.LBB187_82:
	s_or_b64 exec, exec, s[14:15]
	v_add_u32_e32 v11, 16, v7
	v_cmp_le_i32_e32 vcc, s26, v11
	s_and_saveexec_b64 s[14:15], vcc
	s_xor_b64 s[14:15], exec, s[14:15]
; %bb.83:
	v_mov_b32_e32 v12, 0
	v_add_u32_e32 v1, v9, v8
	v_mov_b32_e32 v13, v12
	ds_write_b64 v1, v[12:13] offset:4224
; %bb.84:
	s_andn2_saveexec_b64 s[14:15], s[14:15]
	s_cbranch_execz .LBB187_86
; %bb.85:
	s_lshl_b32 s16, s24, 4
	s_ashr_i32 s17, s16, 31
	s_lshl_b64 s[16:17], s[16:17], 3
	v_mov_b32_e32 v1, s17
	v_add_co_u32_e32 v12, vcc, s16, v3
	v_addc_co_u32_e32 v13, vcc, v4, v1, vcc
	flat_load_dwordx2 v[12:13], v[12:13]
	v_add_u32_e32 v1, v9, v8
	s_waitcnt vmcnt(0) lgkmcnt(0)
	ds_write_b64 v1, v[12:13] offset:4224
.LBB187_86:
	s_or_b64 exec, exec, s[14:15]
	v_add_u32_e32 v12, 24, v7
	v_cmp_le_i32_e32 vcc, s26, v12
                                        ; implicit-def: $vgpr13
	s_and_saveexec_b64 s[14:15], vcc
	s_xor_b64 s[14:15], exec, s[14:15]
; %bb.87:
	v_add_u32_e32 v13, 0x18c0, v9
	v_mov_b32_e32 v14, 0
	v_add_u32_e32 v1, v8, v13
	v_mov_b32_e32 v15, v14
	ds_write_b64 v1, v[14:15]
; %bb.88:
	s_andn2_saveexec_b64 s[14:15], s[14:15]
	s_cbranch_execz .LBB187_90
; %bb.89:
	s_mul_i32 s16, s24, 24
	s_ashr_i32 s17, s16, 31
	s_lshl_b64 s[16:17], s[16:17], 3
	v_mov_b32_e32 v1, s17
	v_add_co_u32_e32 v13, vcc, s16, v3
	v_addc_co_u32_e32 v14, vcc, v4, v1, vcc
	flat_load_dwordx2 v[14:15], v[13:14]
	v_add_u32_e32 v13, 0x18c0, v9
	v_add_u32_e32 v1, v8, v13
	s_waitcnt vmcnt(0) lgkmcnt(0)
	ds_write_b64 v1, v[14:15]
.LBB187_90:
	s_or_b64 exec, exec, s[14:15]
	v_add_co_u32_e32 v1, vcc, v3, v8
	v_addc_co_u32_e32 v3, vcc, 0, v4, vcc
	v_mov_b32_e32 v4, s13
	v_subrev_co_u32_e32 v1, vcc, s12, v1
	v_subb_co_u32_e32 v3, vcc, v3, v4, vcc
	v_add_co_u32_e32 v1, vcc, 0x108, v1
	v_addc_co_u32_e32 v3, vcc, 0, v3, vcc
	v_cndmask_b32_e64 v24, v3, v24, s[10:11]
	v_cndmask_b32_e64 v23, v1, v23, s[10:11]
	v_add_u32_e32 v4, 0x840, v9
	v_add_u32_e32 v3, 0x1080, v9
.LBB187_91:
	v_add_u32_e32 v1, v8, v9
	s_waitcnt lgkmcnt(0)
	s_barrier
	v_lshlrev_b32_e32 v7, 3, v7
	ds_read_b64 v[15:16], v1
	ds_read_b64 v[17:18], v7 offset:9088
	v_add_u32_e32 v1, v8, v4
	v_lshlrev_b32_e32 v4, 3, v10
	ds_read_b64 v[28:29], v1
	ds_read_b64 v[30:31], v4 offset:9088
	v_add_u32_e32 v3, v8, v3
	;; [unrolled: 4-line block ×3, first 2 shown]
	v_lshlrev_b32_e32 v7, 3, v12
	ds_read2_b32 v[40:41], v3 offset1:1
	ds_read_b64 v[42:43], v7 offset:9088
	s_waitcnt lgkmcnt(6)
	v_mul_f32_e32 v1, v18, v16
	v_fma_f32 v1, v17, v15, -v1
	s_waitcnt lgkmcnt(4)
	v_mul_f32_e32 v4, v31, v29
	v_add_f32_e32 v1, 0, v1
	v_fma_f32 v4, v30, v28, -v4
	s_waitcnt lgkmcnt(2)
	v_mul_f32_e32 v3, v39, v33
	v_add_f32_e32 v1, v1, v4
	v_fma_f32 v3, v38, v32, -v3
	v_add_f32_e32 v1, v1, v3
	s_waitcnt lgkmcnt(0)
	v_mul_f32_e32 v3, v43, v41
	v_fma_f32 v3, v42, v40, -v3
	v_mul_f32_e32 v34, v17, v16
	v_add_f32_e32 v44, v1, v3
	v_lshl_add_u32 v1, v5, 3, v26
	v_fmac_f32_e32 v34, v18, v15
	v_mul_f32_e32 v29, v30, v29
	ds_read_b128 v[11:14], v6 offset:256
	ds_read_b128 v[3:6], v6 offset:272
	ds_read2_b64 v[15:18], v1 offset1:1
	ds_read2_b64 v[7:10], v1 offset0:2 offset1:3
	v_add_f32_e32 v1, 0, v34
	v_fmac_f32_e32 v29, v31, v28
	v_mul_f32_e32 v28, v38, v33
	v_add_f32_e32 v1, v1, v29
	v_fmac_f32_e32 v28, v39, v32
	v_add_f32_e32 v1, v1, v28
	v_mul_f32_e32 v28, v42, v41
	v_fmac_f32_e32 v28, v43, v40
	v_add_f32_e32 v45, v1, v28
	s_waitcnt lgkmcnt(0)
	s_barrier
	ds_write_b64 v27, v[44:45]
	s_waitcnt lgkmcnt(0)
	s_barrier
	s_and_saveexec_b64 s[10:11], s[8:9]
	s_cbranch_execz .LBB187_93
; %bb.92:
	ds_read2_b64 v[28:31], v26 offset1:1
	ds_read2_b64 v[38:41], v26 offset0:2 offset1:3
	ds_read2_b64 v[42:45], v26 offset0:4 offset1:5
	s_waitcnt lgkmcnt(2)
	v_add_f32_e32 v1, v36, v28
	v_add_f32_e32 v28, v37, v29
	v_add_f32_e32 v28, v28, v31
	s_waitcnt lgkmcnt(1)
	v_add_f32_e32 v28, v28, v39
	v_add_f32_e32 v1, v1, v30
	;; [unrolled: 1-line block ×3, first 2 shown]
	ds_read2_b64 v[28:31], v26 offset0:6 offset1:7
	v_add_f32_e32 v1, v1, v38
	v_add_f32_e32 v1, v1, v40
	s_waitcnt lgkmcnt(1)
	v_add_f32_e32 v1, v1, v42
	v_add_f32_e32 v32, v32, v43
	;; [unrolled: 1-line block ×4, first 2 shown]
	s_waitcnt lgkmcnt(0)
	v_add_f32_e32 v1, v1, v28
	v_add_f32_e32 v28, v32, v29
	v_add_f32_e32 v36, v1, v30
	v_add_f32_e32 v37, v28, v31
.LBB187_93:
	s_or_b64 exec, exec, s[10:11]
	v_mul_f32_e32 v1, v12, v16
	v_fma_f32 v1, v11, v15, -v1
	v_mul_f32_e32 v11, v11, v16
	v_fmac_f32_e32 v11, v12, v15
	v_mul_f32_e32 v12, v14, v18
	v_add_f32_e32 v1, 0, v1
	v_fma_f32 v12, v13, v17, -v12
	v_mul_f32_e32 v13, v13, v18
	v_add_f32_e32 v1, v1, v12
	v_mul_f32_e32 v12, v4, v8
	v_add_f32_e32 v11, 0, v11
	v_fmac_f32_e32 v13, v14, v17
	v_fma_f32 v12, v3, v7, -v12
	v_mul_f32_e32 v3, v3, v8
	v_add_f32_e32 v11, v11, v13
	v_fmac_f32_e32 v3, v4, v7
	v_add_f32_e32 v4, v11, v3
	v_mul_f32_e32 v3, v6, v10
	v_fma_f32 v3, v5, v9, -v3
	v_mul_f32_e32 v5, v5, v10
	v_add_f32_e32 v1, v1, v12
	v_fmac_f32_e32 v5, v6, v9
	v_add_f32_e32 v3, v1, v3
	v_add_f32_e32 v4, v4, v5
	s_barrier
	ds_write_b64 v27, v[3:4]
	s_waitcnt lgkmcnt(0)
	s_barrier
	s_and_saveexec_b64 s[8:9], s[20:21]
	s_cbranch_execz .LBB187_95
; %bb.94:
	ds_read2_b64 v[3:6], v26 offset1:1
	ds_read2_b64 v[7:10], v26 offset0:2 offset1:3
	ds_read2_b64 v[11:14], v26 offset0:4 offset1:5
	s_waitcnt lgkmcnt(2)
	v_add_f32_e32 v1, v36, v3
	v_add_f32_e32 v3, v37, v4
	v_add_f32_e32 v3, v3, v6
	v_add_f32_e32 v1, v1, v5
	s_waitcnt lgkmcnt(1)
	v_add_f32_e32 v3, v3, v8
	v_add_f32_e32 v1, v1, v7
	;; [unrolled: 1-line block ×3, first 2 shown]
	ds_read2_b64 v[3:6], v26 offset0:6 offset1:7
	v_add_f32_e32 v1, v1, v9
	s_waitcnt lgkmcnt(1)
	v_add_f32_e32 v1, v1, v11
	v_add_f32_e32 v7, v7, v12
	;; [unrolled: 1-line block ×4, first 2 shown]
	s_waitcnt lgkmcnt(0)
	v_add_f32_e32 v1, v1, v3
	v_add_f32_e32 v3, v7, v4
	;; [unrolled: 1-line block ×4, first 2 shown]
.LBB187_95:
	s_or_b64 exec, exec, s[8:9]
	s_load_dwordx2 s[4:5], s[4:5], 0x68
	s_mul_hi_u32 s8, s23, s22
	s_mul_i32 s42, s42, s22
	s_add_i32 s8, s8, s42
	s_mul_i32 s10, s23, s22
	s_mul_i32 s8, s8, s33
	s_mul_hi_u32 s9, s10, s33
	s_add_i32 s9, s9, s8
	s_mul_i32 s8, s10, s33
	s_lshl_b64 s[8:9], s[8:9], 3
	s_waitcnt lgkmcnt(0)
	s_add_u32 s8, s4, s8
	s_mul_i32 s4, s23, s6
	s_addc_u32 s9, s5, s9
	s_ashr_i32 s5, s4, 31
	s_lshl_b64 s[4:5], s[4:5], 3
	s_add_u32 s29, s8, s4
	v_cmp_le_i32_e32 vcc, s26, v0
	s_addc_u32 s33, s9, s5
	s_and_b64 s[4:5], s[34:35], vcc
	s_cmp_lt_i32 s6, 1
	v_lshlrev_b32_e32 v72, 3, v0
	s_barrier
	s_cbranch_scc1 .LBB187_102
; %bb.96:
	s_mul_i32 s8, s7, s28
	s_ashr_i32 s9, s8, 31
	s_lshl_b64 s[8:9], s[8:9], 3
	v_mov_b32_e32 v1, s9
	v_subrev_co_u32_e32 v73, vcc, s8, v19
	v_subb_co_u32_e32 v74, vcc, v20, v1, vcc
	v_mov_b32_e32 v1, s31
	v_subrev_co_u32_e32 v3, vcc, s30, v23
	v_mul_lo_u32 v4, v2, s24
	v_subb_co_u32_e32 v1, vcc, v24, v1, vcc
	v_add_co_u32_e32 v3, vcc, 0xffffff00, v3
	v_addc_co_u32_e32 v1, vcc, -1, v1, vcc
	v_sub_co_u32_e32 v7, vcc, v3, v21
	v_lshl_add_u32 v3, v4, 2, v0
	v_ashrrev_i32_e32 v4, 31, v3
	v_lshlrev_b64 v[3:4], 3, v[3:4]
	v_subb_co_u32_e32 v1, vcc, v1, v22, vcc
	v_add_co_u32_e32 v3, vcc, v7, v3
	v_addc_co_u32_e32 v4, vcc, v1, v4, vcc
	v_sub_co_u32_e32 v7, vcc, v3, v72
	s_ashr_i32 s27, s26, 31
	v_subbrev_co_u32_e32 v8, vcc, 0, v4, vcc
	s_lshl_b64 s[8:9], s[26:27], 3
	v_mov_b32_e32 v9, s9
	v_add_co_u32_e32 v7, vcc, s8, v7
	v_addc_co_u32_e32 v8, vcc, v8, v9, vcc
	v_add_co_u32_e32 v7, vcc, -8, v7
	v_addc_co_u32_e32 v8, vcc, -1, v8, vcc
	v_cndmask_b32_e64 v39, v4, v8, s[4:5]
	s_movk_i32 s8, 0x860
	v_and_b32_e32 v4, 48, v0
	v_lshrrev_b32_e32 v5, 4, v25
	v_and_b32_e32 v6, 15, v0
	v_cndmask_b32_e64 v38, v3, v7, s[4:5]
	v_mov_b32_e32 v3, 0x2180
	v_mad_u32_u24 v78, v2, s8, v72
	s_movk_i32 s8, 0x218
	v_lshlrev_b32_e32 v4, 3, v4
	v_lshl_add_u32 v76, v2, 5, v3
	v_lshlrev_b32_e32 v3, 5, v5
	v_mad_u32_u24 v80, v6, s8, v4
	v_or_b32_e32 v4, 0x78, v72
	s_ashr_i32 s25, s24, 31
	v_mad_u32_u24 v79, v6, s8, v3
	v_mul_i32_i24_e32 v3, 0xffffffe8, v5
	v_mad_u32_u24 v81, v6, s8, v4
	s_lshl_b64 s[10:11], s[24:25], 3
	s_lshl_b64 s[12:13], s[24:25], 4
	;; [unrolled: 1-line block ×3, first 2 shown]
	s_mul_hi_i32 s8, s24, 24
	s_lshl_b64 s[16:17], s[24:25], 7
	s_mul_hi_i32 s9, s24, 0x90
	s_mul_hi_i32 s21, s24, 0x98
	s_lshl_b64 s[18:19], s[24:25], 8
	s_mul_hi_i32 s22, s24, 0x110
	s_mul_hi_i32 s23, s24, 0x118
	;; [unrolled: 1-line block ×8, first 2 shown]
	v_mov_b32_e32 v1, 0
	s_lshl_b32 s7, s7, 6
	v_add_u32_e32 v75, 0x2180, v72
	v_add_u32_e32 v77, 0x2380, v72
	v_cmp_gt_u32_e32 vcc, 64, v25
	s_mul_i32 s26, s24, 24
	s_mul_i32 s27, s24, 0x90
	;; [unrolled: 1-line block ×10, first 2 shown]
	s_mulk_i32 s24, 0x88
	s_mov_b32 s20, 0
	v_mov_b32_e32 v82, s11
	v_mov_b32_e32 v83, s13
	;; [unrolled: 1-line block ×15, first 2 shown]
	v_add_u32_e32 v97, v79, v3
	v_mov_b32_e32 v98, s15
	s_branch .LBB187_98
.LBB187_97:                             ;   in Loop: Header=BB187_98 Depth=1
	s_or_b64 exec, exec, s[22:23]
	v_mul_f32_e32 v99, v8, v41
	v_fma_f32 v99, v7, v40, -v99
	v_mul_f32_e32 v8, v8, v40
	v_mul_f32_e32 v40, v10, v43
	v_add_f32_e32 v36, v36, v99
	v_fma_f32 v40, v9, v42, -v40
	v_mul_f32_e32 v10, v10, v42
	v_add_f32_e32 v36, v36, v40
	v_mul_f32_e32 v40, v4, v45
	v_fmac_f32_e32 v8, v7, v41
	v_fma_f32 v40, v3, v44, -v40
	v_mul_f32_e32 v4, v4, v44
	v_add_f32_e32 v7, v37, v8
	v_fmac_f32_e32 v10, v9, v43
	v_add_f32_e32 v36, v36, v40
	v_mul_f32_e32 v40, v6, v47
	v_mul_f32_e32 v6, v6, v46
	v_add_f32_e32 v7, v7, v10
	v_fmac_f32_e32 v4, v3, v45
	v_fma_f32 v40, v5, v46, -v40
	v_add_f32_e32 v3, v7, v4
	v_fmac_f32_e32 v6, v5, v47
	v_mul_f32_e32 v4, v16, v53
	v_add_f32_e32 v36, v36, v40
	v_add_f32_e32 v3, v3, v6
	v_fma_f32 v4, v15, v52, -v4
	v_mul_f32_e32 v6, v18, v51
	v_add_f32_e32 v4, v36, v4
	v_fma_f32 v6, v17, v50, -v6
	v_add_f32_e32 v4, v4, v6
	v_mul_f32_e32 v6, v12, v49
	v_mul_f32_e32 v5, v16, v52
	v_fma_f32 v6, v11, v48, -v6
	v_add_f32_e32 v4, v4, v6
	v_mul_f32_e32 v6, v14, v55
	v_fmac_f32_e32 v5, v15, v53
	v_fma_f32 v6, v13, v54, -v6
	v_add_f32_e32 v3, v3, v5
	v_mul_f32_e32 v5, v24, v61
	v_add_f32_e32 v4, v4, v6
	v_fma_f32 v5, v23, v60, -v5
	v_add_f32_e32 v4, v4, v5
	v_mul_f32_e32 v5, v26, v57
	v_fma_f32 v5, v25, v56, -v5
	v_mul_f32_e32 v7, v18, v50
	v_add_f32_e32 v4, v4, v5
	v_mul_f32_e32 v5, v20, v59
	v_mul_f32_e32 v8, v12, v48
	v_fmac_f32_e32 v7, v17, v51
	v_fma_f32 v5, v19, v58, -v5
	v_mul_f32_e32 v9, v14, v54
	v_add_f32_e32 v3, v3, v7
	v_fmac_f32_e32 v8, v11, v49
	v_add_f32_e32 v4, v4, v5
	v_mul_f32_e32 v5, v22, v63
	v_add_f32_e32 v3, v3, v8
	v_fmac_f32_e32 v9, v13, v55
	v_mul_f32_e32 v6, v24, v60
	v_fma_f32 v5, v21, v62, -v5
	v_add_f32_e32 v3, v3, v9
	v_mul_f32_e32 v7, v26, v56
	v_add_f32_e32 v4, v4, v5
	v_fmac_f32_e32 v6, v23, v61
	v_mul_f32_e32 v5, v32, v69
	v_mul_f32_e32 v8, v20, v58
	v_add_f32_e32 v3, v3, v6
	v_fmac_f32_e32 v7, v25, v57
	v_fma_f32 v5, v31, v68, -v5
	v_mul_f32_e32 v9, v22, v62
	v_add_f32_e32 v3, v3, v7
	v_fmac_f32_e32 v8, v19, v59
	v_add_f32_e32 v4, v4, v5
	v_mul_f32_e32 v5, v34, v67
	v_add_f32_e32 v3, v3, v8
	v_fmac_f32_e32 v9, v21, v63
	v_mul_f32_e32 v6, v32, v68
	v_fma_f32 v5, v33, v66, -v5
	v_add_f32_e32 v3, v3, v9
	v_mul_f32_e32 v7, v34, v66
	v_add_f32_e32 v4, v4, v5
	v_mul_f32_e32 v5, v28, v65
	v_fmac_f32_e32 v6, v31, v69
	v_fma_f32 v5, v27, v64, -v5
	v_mul_f32_e32 v8, v28, v64
	v_fmac_f32_e32 v7, v33, v67
	v_add_f32_e32 v3, v3, v6
	v_add_f32_e32 v4, v4, v5
	v_mul_f32_e32 v5, v30, v71
	v_mul_f32_e32 v9, v30, v70
	v_fmac_f32_e32 v8, v27, v65
	v_add_f32_e32 v3, v3, v7
	v_fma_f32 v5, v29, v70, -v5
	v_fmac_f32_e32 v9, v29, v71
	v_add_f32_e32 v3, v3, v8
	v_add_co_u32_e64 v38, s[8:9], s14, v38
	s_add_i32 s6, s6, -1
	s_add_i32 s20, s20, s7
	v_add_f32_e32 v36, v4, v5
	v_add_f32_e32 v37, v3, v9
	v_addc_co_u32_e64 v39, s[8:9], v39, v98, s[8:9]
	s_cmp_eq_u32 s6, 0
	v_add_u32_e32 v0, 64, v0
	s_waitcnt vmcnt(0)
	s_barrier
	s_cbranch_scc1 .LBB187_102
.LBB187_98:                             ; =>This Inner Loop Header: Depth=1
	s_and_saveexec_b64 s[22:23], s[2:3]
	s_cbranch_execz .LBB187_100
; %bb.99:                               ;   in Loop: Header=BB187_98 Depth=1
	s_ashr_i32 s21, s20, 31
	s_lshl_b64 s[8:9], s[20:21], 3
	v_mov_b32_e32 v4, s9
	v_add_co_u32_e64 v3, s[8:9], s8, v73
	v_addc_co_u32_e64 v4, s[8:9], v74, v4, s[8:9]
	flat_load_dwordx2 v[3:4], v[3:4]
	s_waitcnt vmcnt(0) lgkmcnt(0)
	ds_write_b64 v75, v[3:4]
.LBB187_100:                            ;   in Loop: Header=BB187_98 Depth=1
	s_or_b64 exec, exec, s[22:23]
	v_add_co_u32_e64 v3, s[8:9], s10, v38
	v_addc_co_u32_e64 v4, s[8:9], v39, v82, s[8:9]
	v_add_co_u32_e64 v5, s[8:9], s12, v38
	v_addc_co_u32_e64 v6, s[8:9], v39, v83, s[8:9]
	s_waitcnt lgkmcnt(0)
	s_barrier
	flat_load_dwordx2 v[40:41], v[38:39]
	flat_load_dwordx2 v[42:43], v[3:4]
	;; [unrolled: 1-line block ×3, first 2 shown]
	v_add_co_u32_e64 v3, s[8:9], s26, v38
	v_addc_co_u32_e64 v4, s[8:9], v39, v84, s[8:9]
	flat_load_dwordx2 v[46:47], v[3:4]
	v_add_co_u32_e64 v13, s[8:9], s16, v38
	v_addc_co_u32_e64 v14, s[8:9], v39, v85, s[8:9]
	ds_read_b64 v[11:12], v77
	ds_read_b128 v[7:10], v76
	ds_read_b128 v[3:6], v76 offset:16
	v_add_co_u32_e64 v15, s[8:9], s24, v38
	v_addc_co_u32_e64 v16, s[8:9], v39, v86, s[8:9]
	v_add_co_u32_e64 v17, s[8:9], s27, v38
	v_addc_co_u32_e64 v18, s[8:9], v39, v87, s[8:9]
	s_waitcnt vmcnt(0) lgkmcnt(0)
	v_mul_f32_e32 v19, v12, v41
	v_mul_f32_e32 v20, v12, v40
	;; [unrolled: 1-line block ×7, first 2 shown]
	v_fma_f32 v19, v11, v40, -v19
	v_fmac_f32_e32 v20, v11, v41
	v_mul_f32_e32 v26, v11, v47
	v_fma_f32 v21, v11, v42, -v21
	v_fmac_f32_e32 v22, v11, v43
	v_fma_f32 v23, v11, v44, -v23
	v_fma_f32 v25, v11, v46, -v25
	v_fmac_f32_e32 v24, v11, v45
	v_add_co_u32_e64 v11, s[8:9], s28, v38
	v_fmac_f32_e32 v26, v12, v46
	ds_write2_b64 v78, v[19:20], v[21:22] offset1:67
	ds_write2_b64 v78, v[23:24], v[25:26] offset0:134 offset1:201
	s_waitcnt lgkmcnt(0)
	s_barrier
	ds_read2_b64 v[27:30], v79 offset1:1
	ds_read2_b64 v[31:34], v79 offset0:2 offset1:3
	s_waitcnt lgkmcnt(0)
	s_barrier
	flat_load_dwordx2 v[52:53], v[13:14]
	flat_load_dwordx2 v[50:51], v[15:16]
	;; [unrolled: 1-line block ×3, first 2 shown]
	v_addc_co_u32_e64 v12, s[8:9], v39, v88, s[8:9]
	flat_load_dwordx2 v[54:55], v[11:12]
	ds_read_b64 v[23:24], v77
	v_add_co_u32_e64 v19, s[8:9], s18, v38
	v_addc_co_u32_e64 v20, s[8:9], v39, v89, s[8:9]
	v_add_co_u32_e64 v21, s[8:9], s37, v38
	v_addc_co_u32_e64 v22, s[8:9], v39, v90, s[8:9]
	;; [unrolled: 2-line block ×3, first 2 shown]
	ds_read_b128 v[15:18], v76 offset:128
	ds_read_b128 v[11:14], v76 offset:144
	v_add_f32_e32 v27, 0, v27
	v_add_f32_e32 v28, 0, v28
	;; [unrolled: 1-line block ×6, first 2 shown]
	s_waitcnt vmcnt(0) lgkmcnt(0)
	v_mul_f32_e32 v56, v24, v53
	v_mul_f32_e32 v57, v24, v52
	;; [unrolled: 1-line block ×8, first 2 shown]
	v_fma_f32 v56, v23, v52, -v56
	v_fma_f32 v58, v23, v50, -v58
	;; [unrolled: 1-line block ×3, first 2 shown]
	v_fmac_f32_e32 v57, v23, v53
	v_fmac_f32_e32 v59, v23, v51
	;; [unrolled: 1-line block ×3, first 2 shown]
	v_fma_f32 v62, v23, v54, -v62
	v_fmac_f32_e32 v63, v24, v54
	ds_write2_b64 v78, v[56:57], v[58:59] offset1:67
	ds_write2_b64 v78, v[60:61], v[62:63] offset0:134 offset1:201
	s_waitcnt lgkmcnt(0)
	s_barrier
	ds_read2_b64 v[99:102], v79 offset1:1
	ds_read2_b64 v[103:106], v79 offset0:2 offset1:3
	s_waitcnt lgkmcnt(0)
	s_barrier
	flat_load_dwordx2 v[60:61], v[19:20]
	flat_load_dwordx2 v[56:57], v[21:22]
	flat_load_dwordx2 v[58:59], v[25:26]
	v_add_co_u32_e64 v19, s[8:9], s30, v38
	v_addc_co_u32_e64 v20, s[8:9], v39, v92, s[8:9]
	flat_load_dwordx2 v[62:63], v[19:20]
	ds_read_b64 v[64:65], v77
	v_add_co_u32_e64 v70, s[8:9], s31, v38
	v_addc_co_u32_e64 v71, s[8:9], v39, v93, s[8:9]
	v_add_co_u32_e64 v115, s[8:9], s36, v38
	v_addc_co_u32_e64 v116, s[8:9], v39, v94, s[8:9]
	;; [unrolled: 2-line block ×3, first 2 shown]
	ds_read_b128 v[23:26], v76 offset:256
	ds_read_b128 v[19:22], v76 offset:272
	s_waitcnt vmcnt(0) lgkmcnt(0)
	v_mul_f32_e32 v66, v65, v61
	v_mul_f32_e32 v67, v65, v60
	;; [unrolled: 1-line block ×6, first 2 shown]
	v_fma_f32 v66, v64, v60, -v66
	v_mul_f32_e32 v109, v65, v63
	v_mul_f32_e32 v110, v64, v63
	v_fma_f32 v68, v64, v56, -v68
	v_fmac_f32_e32 v67, v64, v61
	v_fmac_f32_e32 v69, v64, v57
	v_fma_f32 v107, v64, v58, -v107
	v_fma_f32 v109, v64, v62, -v109
	v_fmac_f32_e32 v108, v64, v59
	v_fmac_f32_e32 v110, v65, v62
	ds_write2_b64 v78, v[66:67], v[68:69] offset1:67
	ds_write2_b64 v78, v[107:108], v[109:110] offset0:134 offset1:201
	s_waitcnt lgkmcnt(0)
	s_barrier
	ds_read2_b64 v[107:110], v79 offset1:1
	ds_read2_b64 v[111:114], v79 offset0:2 offset1:3
	s_waitcnt lgkmcnt(0)
	s_barrier
	flat_load_dwordx2 v[68:69], v[70:71]
	flat_load_dwordx2 v[66:67], v[115:116]
	;; [unrolled: 1-line block ×3, first 2 shown]
	v_add_co_u32_e64 v70, s[8:9], s35, v38
	v_addc_co_u32_e64 v71, s[8:9], v39, v96, s[8:9]
	flat_load_dwordx2 v[70:71], v[70:71]
	v_add_f32_e32 v115, v27, v33
	v_add_f32_e32 v116, v28, v34
	;; [unrolled: 1-line block ×10, first 2 shown]
	ds_read_b64 v[99:100], v77
	ds_read_b128 v[31:34], v76 offset:384
	ds_read_b128 v[27:30], v76 offset:400
	v_add_f32_e32 v101, 0, v107
	v_add_f32_e32 v102, 0, v108
	;; [unrolled: 1-line block ×8, first 2 shown]
	s_waitcnt vmcnt(0) lgkmcnt(0)
	v_mul_f32_e32 v101, v100, v69
	v_mul_f32_e32 v102, v100, v68
	v_mul_f32_e32 v103, v100, v67
	v_mul_f32_e32 v104, v100, v66
	v_mul_f32_e32 v105, v100, v65
	v_mul_f32_e32 v106, v100, v64
	v_fma_f32 v101, v99, v68, -v101
	v_mul_f32_e32 v109, v100, v71
	v_mul_f32_e32 v110, v99, v71
	v_fma_f32 v103, v99, v66, -v103
	v_fmac_f32_e32 v102, v99, v69
	v_fmac_f32_e32 v104, v99, v67
	v_fma_f32 v105, v99, v64, -v105
	v_fmac_f32_e32 v106, v99, v65
	v_fma_f32 v109, v99, v70, -v109
	v_fmac_f32_e32 v110, v100, v70
	ds_write2_b64 v78, v[101:102], v[103:104] offset1:67
	ds_write2_b64 v78, v[105:106], v[109:110] offset0:134 offset1:201
	s_waitcnt lgkmcnt(0)
	s_barrier
	ds_read2_b64 v[99:102], v79 offset1:1
	ds_read2_b64 v[103:106], v79 offset0:2 offset1:3
	s_waitcnt lgkmcnt(0)
	s_barrier
	v_add_f32_e32 v99, 0, v99
	v_add_f32_e32 v100, 0, v100
	;; [unrolled: 1-line block ×8, first 2 shown]
	ds_write2_b64 v97, v[115:116], v[117:118] offset1:16
	ds_write2_b64 v97, v[107:108], v[99:100] offset0:32 offset1:48
	s_waitcnt lgkmcnt(0)
	s_barrier
	s_and_saveexec_b64 s[22:23], vcc
	s_cbranch_execz .LBB187_97
; %bb.101:                              ;   in Loop: Header=BB187_98 Depth=1
	ds_read_b64 v[107:108], v80
	ds_read2_b64 v[99:102], v80 offset0:1 offset1:2
	ds_read2_b64 v[103:106], v80 offset0:3 offset1:4
	s_waitcnt lgkmcnt(1)
	v_add_f32_e32 v99, v99, v107
	v_add_f32_e32 v100, v100, v108
	;; [unrolled: 1-line block ×4, first 2 shown]
	ds_read2_b64 v[99:102], v80 offset0:5 offset1:6
	s_waitcnt lgkmcnt(1)
	v_add_f32_e32 v103, v107, v103
	v_add_f32_e32 v104, v108, v104
	v_add_f32_e32 v103, v103, v105
	v_add_f32_e32 v107, v104, v106
	s_waitcnt lgkmcnt(0)
	v_add_f32_e32 v99, v103, v99
	ds_read2_b64 v[103:106], v80 offset0:7 offset1:8
	v_add_f32_e32 v100, v107, v100
	v_add_f32_e32 v107, v99, v101
	;; [unrolled: 1-line block ×3, first 2 shown]
	ds_read2_b64 v[99:102], v80 offset0:9 offset1:10
	s_waitcnt lgkmcnt(1)
	v_add_f32_e32 v103, v107, v103
	v_add_f32_e32 v104, v108, v104
	;; [unrolled: 1-line block ×4, first 2 shown]
	s_waitcnt lgkmcnt(0)
	v_add_f32_e32 v99, v103, v99
	ds_read2_b64 v[103:106], v80 offset0:11 offset1:12
	v_add_f32_e32 v100, v107, v100
	v_add_f32_e32 v107, v99, v101
	;; [unrolled: 1-line block ×3, first 2 shown]
	ds_read2_b64 v[99:102], v80 offset0:13 offset1:14
	s_waitcnt lgkmcnt(1)
	v_add_f32_e32 v103, v107, v103
	v_add_f32_e32 v104, v108, v104
	;; [unrolled: 1-line block ×4, first 2 shown]
	ds_read_b64 v[103:104], v81
	s_waitcnt lgkmcnt(1)
	v_add_f32_e32 v99, v105, v99
	v_add_f32_e32 v100, v106, v100
	;; [unrolled: 1-line block ×4, first 2 shown]
	v_lshlrev_b64 v[101:102], 3, v[0:1]
	s_waitcnt lgkmcnt(0)
	v_add_f32_e32 v99, v99, v103
	v_mov_b32_e32 v103, s33
	v_add_co_u32_e64 v101, s[8:9], s29, v101
	v_add_f32_e32 v100, v100, v104
	v_addc_co_u32_e64 v102, s[8:9], v103, v102, s[8:9]
	global_store_dwordx2 v[101:102], v[99:100], off
	s_branch .LBB187_97
.LBB187_102:
	s_movk_i32 s2, 0x218
	v_mad_u32_u24 v0, v2, s2, v72
	s_nor_b64 s[0:1], s[0:1], s[4:5]
	ds_write_b64 v0, v[36:37]
	s_waitcnt lgkmcnt(0)
	s_barrier
	s_and_saveexec_b64 s[2:3], s[0:1]
	s_cbranch_execz .LBB187_104
; %bb.103:
	ds_read2_b64 v[0:3], v72 offset1:67
	ds_read2_b64 v[4:7], v72 offset0:134 offset1:201
	v_ashrrev_i32_e32 v36, 31, v35
	s_waitcnt lgkmcnt(1)
	v_add_f32_e32 v0, v2, v0
	v_add_f32_e32 v1, v3, v1
	v_lshlrev_b64 v[2:3], 3, v[35:36]
	s_waitcnt lgkmcnt(0)
	v_add_f32_e32 v0, v4, v0
	v_add_f32_e32 v1, v5, v1
	v_mov_b32_e32 v4, s33
	v_add_co_u32_e32 v2, vcc, s29, v2
	v_add_f32_e32 v0, v0, v6
	v_add_f32_e32 v1, v1, v7
	v_addc_co_u32_e32 v3, vcc, v4, v3, vcc
	global_store_dwordx2 v[2:3], v[0:1], off
.LBB187_104:
	s_endpgm
	.section	.rodata,"a",@progbits
	.p2align	6, 0x0
	.amdhsa_kernel _ZL26rocblas_hemvn_kernel_lowerILb0ELi64ELi4ELi33ELi32ELi16Ei19rocblas_complex_numIfEPKPKS1_PS1_EviT6_lT7_lT5_lS8_lS9_lS7_lT8_i
		.amdhsa_group_segment_fixed_size 9600
		.amdhsa_private_segment_fixed_size 0
		.amdhsa_kernarg_size 376
		.amdhsa_user_sgpr_count 6
		.amdhsa_user_sgpr_private_segment_buffer 1
		.amdhsa_user_sgpr_dispatch_ptr 0
		.amdhsa_user_sgpr_queue_ptr 0
		.amdhsa_user_sgpr_kernarg_segment_ptr 1
		.amdhsa_user_sgpr_dispatch_id 0
		.amdhsa_user_sgpr_flat_scratch_init 0
		.amdhsa_user_sgpr_private_segment_size 0
		.amdhsa_uses_dynamic_stack 0
		.amdhsa_system_sgpr_private_segment_wavefront_offset 0
		.amdhsa_system_sgpr_workgroup_id_x 1
		.amdhsa_system_sgpr_workgroup_id_y 0
		.amdhsa_system_sgpr_workgroup_id_z 1
		.amdhsa_system_sgpr_workgroup_info 0
		.amdhsa_system_vgpr_workitem_id 1
		.amdhsa_next_free_vgpr 119
		.amdhsa_next_free_sgpr 93
		.amdhsa_reserve_vcc 1
		.amdhsa_reserve_flat_scratch 0
		.amdhsa_float_round_mode_32 0
		.amdhsa_float_round_mode_16_64 0
		.amdhsa_float_denorm_mode_32 3
		.amdhsa_float_denorm_mode_16_64 3
		.amdhsa_dx10_clamp 1
		.amdhsa_ieee_mode 1
		.amdhsa_fp16_overflow 0
		.amdhsa_exception_fp_ieee_invalid_op 0
		.amdhsa_exception_fp_denorm_src 0
		.amdhsa_exception_fp_ieee_div_zero 0
		.amdhsa_exception_fp_ieee_overflow 0
		.amdhsa_exception_fp_ieee_underflow 0
		.amdhsa_exception_fp_ieee_inexact 0
		.amdhsa_exception_int_div_zero 0
	.end_amdhsa_kernel
	.section	.text._ZL26rocblas_hemvn_kernel_lowerILb0ELi64ELi4ELi33ELi32ELi16Ei19rocblas_complex_numIfEPKPKS1_PS1_EviT6_lT7_lT5_lS8_lS9_lS7_lT8_i,"axG",@progbits,_ZL26rocblas_hemvn_kernel_lowerILb0ELi64ELi4ELi33ELi32ELi16Ei19rocblas_complex_numIfEPKPKS1_PS1_EviT6_lT7_lT5_lS8_lS9_lS7_lT8_i,comdat
.Lfunc_end187:
	.size	_ZL26rocblas_hemvn_kernel_lowerILb0ELi64ELi4ELi33ELi32ELi16Ei19rocblas_complex_numIfEPKPKS1_PS1_EviT6_lT7_lT5_lS8_lS9_lS7_lT8_i, .Lfunc_end187-_ZL26rocblas_hemvn_kernel_lowerILb0ELi64ELi4ELi33ELi32ELi16Ei19rocblas_complex_numIfEPKPKS1_PS1_EviT6_lT7_lT5_lS8_lS9_lS7_lT8_i
                                        ; -- End function
	.set _ZL26rocblas_hemvn_kernel_lowerILb0ELi64ELi4ELi33ELi32ELi16Ei19rocblas_complex_numIfEPKPKS1_PS1_EviT6_lT7_lT5_lS8_lS9_lS7_lT8_i.num_vgpr, 119
	.set _ZL26rocblas_hemvn_kernel_lowerILb0ELi64ELi4ELi33ELi32ELi16Ei19rocblas_complex_numIfEPKPKS1_PS1_EviT6_lT7_lT5_lS8_lS9_lS7_lT8_i.num_agpr, 0
	.set _ZL26rocblas_hemvn_kernel_lowerILb0ELi64ELi4ELi33ELi32ELi16Ei19rocblas_complex_numIfEPKPKS1_PS1_EviT6_lT7_lT5_lS8_lS9_lS7_lT8_i.numbered_sgpr, 46
	.set _ZL26rocblas_hemvn_kernel_lowerILb0ELi64ELi4ELi33ELi32ELi16Ei19rocblas_complex_numIfEPKPKS1_PS1_EviT6_lT7_lT5_lS8_lS9_lS7_lT8_i.num_named_barrier, 0
	.set _ZL26rocblas_hemvn_kernel_lowerILb0ELi64ELi4ELi33ELi32ELi16Ei19rocblas_complex_numIfEPKPKS1_PS1_EviT6_lT7_lT5_lS8_lS9_lS7_lT8_i.private_seg_size, 0
	.set _ZL26rocblas_hemvn_kernel_lowerILb0ELi64ELi4ELi33ELi32ELi16Ei19rocblas_complex_numIfEPKPKS1_PS1_EviT6_lT7_lT5_lS8_lS9_lS7_lT8_i.uses_vcc, 1
	.set _ZL26rocblas_hemvn_kernel_lowerILb0ELi64ELi4ELi33ELi32ELi16Ei19rocblas_complex_numIfEPKPKS1_PS1_EviT6_lT7_lT5_lS8_lS9_lS7_lT8_i.uses_flat_scratch, 0
	.set _ZL26rocblas_hemvn_kernel_lowerILb0ELi64ELi4ELi33ELi32ELi16Ei19rocblas_complex_numIfEPKPKS1_PS1_EviT6_lT7_lT5_lS8_lS9_lS7_lT8_i.has_dyn_sized_stack, 0
	.set _ZL26rocblas_hemvn_kernel_lowerILb0ELi64ELi4ELi33ELi32ELi16Ei19rocblas_complex_numIfEPKPKS1_PS1_EviT6_lT7_lT5_lS8_lS9_lS7_lT8_i.has_recursion, 0
	.set _ZL26rocblas_hemvn_kernel_lowerILb0ELi64ELi4ELi33ELi32ELi16Ei19rocblas_complex_numIfEPKPKS1_PS1_EviT6_lT7_lT5_lS8_lS9_lS7_lT8_i.has_indirect_call, 0
	.section	.AMDGPU.csdata,"",@progbits
; Kernel info:
; codeLenInByte = 7320
; TotalNumSgprs: 50
; NumVgprs: 119
; ScratchSize: 0
; MemoryBound: 1
; FloatMode: 240
; IeeeMode: 1
; LDSByteSize: 9600 bytes/workgroup (compile time only)
; SGPRBlocks: 12
; VGPRBlocks: 29
; NumSGPRsForWavesPerEU: 97
; NumVGPRsForWavesPerEU: 119
; Occupancy: 2
; WaveLimiterHint : 1
; COMPUTE_PGM_RSRC2:SCRATCH_EN: 0
; COMPUTE_PGM_RSRC2:USER_SGPR: 6
; COMPUTE_PGM_RSRC2:TRAP_HANDLER: 0
; COMPUTE_PGM_RSRC2:TGID_X_EN: 1
; COMPUTE_PGM_RSRC2:TGID_Y_EN: 0
; COMPUTE_PGM_RSRC2:TGID_Z_EN: 1
; COMPUTE_PGM_RSRC2:TIDIG_COMP_CNT: 1
	.section	.text._ZL26rocblas_hemvn_kernel_upperILb0ELi64ELi4ELi33ELi32ELi16ElPK19rocblas_complex_numIdEPKS3_PS1_EviT6_lT7_lT5_lS8_lS9_lS7_lT8_i,"axG",@progbits,_ZL26rocblas_hemvn_kernel_upperILb0ELi64ELi4ELi33ELi32ELi16ElPK19rocblas_complex_numIdEPKS3_PS1_EviT6_lT7_lT5_lS8_lS9_lS7_lT8_i,comdat
	.globl	_ZL26rocblas_hemvn_kernel_upperILb0ELi64ELi4ELi33ELi32ELi16ElPK19rocblas_complex_numIdEPKS3_PS1_EviT6_lT7_lT5_lS8_lS9_lS7_lT8_i ; -- Begin function _ZL26rocblas_hemvn_kernel_upperILb0ELi64ELi4ELi33ELi32ELi16ElPK19rocblas_complex_numIdEPKS3_PS1_EviT6_lT7_lT5_lS8_lS9_lS7_lT8_i
	.p2align	8
	.type	_ZL26rocblas_hemvn_kernel_upperILb0ELi64ELi4ELi33ELi32ELi16ElPK19rocblas_complex_numIdEPKS3_PS1_EviT6_lT7_lT5_lS8_lS9_lS7_lT8_i,@function
_ZL26rocblas_hemvn_kernel_upperILb0ELi64ELi4ELi33ELi32ELi16ElPK19rocblas_complex_numIdEPKS3_PS1_EviT6_lT7_lT5_lS8_lS9_lS7_lT8_i: ; @_ZL26rocblas_hemvn_kernel_upperILb0ELi64ELi4ELi33ELi32ELi16ElPK19rocblas_complex_numIdEPKS3_PS1_EviT6_lT7_lT5_lS8_lS9_lS7_lT8_i
; %bb.0:
	s_load_dwordx2 s[0:1], s[4:5], 0x84
	s_add_u32 s18, s4, 0x78
	s_addc_u32 s19, s5, 0
	s_waitcnt lgkmcnt(0)
	s_lshr_b32 s2, s0, 16
	s_and_b32 s0, s0, 0xffff
	s_and_b32 s1, s1, 0xffff
	s_mul_i32 s0, s2, s0
	s_mul_i32 s0, s0, s1
	s_cmpk_lg_i32 s0, 0x100
	s_cbranch_scc1 .LBB188_155
; %bb.1:
	s_load_dwordx8 s[8:15], s[4:5], 0x8
	s_mov_b32 s24, s7
	s_mov_b32 s25, 0
	s_waitcnt lgkmcnt(0)
	s_mul_i32 s1, s11, s7
	s_mul_hi_u32 s2, s10, s7
	s_mul_i32 s0, s10, s7
	s_add_i32 s1, s2, s1
	s_lshl_b64 s[0:1], s[0:1], 4
	s_add_u32 s8, s8, s0
	s_addc_u32 s9, s9, s1
	s_load_dwordx4 s[0:3], s[8:9], 0x0
	s_waitcnt lgkmcnt(0)
	v_cmp_neq_f64_e64 s[8:9], s[0:1], 0
	v_cmp_neq_f64_e64 s[10:11], s[2:3], 0
	s_load_dwordx2 s[26:27], s[4:5], 0x68
	s_load_dwordx4 s[0:3], s[4:5], 0x58
	s_or_b64 s[10:11], s[8:9], s[10:11]
	s_mov_b64 s[8:9], -1
	s_and_b64 vcc, exec, s[10:11]
	s_cbranch_vccnz .LBB188_3
; %bb.2:
	s_waitcnt lgkmcnt(0)
	s_mul_i32 s3, s3, s24
	s_mul_hi_u32 s7, s2, s24
	s_add_i32 s3, s7, s3
	s_mul_i32 s2, s2, s24
	s_lshl_b64 s[2:3], s[2:3], 4
	s_add_u32 s8, s0, s2
	s_addc_u32 s9, s1, s3
	s_load_dwordx4 s[0:3], s[8:9], 0x0
	s_mov_b64 s[8:9], 0
	s_waitcnt lgkmcnt(0)
	v_cmp_eq_f64_e64 s[0:1], s[0:1], 1.0
	v_cmp_eq_f64_e64 s[2:3], s[2:3], 0
	s_and_b64 s[0:1], s[0:1], s[2:3]
	s_andn2_b64 vcc, exec, s[0:1]
.LBB188_3:
	s_andn2_b64 vcc, exec, s[8:9]
	s_cbranch_vccnz .LBB188_155
; %bb.4:
	s_load_dword s7, s[18:19], 0x0
	s_load_dwordx4 s[8:11], s[4:5], 0x38
	s_load_dwordx2 s[16:17], s[4:5], 0x48
	s_waitcnt lgkmcnt(0)
	s_lshl_b64 s[0:1], s[24:25], 3
	s_add_u32 s12, s12, s0
	s_addc_u32 s13, s13, s1
	s_add_u32 s0, s8, s0
	s_addc_u32 s1, s9, s1
	s_load_dwordx2 s[8:9], s[0:1], 0x0
	s_load_dwordx2 s[22:23], s[4:5], 0x28
	s_load_dword s33, s[4:5], 0x0
	s_load_dwordx2 s[2:3], s[12:13], 0x0
	s_lshl_b64 s[0:1], s[10:11], 4
	s_waitcnt lgkmcnt(0)
	s_add_u32 s4, s8, s0
	s_addc_u32 s5, s9, s1
	s_lshl_b32 s28, s6, 6
	s_ashr_i32 s38, s33, 31
	s_lshr_b32 s0, s38, 26
	v_add_u32_e32 v175, s28, v0
	s_add_i32 s0, s33, s0
	v_ashrrev_i32_e32 v176, 31, v175
	s_and_b32 s9, s0, 0xffffffc0
	v_mul_lo_u32 v4, s16, v176
	v_mul_lo_u32 v5, s17, v175
	v_mad_u64_u32 v[2:3], s[0:1], s16, v175, 0
	s_add_i32 s8, s7, -1
	s_sub_i32 s25, s33, s9
	v_add3_u32 v3, v3, v4, v5
	v_lshlrev_b64 v[2:3], 4, v[2:3]
	s_cmp_eq_u32 s6, s8
	v_mov_b32_e32 v4, s5
	v_add_co_u32_e32 v40, vcc, s4, v2
	s_cselect_b32 s18, s25, 0
	v_addc_co_u32_e32 v41, vcc, v4, v3, vcc
	v_cmp_eq_u32_e64 s[0:1], 0, v1
	s_and_saveexec_b64 s[4:5], s[0:1]
	s_cbranch_execz .LBB188_9
; %bb.5:
	s_cmp_lg_u32 s18, 0
	s_cselect_b64 s[8:9], -1, 0
	v_cmp_le_i32_e32 vcc, s18, v0
	v_mov_b32_e32 v2, 0x4700
	s_and_b64 s[8:9], s[8:9], vcc
	v_lshl_add_u32 v2, v0, 4, v2
	s_and_saveexec_b64 s[10:11], s[8:9]
	s_xor_b64 s[8:9], exec, s[10:11]
; %bb.6:
	v_mov_b32_e32 v3, 0
	v_mov_b32_e32 v4, v3
	;; [unrolled: 1-line block ×4, first 2 shown]
	ds_write_b128 v2, v[3:6]
                                        ; implicit-def: $vgpr2
; %bb.7:
	s_andn2_saveexec_b64 s[8:9], s[8:9]
	s_cbranch_execz .LBB188_9
; %bb.8:
	flat_load_dwordx4 v[3:6], v[40:41]
	s_waitcnt vmcnt(0) lgkmcnt(0)
	ds_write2_b64 v2, v[3:4], v[5:6] offset1:1
.LBB188_9:
	s_or_b64 exec, exec, s[4:5]
	v_lshl_add_u32 v44, v1, 6, v0
	v_and_b32_e32 v6, 31, v0
	v_lshrrev_b32_e32 v11, 5, v44
	v_mov_b32_e32 v7, 0
	v_mad_u64_u32 v[2:3], s[8:9], s22, v11, v[6:7]
	s_lshl_b64 s[4:5], s[14:15], 4
	s_add_u32 s4, s2, s4
	s_addc_u32 s5, s3, s5
	v_mad_u64_u32 v[3:4], s[2:3], s23, v11, v[3:4]
	s_ashr_i32 s29, s28, 31
	s_lshl_b64 s[2:3], s[28:29], 4
	s_add_u32 s2, s4, s2
	v_lshlrev_b64 v[38:39], 4, v[2:3]
	s_addc_u32 s3, s5, s3
	v_mov_b32_e32 v2, s3
	v_add_co_u32_e32 v3, vcc, s2, v38
	s_mul_hi_u32 s2, s22, s28
	s_mul_i32 s3, s22, s29
	s_add_i32 s2, s2, s3
	s_mul_i32 s3, s23, s28
	s_add_i32 s3, s2, s3
	s_mul_i32 s2, s22, s28
	s_lshl_b64 s[2:3], s[2:3], 4
	v_addc_co_u32_e32 v4, vcc, v2, v39, vcc
	s_cmp_eq_u32 s18, 0
	v_mov_b32_e32 v5, s3
	v_add_co_u32_e32 v2, vcc, s2, v3
	s_cselect_b64 s[20:21], -1, 0
	s_cmp_lg_u32 s18, 0
	v_addc_co_u32_e32 v3, vcc, v4, v5, vcc
	s_cselect_b64 s[30:31], -1, 0
	s_and_b64 vcc, exec, s[30:31]
	v_cmp_gt_i32_e64 s[2:3], s18, v6
	v_lshlrev_b32_e32 v13, 4, v6
	v_lshlrev_b32_e32 v12, 4, v6
	s_cbranch_vccz .LBB188_27
; %bb.10:
	v_sub_co_u32_e32 v4, vcc, v2, v13
	s_ashr_i32 s19, s18, 31
	v_subbrev_co_u32_e32 v5, vcc, 0, v3, vcc
	s_lshl_b64 s[4:5], s[18:19], 4
	v_mov_b32_e32 v7, s5
	v_add_co_u32_e32 v4, vcc, s4, v4
	v_addc_co_u32_e32 v5, vcc, v5, v7, vcc
	v_add_co_u32_e32 v4, vcc, -16, v4
	v_addc_co_u32_e32 v5, vcc, -1, v5, vcc
	s_movk_i32 s8, 0x210
	v_cndmask_b32_e64 v5, v5, v3, s[2:3]
	v_cndmask_b32_e64 v4, v4, v2, s[2:3]
	v_cmp_le_i32_e32 vcc, s18, v11
	v_mad_u32_u24 v8, v11, s8, v12
	s_and_saveexec_b64 s[8:9], vcc
	s_xor_b64 s[8:9], exec, s[8:9]
; %bb.11:
	v_mov_b32_e32 v14, 0
	v_mov_b32_e32 v15, v14
	;; [unrolled: 1-line block ×4, first 2 shown]
	ds_write_b128 v8, v[14:17]
                                        ; implicit-def: $vgpr8
; %bb.12:
	s_or_saveexec_b64 s[8:9], s[8:9]
	v_mul_u32_u24_e32 v7, 0x210, v11
	s_xor_b64 exec, exec, s[8:9]
	s_cbranch_execz .LBB188_14
; %bb.13:
	flat_load_dwordx4 v[14:17], v[4:5]
	s_waitcnt vmcnt(0) lgkmcnt(0)
	ds_write2_b64 v8, v[14:15], v[16:17] offset1:1
.LBB188_14:
	s_or_b64 exec, exec, s[8:9]
	v_add_u32_e32 v8, 8, v11
	v_cmp_le_i32_e32 vcc, s18, v8
	v_add_u32_e32 v8, v7, v12
	s_and_saveexec_b64 s[8:9], vcc
	s_xor_b64 s[8:9], exec, s[8:9]
; %bb.15:
	v_mov_b32_e32 v14, 0
	v_mov_b32_e32 v15, v14
	;; [unrolled: 1-line block ×4, first 2 shown]
	ds_write_b128 v8, v[14:17] offset:4224
; %bb.16:
	s_andn2_saveexec_b64 s[8:9], s[8:9]
	s_cbranch_execz .LBB188_18
; %bb.17:
	s_lshl_b64 s[10:11], s[22:23], 7
	v_mov_b32_e32 v10, s11
	v_add_co_u32_e32 v9, vcc, s10, v4
	v_addc_co_u32_e32 v10, vcc, v5, v10, vcc
	flat_load_dwordx4 v[14:17], v[9:10]
	s_movk_i32 s10, 0x1080
	v_add3_u32 v9, v7, v12, s10
	s_waitcnt vmcnt(0) lgkmcnt(0)
	ds_write2_b64 v9, v[14:15], v[16:17] offset1:1
.LBB188_18:
	s_or_b64 exec, exec, s[8:9]
	v_add_u32_e32 v9, 16, v11
	v_cmp_le_i32_e32 vcc, s18, v9
	s_and_saveexec_b64 s[8:9], vcc
	s_xor_b64 s[8:9], exec, s[8:9]
; %bb.19:
	v_mov_b32_e32 v14, 0
	v_mov_b32_e32 v15, v14
	;; [unrolled: 1-line block ×4, first 2 shown]
	ds_write_b128 v8, v[14:17] offset:8448
; %bb.20:
	s_andn2_saveexec_b64 s[8:9], s[8:9]
	s_cbranch_execz .LBB188_22
; %bb.21:
	s_lshl_b64 s[10:11], s[22:23], 8
	v_mov_b32_e32 v10, s11
	v_add_co_u32_e32 v9, vcc, s10, v4
	v_addc_co_u32_e32 v10, vcc, v5, v10, vcc
	flat_load_dwordx4 v[14:17], v[9:10]
	s_movk_i32 s10, 0x2100
	v_add3_u32 v9, v7, v12, s10
	s_waitcnt vmcnt(0) lgkmcnt(0)
	ds_write2_b64 v9, v[14:15], v[16:17] offset1:1
.LBB188_22:
	s_or_b64 exec, exec, s[8:9]
	v_add_u32_e32 v9, 24, v11
	v_cmp_le_i32_e32 vcc, s18, v9
	s_and_saveexec_b64 s[8:9], vcc
	s_xor_b64 s[8:9], exec, s[8:9]
; %bb.23:
	v_mov_b32_e32 v14, 0
	v_mov_b32_e32 v15, v14
	;; [unrolled: 1-line block ×4, first 2 shown]
	ds_write_b128 v8, v[14:17] offset:12672
                                        ; implicit-def: $vgpr7
; %bb.24:
	s_andn2_saveexec_b64 s[8:9], s[8:9]
	s_cbranch_execz .LBB188_26
; %bb.25:
	v_mov_b32_e32 v8, 0x180
	v_mad_u64_u32 v[8:9], s[10:11], s22, v8, v[4:5]
	s_mul_i32 s10, s23, 0x180
	v_add_u32_e32 v9, s10, v9
	flat_load_dwordx4 v[14:17], v[8:9]
	s_movk_i32 s10, 0x3180
	v_add3_u32 v7, v7, v12, s10
	s_waitcnt vmcnt(0) lgkmcnt(0)
	ds_write2_b64 v7, v[14:15], v[16:17] offset1:1
.LBB188_26:
	s_or_b64 exec, exec, s[8:9]
	v_add_co_u32_e32 v4, vcc, v4, v13
	v_addc_co_u32_e32 v5, vcc, 0, v5, vcc
	v_mov_b32_e32 v7, s5
	v_subrev_co_u32_e32 v4, vcc, s4, v4
	v_subb_co_u32_e32 v5, vcc, v5, v7, vcc
	v_add_co_u32_e32 v4, vcc, 16, v4
	v_addc_co_u32_e32 v5, vcc, 0, v5, vcc
	v_cndmask_b32_e64 v8, v5, v3, s[2:3]
	v_cndmask_b32_e64 v7, v4, v2, s[2:3]
	s_branch .LBB188_29
.LBB188_27:
                                        ; implicit-def: $vgpr7_vgpr8
	s_cbranch_execz .LBB188_29
; %bb.28:
	flat_load_dwordx4 v[7:10], v[2:3]
	v_mul_u32_u24_e32 v4, 0x210, v11
	s_lshl_b64 s[2:3], s[22:23], 7
	v_lshl_add_u32 v14, v6, 4, v4
	v_mov_b32_e32 v15, s3
	v_add_co_u32_e32 v4, vcc, s2, v2
	v_addc_co_u32_e32 v5, vcc, v3, v15, vcc
	v_add_u32_e32 v16, 0x1080, v14
	s_waitcnt vmcnt(0) lgkmcnt(0)
	ds_write2_b64 v14, v[7:8], v[9:10] offset1:1
	flat_load_dwordx4 v[7:10], v[4:5]
	v_add_co_u32_e32 v4, vcc, s2, v4
	v_addc_co_u32_e32 v5, vcc, v5, v15, vcc
	s_waitcnt vmcnt(0) lgkmcnt(0)
	ds_write2_b64 v16, v[7:8], v[9:10] offset1:1
	flat_load_dwordx4 v[7:10], v[4:5]
	v_add_u32_e32 v16, 0x2100, v14
	v_add_co_u32_e32 v4, vcc, s2, v4
	v_addc_co_u32_e32 v5, vcc, v5, v15, vcc
	s_waitcnt vmcnt(0) lgkmcnt(0)
	ds_write2_b64 v16, v[7:8], v[9:10] offset1:1
	flat_load_dwordx4 v[7:10], v[4:5]
	v_add_u32_e32 v4, 0x3180, v14
	s_waitcnt vmcnt(0) lgkmcnt(0)
	ds_write2_b64 v4, v[7:8], v[9:10] offset1:1
	v_mov_b32_e32 v8, v3
	v_mov_b32_e32 v7, v2
.LBB188_29:
	v_lshlrev_b32_e32 v18, 2, v11
	v_lshl_or_b32 v2, v6, 9, v12
	v_cmp_gt_u32_e64 s[4:5], v18, v6
	v_lshl_add_u32 v4, v18, 4, v2
	s_waitcnt lgkmcnt(0)
	s_barrier
	s_and_saveexec_b64 s[2:3], s[4:5]
	s_cbranch_execz .LBB188_31
; %bb.30:
	s_movk_i32 s8, 0x840
	v_mad_u32_u24 v2, v11, s8, v12
	ds_read_b128 v[14:17], v2
	s_waitcnt lgkmcnt(0)
	ds_write_b128 v4, v[14:17]
.LBB188_31:
	s_or_b64 exec, exec, s[2:3]
	v_or_b32_e32 v2, 1, v18
	v_cmp_ge_u32_e64 s[14:15], v18, v6
	s_and_saveexec_b64 s[2:3], s[14:15]
	s_cbranch_execz .LBB188_33
; %bb.32:
	s_movk_i32 s8, 0x210
	v_mad_u32_u24 v3, v2, s8, v12
	ds_read_b128 v[14:17], v3
	s_waitcnt lgkmcnt(0)
	ds_write_b128 v4, v[14:17] offset:16
.LBB188_33:
	s_or_b64 exec, exec, s[2:3]
	v_or_b32_e32 v3, 2, v18
	v_cmp_gt_u32_e64 s[8:9], v3, v6
	s_and_saveexec_b64 s[2:3], s[8:9]
	s_cbranch_execz .LBB188_35
; %bb.34:
	s_movk_i32 s10, 0x210
	v_mad_u32_u24 v3, v3, s10, v12
	ds_read_b128 v[14:17], v3
	s_waitcnt lgkmcnt(0)
	ds_write_b128 v4, v[14:17] offset:32
.LBB188_35:
	s_or_b64 exec, exec, s[2:3]
	v_or_b32_e32 v5, 3, v18
	v_cmp_gt_u32_e64 s[10:11], v5, v6
	v_cmp_le_u32_e32 vcc, v5, v6
                                        ; implicit-def: $vgpr3
	s_and_saveexec_b64 s[2:3], vcc
	s_xor_b64 s[2:3], exec, s[2:3]
; %bb.36:
	v_mul_u32_u24_e32 v3, 0x210, v5
                                        ; implicit-def: $vgpr5
                                        ; implicit-def: $vgpr4
; %bb.37:
	s_andn2_saveexec_b64 s[2:3], s[2:3]
	s_cbranch_execz .LBB188_39
; %bb.38:
	s_movk_i32 s12, 0x210
	v_mad_u32_u24 v3, v5, s12, v12
	ds_read_b128 v[14:17], v3
	v_mul_u32_u24_e32 v3, 0x210, v5
	s_waitcnt lgkmcnt(0)
	ds_write_b128 v4, v[14:17] offset:48
.LBB188_39:
	s_or_b64 exec, exec, s[2:3]
	s_movk_i32 s2, 0x840
	v_mad_u32_u24 v14, v11, s2, v12
	s_waitcnt lgkmcnt(0)
	s_barrier
	v_lshlrev_b32_e32 v19, 4, v18
	ds_read_b128 v[20:23], v14
	ds_read_b128 v[24:27], v19 offset:18176
	ds_read_b128 v[28:31], v19 offset:18192
	s_movk_i32 s19, 0x210
	v_mad_u32_u24 v15, v2, s19, v12
	ds_read_b128 v[32:35], v15
	s_waitcnt lgkmcnt(2)
	v_mul_f64 v[4:5], v[26:27], v[22:23]
	v_mul_f64 v[9:10], v[24:25], v[22:23]
	v_add_u32_e32 v16, v12, v3
	v_cmp_gt_u32_e64 s[2:3], 32, v44
	v_fma_f64 v[42:43], v[24:25], v[20:21], -v[4:5]
	ds_read_b128 v[22:25], v15 offset:528
	s_waitcnt lgkmcnt(1)
	v_mul_f64 v[49:50], v[30:31], v[34:35]
	v_mul_f64 v[51:52], v[28:29], v[34:35]
	v_fma_f64 v[9:10], v[26:27], v[20:21], v[9:10]
	ds_read_b128 v[2:5], v19 offset:18208
	ds_read_b128 v[34:37], v19 offset:18224
	ds_read_b128 v[45:48], v16
	s_waitcnt lgkmcnt(0)
	v_add_f64 v[20:21], v[42:43], 0
	s_barrier
	v_mul_f64 v[26:27], v[4:5], v[24:25]
	v_fma_f64 v[28:29], v[28:29], v[32:33], -v[49:50]
	v_fma_f64 v[30:31], v[30:31], v[32:33], v[51:52]
	v_mul_f64 v[24:25], v[2:3], v[24:25]
	v_add_f64 v[9:10], v[9:10], 0
	v_mul_f64 v[32:33], v[36:37], v[47:48]
	v_fma_f64 v[2:3], v[2:3], v[22:23], -v[26:27]
	v_add_f64 v[20:21], v[20:21], v[28:29]
	v_mul_f64 v[26:27], v[34:35], v[47:48]
	v_fma_f64 v[4:5], v[4:5], v[22:23], v[24:25]
	v_add_f64 v[9:10], v[9:10], v[30:31]
	v_fma_f64 v[22:23], v[34:35], v[45:46], -v[32:33]
	v_add_f64 v[20:21], v[20:21], v[2:3]
	v_fma_f64 v[24:25], v[36:37], v[45:46], v[26:27]
	v_mov_b32_e32 v2, 0
	v_add_f64 v[4:5], v[9:10], v[4:5]
	v_mul_u32_u24_e32 v9, 33, v6
	v_lshlrev_b32_e32 v45, 4, v9
	v_mov_b32_e32 v3, 0
	v_lshl_add_u32 v46, v11, 4, v45
	v_add_f64 v[20:21], v[20:21], v[22:23]
	v_add_f64 v[22:23], v[4:5], v[24:25]
	v_mov_b32_e32 v4, 0
	v_mov_b32_e32 v5, 0
	ds_write_b128 v46, v[20:23]
	s_waitcnt lgkmcnt(0)
	s_barrier
	s_and_saveexec_b64 s[12:13], s[2:3]
	s_cbranch_execz .LBB188_41
; %bb.40:
	ds_read_b128 v[2:5], v45
	ds_read_b128 v[20:23], v45 offset:16
	s_waitcnt lgkmcnt(0)
	v_add_f64 v[9:10], v[20:21], v[2:3]
	v_add_f64 v[24:25], v[22:23], v[4:5]
	ds_read_b128 v[2:5], v45 offset:32
	ds_read_b128 v[20:23], v45 offset:48
	s_waitcnt lgkmcnt(1)
	v_add_f64 v[2:3], v[9:10], v[2:3]
	v_add_f64 v[4:5], v[24:25], v[4:5]
	s_waitcnt lgkmcnt(0)
	v_add_f64 v[9:10], v[2:3], v[20:21]
	v_add_f64 v[24:25], v[4:5], v[22:23]
	ds_read_b128 v[2:5], v45 offset:64
	ds_read_b128 v[20:23], v45 offset:80
	s_waitcnt lgkmcnt(1)
	v_add_f64 v[2:3], v[9:10], v[2:3]
	v_add_f64 v[4:5], v[24:25], v[4:5]
	;; [unrolled: 8-line block ×3, first 2 shown]
	s_waitcnt lgkmcnt(0)
	v_add_f64 v[2:3], v[2:3], v[20:21]
	v_add_f64 v[4:5], v[4:5], v[22:23]
.LBB188_41:
	s_or_b64 exec, exec, s[12:13]
	s_lshl_b64 s[12:13], s[22:23], 9
	v_mov_b32_e32 v9, s13
	v_add_co_u32_e32 v20, vcc, s12, v7
	v_addc_co_u32_e32 v21, vcc, v8, v9, vcc
	v_add_co_u32_e32 v9, vcc, 0x200, v20
	v_addc_co_u32_e32 v10, vcc, 0, v21, vcc
	v_mad_u32_u24 v17, v11, s19, v12
	s_and_b64 vcc, exec, s[30:31]
	s_barrier
	s_cbranch_vccz .LBB188_59
; %bb.42:
	v_sub_co_u32_e32 v8, vcc, v20, v13
	s_ashr_i32 s19, s18, 31
	v_subbrev_co_u32_e32 v22, vcc, 0, v21, vcc
	s_lshl_b64 s[34:35], s[18:19], 4
	v_mov_b32_e32 v23, s35
	v_add_co_u32_e32 v8, vcc, s34, v8
	v_addc_co_u32_e32 v22, vcc, v22, v23, vcc
	v_or_b32_e32 v7, 32, v6
	v_add_co_u32_e32 v23, vcc, -16, v8
	v_addc_co_u32_e32 v8, vcc, -1, v22, vcc
	v_cmp_gt_i32_e64 s[12:13], s18, v7
	s_sub_i32 s19, s18, 32
	v_cndmask_b32_e64 v8, v8, v10, s[12:13]
	v_cndmask_b32_e64 v7, v23, v9, s[12:13]
	v_cmp_le_i32_e32 vcc, s19, v11
	s_and_saveexec_b64 s[36:37], vcc
	s_xor_b64 s[36:37], exec, s[36:37]
; %bb.43:
	v_mov_b32_e32 v22, 0
	v_mov_b32_e32 v23, v22
	;; [unrolled: 1-line block ×4, first 2 shown]
	ds_write_b128 v17, v[22:25]
; %bb.44:
	s_andn2_saveexec_b64 s[36:37], s[36:37]
	s_cbranch_execz .LBB188_46
; %bb.45:
	flat_load_dwordx4 v[22:25], v[7:8]
	s_waitcnt vmcnt(0) lgkmcnt(0)
	ds_write2_b64 v17, v[22:23], v[24:25] offset1:1
.LBB188_46:
	s_or_b64 exec, exec, s[36:37]
	v_add_u32_e32 v22, 8, v11
	v_cmp_le_i32_e32 vcc, s19, v22
	s_and_saveexec_b64 s[36:37], vcc
	s_xor_b64 s[36:37], exec, s[36:37]
	s_cbranch_execz .LBB188_48
; %bb.47:
	s_movk_i32 s39, 0x210
	v_mad_u32_u24 v26, v22, s39, v12
	v_mov_b32_e32 v22, 0
	v_mov_b32_e32 v23, v22
	;; [unrolled: 1-line block ×4, first 2 shown]
	ds_write_b128 v26, v[22:25]
                                        ; implicit-def: $vgpr22
.LBB188_48:
	s_andn2_saveexec_b64 s[36:37], s[36:37]
	s_cbranch_execz .LBB188_50
; %bb.49:
	s_lshl_b64 s[40:41], s[22:23], 7
	v_mov_b32_e32 v24, s41
	v_add_co_u32_e32 v23, vcc, s40, v7
	v_addc_co_u32_e32 v24, vcc, v8, v24, vcc
	flat_load_dwordx4 v[23:26], v[23:24]
	s_movk_i32 s39, 0x210
	v_mad_u32_u24 v22, v22, s39, v12
	s_waitcnt vmcnt(0) lgkmcnt(0)
	ds_write2_b64 v22, v[23:24], v[25:26] offset1:1
.LBB188_50:
	s_or_b64 exec, exec, s[36:37]
	v_add_u32_e32 v22, 16, v11
	v_cmp_le_i32_e32 vcc, s19, v22
	s_and_saveexec_b64 s[36:37], vcc
	s_xor_b64 s[36:37], exec, s[36:37]
	s_cbranch_execz .LBB188_52
; %bb.51:
	s_movk_i32 s39, 0x210
	v_mad_u32_u24 v26, v22, s39, v12
	v_mov_b32_e32 v22, 0
	v_mov_b32_e32 v23, v22
	;; [unrolled: 1-line block ×4, first 2 shown]
	ds_write_b128 v26, v[22:25]
                                        ; implicit-def: $vgpr22
.LBB188_52:
	s_andn2_saveexec_b64 s[36:37], s[36:37]
	s_cbranch_execz .LBB188_54
; %bb.53:
	s_lshl_b64 s[40:41], s[22:23], 8
	v_mov_b32_e32 v24, s41
	v_add_co_u32_e32 v23, vcc, s40, v7
	v_addc_co_u32_e32 v24, vcc, v8, v24, vcc
	flat_load_dwordx4 v[23:26], v[23:24]
	s_movk_i32 s39, 0x210
	v_mad_u32_u24 v22, v22, s39, v12
	s_waitcnt vmcnt(0) lgkmcnt(0)
	ds_write2_b64 v22, v[23:24], v[25:26] offset1:1
.LBB188_54:
	s_or_b64 exec, exec, s[36:37]
	v_add_u32_e32 v22, 24, v11
	v_cmp_le_i32_e32 vcc, s19, v22
	s_and_saveexec_b64 s[36:37], vcc
	s_xor_b64 s[36:37], exec, s[36:37]
	s_cbranch_execz .LBB188_56
; %bb.55:
	s_movk_i32 s19, 0x210
	v_mad_u32_u24 v26, v22, s19, v12
	v_mov_b32_e32 v22, 0
	v_mov_b32_e32 v23, v22
	v_mov_b32_e32 v24, v22
	v_mov_b32_e32 v25, v22
	ds_write_b128 v26, v[22:25]
                                        ; implicit-def: $vgpr22
.LBB188_56:
	s_andn2_saveexec_b64 s[36:37], s[36:37]
	s_cbranch_execz .LBB188_58
; %bb.57:
	v_mov_b32_e32 v23, 0x180
	v_mad_u64_u32 v[23:24], s[40:41], s22, v23, v[7:8]
	s_mul_i32 s19, s23, 0x180
	v_add_u32_e32 v24, s19, v24
	flat_load_dwordx4 v[23:26], v[23:24]
	s_movk_i32 s19, 0x210
	v_mad_u32_u24 v22, v22, s19, v12
	s_waitcnt vmcnt(0) lgkmcnt(0)
	ds_write2_b64 v22, v[23:24], v[25:26] offset1:1
.LBB188_58:
	s_or_b64 exec, exec, s[36:37]
	v_add_co_u32_e32 v7, vcc, v7, v13
	v_addc_co_u32_e32 v8, vcc, 0, v8, vcc
	v_mov_b32_e32 v22, s35
	v_subrev_co_u32_e32 v7, vcc, s34, v7
	v_subb_co_u32_e32 v8, vcc, v8, v22, vcc
	v_add_co_u32_e32 v7, vcc, 0x210, v7
	v_addc_co_u32_e32 v8, vcc, 0, v8, vcc
	v_cndmask_b32_e64 v8, v8, v10, s[12:13]
	v_cndmask_b32_e64 v7, v7, v9, s[12:13]
	s_branch .LBB188_61
.LBB188_59:
                                        ; implicit-def: $vgpr7_vgpr8
	s_cbranch_execz .LBB188_61
; %bb.60:
	flat_load_dwordx4 v[22:25], v[9:10]
	s_lshl_b64 s[12:13], s[22:23], 7
	v_mov_b32_e32 v26, s13
	v_add_co_u32_e32 v7, vcc, s12, v20
	v_addc_co_u32_e32 v8, vcc, v21, v26, vcc
	s_waitcnt vmcnt(0) lgkmcnt(0)
	ds_write2_b64 v17, v[22:23], v[24:25] offset1:1
	flat_load_dwordx4 v[20:23], v[7:8] offset:512
	v_add_u32_e32 v24, 0x1080, v17
	v_add_co_u32_e32 v7, vcc, s12, v7
	v_addc_co_u32_e32 v8, vcc, v8, v26, vcc
	s_waitcnt vmcnt(0) lgkmcnt(0)
	ds_write2_b64 v24, v[20:21], v[22:23] offset1:1
	flat_load_dwordx4 v[20:23], v[7:8] offset:512
	v_add_u32_e32 v24, 0x2100, v17
	;; [unrolled: 6-line block ×3, first 2 shown]
	s_waitcnt vmcnt(0) lgkmcnt(0)
	ds_write2_b64 v7, v[20:21], v[22:23] offset1:1
	v_mov_b32_e32 v7, v9
	v_mov_b32_e32 v8, v10
.LBB188_61:
	v_lshl_add_u32 v9, v18, 4, v45
	s_waitcnt lgkmcnt(0)
	s_barrier
	s_and_saveexec_b64 s[12:13], s[4:5]
	s_cbranch_execz .LBB188_65
; %bb.62:
	ds_read_b128 v[20:23], v14
	s_waitcnt lgkmcnt(0)
	ds_write_b128 v9, v[20:23]
	s_or_b64 exec, exec, s[12:13]
	s_and_saveexec_b64 s[4:5], s[14:15]
	s_cbranch_execnz .LBB188_66
.LBB188_63:
	s_or_b64 exec, exec, s[4:5]
	v_add_u32_e32 v18, 0x210, v15
	s_and_saveexec_b64 s[4:5], s[8:9]
	s_cbranch_execz .LBB188_67
.LBB188_64:
	ds_read_b128 v[20:23], v18
	s_waitcnt lgkmcnt(0)
	ds_write_b128 v9, v[20:23] offset:32
	s_or_b64 exec, exec, s[4:5]
	v_add_u32_e32 v19, 0x4700, v19
	s_and_saveexec_b64 s[4:5], s[10:11]
	s_cbranch_execnz .LBB188_68
	s_branch .LBB188_69
.LBB188_65:
	s_or_b64 exec, exec, s[12:13]
	s_and_saveexec_b64 s[4:5], s[14:15]
	s_cbranch_execz .LBB188_63
.LBB188_66:
	ds_read_b128 v[20:23], v15
	s_waitcnt lgkmcnt(0)
	ds_write_b128 v9, v[20:23] offset:16
	s_or_b64 exec, exec, s[4:5]
	v_add_u32_e32 v18, 0x210, v15
	s_and_saveexec_b64 s[4:5], s[8:9]
	s_cbranch_execnz .LBB188_64
.LBB188_67:
	s_or_b64 exec, exec, s[4:5]
	v_add_u32_e32 v19, 0x4700, v19
	s_and_saveexec_b64 s[4:5], s[10:11]
	s_cbranch_execz .LBB188_69
.LBB188_68:
	ds_read_b128 v[20:23], v16
	s_waitcnt lgkmcnt(0)
	ds_write_b128 v9, v[20:23] offset:48
.LBB188_69:
	s_or_b64 exec, exec, s[4:5]
	s_waitcnt lgkmcnt(0)
	s_barrier
	ds_read_b128 v[20:23], v19 offset:512
	ds_read_b128 v[24:27], v14
	v_cmp_eq_u32_e64 s[4:5], 1, v11
	s_waitcnt lgkmcnt(0)
	v_mul_f64 v[9:10], v[22:23], v[26:27]
	v_mul_f64 v[42:43], v[20:21], v[26:27]
	ds_read_b128 v[26:29], v15
	ds_read_b128 v[30:33], v19 offset:528
	ds_read_b128 v[34:37], v19 offset:544
	ds_read_b128 v[47:50], v18
	s_waitcnt lgkmcnt(2)
	v_mul_f64 v[55:56], v[32:33], v[28:29]
	v_mul_f64 v[28:29], v[30:31], v[28:29]
	v_fma_f64 v[9:10], v[20:21], v[24:25], -v[9:10]
	v_fma_f64 v[24:25], v[22:23], v[24:25], v[42:43]
	s_waitcnt lgkmcnt(0)
	v_mul_f64 v[42:43], v[36:37], v[49:50]
	v_mul_f64 v[49:50], v[34:35], v[49:50]
	ds_read_b128 v[20:23], v19 offset:560
	ds_read_b128 v[51:54], v16
	v_fma_f64 v[30:31], v[30:31], v[26:27], -v[55:56]
	v_fma_f64 v[26:27], v[32:33], v[26:27], v[28:29]
	s_waitcnt lgkmcnt(0)
	v_add_f64 v[9:10], v[9:10], 0
	v_add_f64 v[24:25], v[24:25], 0
	v_mul_f64 v[28:29], v[22:23], v[53:54]
	v_mul_f64 v[32:33], v[20:21], v[53:54]
	v_fma_f64 v[34:35], v[34:35], v[47:48], -v[42:43]
	v_fma_f64 v[36:37], v[36:37], v[47:48], v[49:50]
	s_barrier
	v_add_f64 v[9:10], v[9:10], v[30:31]
	v_add_f64 v[24:25], v[24:25], v[26:27]
	v_fma_f64 v[20:21], v[20:21], v[51:52], -v[28:29]
	v_fma_f64 v[22:23], v[22:23], v[51:52], v[32:33]
	v_add_f64 v[9:10], v[9:10], v[34:35]
	v_add_f64 v[24:25], v[24:25], v[36:37]
	;; [unrolled: 1-line block ×4, first 2 shown]
	ds_write_b128 v46, v[20:23]
	s_waitcnt lgkmcnt(0)
	s_barrier
	s_and_saveexec_b64 s[8:9], s[4:5]
	s_cbranch_execz .LBB188_71
; %bb.70:
	ds_read_b128 v[2:5], v45
	ds_read_b128 v[20:23], v45 offset:16
	s_waitcnt lgkmcnt(0)
	v_add_f64 v[9:10], v[20:21], v[2:3]
	v_add_f64 v[24:25], v[22:23], v[4:5]
	ds_read_b128 v[2:5], v45 offset:32
	ds_read_b128 v[20:23], v45 offset:48
	s_waitcnt lgkmcnt(1)
	v_add_f64 v[2:3], v[9:10], v[2:3]
	v_add_f64 v[4:5], v[24:25], v[4:5]
	s_waitcnt lgkmcnt(0)
	v_add_f64 v[9:10], v[2:3], v[20:21]
	v_add_f64 v[24:25], v[4:5], v[22:23]
	ds_read_b128 v[2:5], v45 offset:64
	ds_read_b128 v[20:23], v45 offset:80
	s_waitcnt lgkmcnt(1)
	v_add_f64 v[2:3], v[9:10], v[2:3]
	v_add_f64 v[4:5], v[24:25], v[4:5]
	;; [unrolled: 8-line block ×3, first 2 shown]
	s_waitcnt lgkmcnt(0)
	v_add_f64 v[2:3], v[2:3], v[20:21]
	v_add_f64 v[4:5], v[4:5], v[22:23]
.LBB188_71:
	s_or_b64 exec, exec, s[8:9]
	v_add_co_u32_e32 v7, vcc, 0xfffffe00, v7
	v_addc_co_u32_e32 v8, vcc, -1, v8, vcc
	s_and_b64 vcc, exec, s[30:31]
	s_barrier
	s_cbranch_vccz .LBB188_89
; %bb.72:
	v_sub_co_u32_e32 v9, vcc, v7, v13
	s_ashr_i32 s19, s18, 31
	v_subbrev_co_u32_e32 v10, vcc, 0, v8, vcc
	s_lshl_b64 s[10:11], s[18:19], 4
	v_mov_b32_e32 v20, s11
	v_add_co_u32_e32 v9, vcc, s10, v9
	v_addc_co_u32_e32 v10, vcc, v10, v20, vcc
	v_add_co_u32_e32 v9, vcc, -16, v9
	v_addc_co_u32_e32 v10, vcc, -1, v10, vcc
	v_cmp_gt_i32_e32 vcc, s18, v6
	s_sub_i32 s14, s18, 32
	v_cndmask_b32_e32 v10, v10, v8, vcc
	v_cndmask_b32_e32 v9, v9, v7, vcc
	v_cmp_le_i32_e64 s[8:9], s14, v11
	s_and_saveexec_b64 s[12:13], s[8:9]
	s_xor_b64 s[8:9], exec, s[12:13]
; %bb.73:
	v_mov_b32_e32 v20, 0
	v_mov_b32_e32 v21, v20
	;; [unrolled: 1-line block ×4, first 2 shown]
	ds_write_b128 v17, v[20:23]
; %bb.74:
	s_andn2_saveexec_b64 s[8:9], s[8:9]
	s_cbranch_execz .LBB188_76
; %bb.75:
	flat_load_dwordx4 v[20:23], v[9:10]
	s_waitcnt vmcnt(0) lgkmcnt(0)
	ds_write2_b64 v17, v[20:21], v[22:23] offset1:1
.LBB188_76:
	s_or_b64 exec, exec, s[8:9]
	v_add_u32_e32 v6, 8, v11
	v_cmp_le_i32_e64 s[8:9], s14, v6
	s_and_saveexec_b64 s[12:13], s[8:9]
	s_xor_b64 s[8:9], exec, s[12:13]
	s_cbranch_execz .LBB188_78
; %bb.77:
	s_movk_i32 s12, 0x210
	v_mov_b32_e32 v20, 0
	v_mad_u32_u24 v24, v6, s12, v12
	v_mov_b32_e32 v21, v20
	v_mov_b32_e32 v22, v20
	;; [unrolled: 1-line block ×3, first 2 shown]
	ds_write_b128 v24, v[20:23]
.LBB188_78:
	s_andn2_saveexec_b64 s[12:13], s[8:9]
	s_cbranch_execz .LBB188_80
; %bb.79:
	s_lshl_b64 s[8:9], s[22:23], 7
	v_mov_b32_e32 v21, s9
	v_add_co_u32_e64 v20, s[8:9], s8, v9
	v_addc_co_u32_e64 v21, s[8:9], v10, v21, s[8:9]
	flat_load_dwordx4 v[20:23], v[20:21]
	s_movk_i32 s8, 0x210
	v_mad_u32_u24 v24, v6, s8, v12
	s_waitcnt vmcnt(0) lgkmcnt(0)
	ds_write2_b64 v24, v[20:21], v[22:23] offset1:1
.LBB188_80:
	s_or_b64 exec, exec, s[12:13]
	v_add_u32_e32 v21, 16, v11
	v_cmp_le_i32_e64 s[8:9], s14, v21
	s_and_saveexec_b64 s[12:13], s[8:9]
	s_xor_b64 s[8:9], exec, s[12:13]
	s_cbranch_execz .LBB188_82
; %bb.81:
	s_movk_i32 s12, 0x210
	v_mov_b32_e32 v22, 0
	v_mad_u32_u24 v20, v21, s12, v12
	v_mov_b32_e32 v23, v22
	v_mov_b32_e32 v24, v22
	;; [unrolled: 1-line block ×3, first 2 shown]
	ds_write_b128 v20, v[22:25]
.LBB188_82:
	s_andn2_saveexec_b64 s[12:13], s[8:9]
	s_cbranch_execz .LBB188_84
; %bb.83:
	s_lshl_b64 s[8:9], s[22:23], 8
	v_mov_b32_e32 v20, s9
	v_add_co_u32_e64 v22, s[8:9], s8, v9
	v_addc_co_u32_e64 v23, s[8:9], v10, v20, s[8:9]
	flat_load_dwordx4 v[22:25], v[22:23]
	s_movk_i32 s8, 0x210
	v_mad_u32_u24 v20, v21, s8, v12
	s_waitcnt vmcnt(0) lgkmcnt(0)
	ds_write2_b64 v20, v[22:23], v[24:25] offset1:1
.LBB188_84:
	s_or_b64 exec, exec, s[12:13]
	v_add_u32_e32 v20, 24, v11
	v_cmp_le_i32_e64 s[8:9], s14, v20
	s_and_saveexec_b64 s[12:13], s[8:9]
	s_xor_b64 s[8:9], exec, s[12:13]
	s_cbranch_execz .LBB188_86
; %bb.85:
	s_movk_i32 s12, 0x210
	v_mov_b32_e32 v22, 0
	v_mad_u32_u24 v26, v20, s12, v12
	v_mov_b32_e32 v23, v22
	v_mov_b32_e32 v24, v22
	;; [unrolled: 1-line block ×3, first 2 shown]
	ds_write_b128 v26, v[22:25]
.LBB188_86:
	s_andn2_saveexec_b64 s[8:9], s[8:9]
	s_cbranch_execz .LBB188_88
; %bb.87:
	v_mov_b32_e32 v22, 0x180
	v_mad_u64_u32 v[22:23], s[12:13], s22, v22, v[9:10]
	s_mul_i32 s12, s23, 0x180
	v_add_u32_e32 v23, s12, v23
	flat_load_dwordx4 v[22:25], v[22:23]
	s_movk_i32 s12, 0x210
	v_mad_u32_u24 v26, v20, s12, v12
	s_waitcnt vmcnt(0) lgkmcnt(0)
	ds_write2_b64 v26, v[22:23], v[24:25] offset1:1
.LBB188_88:
	s_or_b64 exec, exec, s[8:9]
	v_add_co_u32_e64 v9, s[8:9], v9, v13
	v_addc_co_u32_e64 v10, s[8:9], 0, v10, s[8:9]
	v_mov_b32_e32 v13, s11
	v_subrev_co_u32_e64 v9, s[8:9], s10, v9
	v_subb_co_u32_e64 v10, s[8:9], v10, v13, s[8:9]
	v_add_co_u32_e64 v9, s[8:9], 16, v9
	v_addc_co_u32_e64 v10, s[8:9], 0, v10, s[8:9]
	v_cndmask_b32_e32 v43, v10, v8, vcc
	v_cndmask_b32_e32 v42, v9, v7, vcc
	s_branch .LBB188_91
.LBB188_89:
                                        ; implicit-def: $vgpr42_vgpr43
                                        ; implicit-def: $vgpr6
                                        ; implicit-def: $vgpr21
                                        ; implicit-def: $vgpr20
	s_cbranch_execz .LBB188_91
; %bb.90:
	flat_load_dwordx4 v[20:23], v[7:8]
	s_lshl_b64 s[8:9], s[22:23], 7
	v_mov_b32_e32 v13, s9
	v_add_co_u32_e32 v9, vcc, s8, v7
	v_addc_co_u32_e32 v10, vcc, v8, v13, vcc
	v_add_u32_e32 v6, 8, v11
	s_movk_i32 s9, 0x210
	v_mad_u32_u24 v12, v6, s9, v12
	v_mov_b32_e32 v43, v8
	v_mov_b32_e32 v42, v7
	s_waitcnt vmcnt(0) lgkmcnt(0)
	ds_write2_b64 v17, v[20:21], v[22:23] offset1:1
	flat_load_dwordx4 v[20:23], v[9:10]
	v_add_co_u32_e32 v9, vcc, s8, v9
	v_addc_co_u32_e32 v10, vcc, v10, v13, vcc
	v_add_u32_e32 v17, 0x1080, v12
	s_waitcnt vmcnt(0) lgkmcnt(0)
	ds_write2_b64 v12, v[20:21], v[22:23] offset1:1
	flat_load_dwordx4 v[20:23], v[9:10]
	v_add_co_u32_e32 v9, vcc, s8, v9
	v_addc_co_u32_e32 v10, vcc, v10, v13, vcc
	s_waitcnt vmcnt(0) lgkmcnt(0)
	ds_write2_b64 v17, v[20:21], v[22:23] offset1:1
	flat_load_dwordx4 v[22:25], v[9:10]
	v_add_u32_e32 v21, 16, v11
	v_add_u32_e32 v20, 24, v11
	;; [unrolled: 1-line block ×3, first 2 shown]
	s_waitcnt vmcnt(0) lgkmcnt(0)
	ds_write2_b64 v9, v[22:23], v[24:25] offset1:1
.LBB188_91:
	v_lshlrev_b32_e32 v11, 4, v11
	v_add_u32_e32 v7, v45, v11
	s_waitcnt lgkmcnt(0)
	s_barrier
	ds_read_b128 v[7:10], v7
	ds_read_b128 v[22:25], v11 offset:18176
	v_lshlrev_b32_e32 v6, 4, v6
	v_add_u32_e32 v11, v45, v6
	ds_read_b128 v[26:29], v11
	ds_read_b128 v[30:33], v6 offset:18176
	v_lshlrev_b32_e32 v6, 4, v21
	s_waitcnt lgkmcnt(2)
	v_mul_f64 v[11:12], v[9:10], v[24:25]
	v_mul_f64 v[24:25], v[7:8], v[24:25]
	v_add_u32_e32 v13, v45, v6
	s_waitcnt lgkmcnt(0)
	v_mul_f64 v[51:52], v[28:29], v[32:33]
	ds_read_b128 v[34:37], v13
	ds_read_b128 v[47:50], v6 offset:18176
	v_mul_f64 v[32:33], v[26:27], v[32:33]
	v_fma_f64 v[6:7], v[7:8], v[22:23], -v[11:12]
	v_fma_f64 v[21:22], v[9:10], v[22:23], v[24:25]
	s_waitcnt lgkmcnt(0)
	v_mul_f64 v[53:54], v[36:37], v[49:50]
	v_fma_f64 v[26:27], v[26:27], v[30:31], -v[51:52]
	v_mul_f64 v[49:50], v[34:35], v[49:50]
	v_lshlrev_b32_e32 v10, 4, v20
	v_fma_f64 v[28:29], v[28:29], v[30:31], v[32:33]
	v_add_f64 v[23:24], v[6:7], 0
	v_add_f64 v[20:21], v[21:22], 0
	v_add_u32_e32 v6, v45, v10
	ds_read_b128 v[6:9], v6
	ds_read_b128 v[10:13], v10 offset:18176
	v_fma_f64 v[30:31], v[36:37], v[47:48], v[49:50]
	v_add_f64 v[22:23], v[23:24], v[26:27]
	v_fma_f64 v[24:25], v[34:35], v[47:48], -v[53:54]
	s_waitcnt lgkmcnt(0)
	v_mul_f64 v[26:27], v[8:9], v[12:13]
	v_mul_f64 v[12:13], v[6:7], v[12:13]
	v_add_f64 v[20:21], v[20:21], v[28:29]
	v_fma_f64 v[26:27], v[6:7], v[10:11], -v[26:27]
	v_fma_f64 v[10:11], v[8:9], v[10:11], v[12:13]
	v_add_f64 v[12:13], v[22:23], v[24:25]
	v_add_f64 v[20:21], v[20:21], v[30:31]
	ds_read_b128 v[22:25], v19 offset:528
	ds_read_b128 v[6:9], v19 offset:544
	;; [unrolled: 1-line block ×3, first 2 shown]
	ds_read_b128 v[34:37], v14
	v_add_f64 v[47:48], v[12:13], v[26:27]
	v_add_f64 v[49:50], v[20:21], v[10:11]
	ds_read_b128 v[10:13], v19 offset:560
	ds_read_b128 v[26:29], v15
	ds_read_b128 v[18:21], v18
	;; [unrolled: 1-line block ×3, first 2 shown]
	s_waitcnt lgkmcnt(0)
	s_barrier
	ds_write_b128 v46, v[47:50]
	s_waitcnt lgkmcnt(0)
	s_barrier
	s_and_saveexec_b64 s[8:9], s[4:5]
	s_cbranch_execz .LBB188_93
; %bb.92:
	ds_read_b128 v[47:50], v45
	ds_read_b128 v[51:54], v45 offset:16
	s_waitcnt lgkmcnt(1)
	v_add_f64 v[2:3], v[2:3], v[47:48]
	v_add_f64 v[4:5], v[4:5], v[49:50]
	s_waitcnt lgkmcnt(0)
	v_add_f64 v[51:52], v[2:3], v[51:52]
	v_add_f64 v[53:54], v[4:5], v[53:54]
	ds_read_b128 v[2:5], v45 offset:32
	ds_read_b128 v[47:50], v45 offset:48
	s_waitcnt lgkmcnt(1)
	v_add_f64 v[2:3], v[51:52], v[2:3]
	v_add_f64 v[4:5], v[53:54], v[4:5]
	s_waitcnt lgkmcnt(0)
	v_add_f64 v[51:52], v[2:3], v[47:48]
	v_add_f64 v[53:54], v[4:5], v[49:50]
	ds_read_b128 v[2:5], v45 offset:64
	;; [unrolled: 8-line block ×3, first 2 shown]
	ds_read_b128 v[47:50], v45 offset:112
	s_waitcnt lgkmcnt(1)
	v_add_f64 v[2:3], v[51:52], v[2:3]
	v_add_f64 v[4:5], v[53:54], v[4:5]
	s_waitcnt lgkmcnt(0)
	v_add_f64 v[2:3], v[2:3], v[47:48]
	v_add_f64 v[4:5], v[4:5], v[49:50]
.LBB188_93:
	s_or_b64 exec, exec, s[8:9]
	v_mul_f64 v[47:48], v[32:33], v[36:37]
	v_mul_f64 v[36:37], v[30:31], v[36:37]
	;; [unrolled: 1-line block ×4, first 2 shown]
	s_barrier
	v_fma_f64 v[30:31], v[30:31], v[34:35], -v[47:48]
	v_fma_f64 v[32:33], v[32:33], v[34:35], v[36:37]
	v_mul_f64 v[34:35], v[8:9], v[20:21]
	v_mul_f64 v[20:21], v[6:7], v[20:21]
	v_fma_f64 v[22:23], v[22:23], v[26:27], -v[49:50]
	v_fma_f64 v[24:25], v[24:25], v[26:27], v[28:29]
	v_add_f64 v[26:27], v[30:31], 0
	v_add_f64 v[28:29], v[32:33], 0
	v_mul_f64 v[30:31], v[12:13], v[16:17]
	v_mul_f64 v[16:17], v[10:11], v[16:17]
	v_fma_f64 v[6:7], v[6:7], v[18:19], -v[34:35]
	v_fma_f64 v[8:9], v[8:9], v[18:19], v[20:21]
	v_add_f64 v[18:19], v[26:27], v[22:23]
	v_add_f64 v[20:21], v[28:29], v[24:25]
	v_fma_f64 v[10:11], v[10:11], v[14:15], -v[30:31]
	v_fma_f64 v[12:13], v[12:13], v[14:15], v[16:17]
	v_add_f64 v[6:7], v[18:19], v[6:7]
	v_add_f64 v[8:9], v[20:21], v[8:9]
	;; [unrolled: 1-line block ×4, first 2 shown]
	ds_write_b128 v46, v[6:9]
	s_waitcnt lgkmcnt(0)
	s_barrier
	s_and_saveexec_b64 s[4:5], s[2:3]
	s_cbranch_execz .LBB188_95
; %bb.94:
	ds_read_b128 v[6:9], v45
	ds_read_b128 v[10:13], v45 offset:16
	s_waitcnt lgkmcnt(1)
	v_add_f64 v[2:3], v[2:3], v[6:7]
	v_add_f64 v[4:5], v[4:5], v[8:9]
	s_waitcnt lgkmcnt(0)
	v_add_f64 v[10:11], v[2:3], v[10:11]
	v_add_f64 v[12:13], v[4:5], v[12:13]
	ds_read_b128 v[2:5], v45 offset:32
	ds_read_b128 v[6:9], v45 offset:48
	s_waitcnt lgkmcnt(1)
	v_add_f64 v[2:3], v[10:11], v[2:3]
	v_add_f64 v[4:5], v[12:13], v[4:5]
	s_waitcnt lgkmcnt(0)
	v_add_f64 v[10:11], v[2:3], v[6:7]
	v_add_f64 v[12:13], v[4:5], v[8:9]
	ds_read_b128 v[2:5], v45 offset:64
	;; [unrolled: 8-line block ×3, first 2 shown]
	ds_read_b128 v[6:9], v45 offset:112
	s_waitcnt lgkmcnt(1)
	v_add_f64 v[2:3], v[10:11], v[2:3]
	v_add_f64 v[4:5], v[12:13], v[4:5]
	s_waitcnt lgkmcnt(0)
	v_add_f64 v[2:3], v[2:3], v[6:7]
	v_add_f64 v[4:5], v[4:5], v[8:9]
.LBB188_95:
	s_or_b64 exec, exec, s[4:5]
	s_mul_hi_u32 s2, s33, s24
	s_mul_i32 s38, s38, s24
	s_add_i32 s2, s2, s38
	s_mul_i32 s4, s33, s24
	s_mul_i32 s2, s2, s7
	s_mul_hi_u32 s3, s4, s7
	s_add_i32 s3, s3, s2
	s_mul_i32 s2, s4, s7
	s_lshl_b64 s[2:3], s[2:3], 4
	s_add_u32 s4, s26, s2
	s_addc_u32 s5, s27, s3
	s_mul_hi_i32 s3, s33, s6
	s_mul_i32 s2, s33, s6
	s_lshl_b64 s[2:3], s[2:3], 4
	s_add_u32 s19, s4, s2
	s_addc_u32 s24, s5, s3
	s_add_i32 s2, s6, 1
	s_cmp_ge_u32 s2, s7
	v_lshlrev_b32_e32 v177, 4, v0
	s_barrier
	s_cbranch_scc1 .LBB188_153
; %bb.96:
	s_mul_i32 s2, s16, s29
	s_mul_hi_u32 s3, s16, s28
	s_add_i32 s2, s3, s2
	s_mul_i32 s3, s17, s28
	s_add_i32 s3, s2, s3
	s_mul_i32 s2, s16, s28
	s_lshl_b64 s[2:3], s[2:3], 4
	v_mov_b32_e32 v6, s3
	v_subrev_co_u32_e32 v179, vcc, s2, v40
	v_subb_co_u32_e32 v180, vcc, v41, v6, vcc
	v_lshrrev_b32_e32 v6, 4, v44
	v_lshlrev_b32_e32 v8, 6, v6
	v_mul_i32_i24_e32 v11, 0xffffffd0, v6
	v_and_b32_e32 v6, 48, v0
	v_and_b32_e32 v7, 15, v0
	v_lshlrev_b32_e32 v10, 6, v1
	s_movk_i32 s4, 0x430
	v_lshlrev_b32_e32 v6, 4, v6
	v_mad_u32_u24 v186, v7, s4, v6
	v_or_b32_e32 v6, 0xf0, v177
	v_add_u32_e32 v9, 0x220, v10
	v_mad_u32_u24 v185, v7, s4, v8
	v_mad_u32_u24 v187, v7, s4, v6
	v_mad_u64_u32 v[7:8], s[4:5], s22, v9, 0
	v_add_u32_e32 v13, 0x530, v10
	v_add_u32_e32 v182, 0x4300, v10
	v_mad_u64_u32 v[8:9], s[4:5], s23, v9, v[8:9]
	v_sub_co_u32_e32 v9, vcc, v7, v38
	v_subb_co_u32_e32 v12, vcc, v8, v39, vcc
	v_mad_u64_u32 v[7:8], s[4:5], s22, v13, 0
	v_add_co_u32_e32 v203, vcc, v42, v9
	v_mad_u64_u32 v[8:9], s[4:5], s23, v13, v[8:9]
	v_addc_co_u32_e32 v204, vcc, v43, v12, vcc
	v_sub_co_u32_e32 v9, vcc, v7, v38
	v_add_u32_e32 v13, 0x210, v10
	v_subb_co_u32_e32 v12, vcc, v8, v39, vcc
	v_mad_u64_u32 v[7:8], s[4:5], s22, v13, 0
	v_add_co_u32_e32 v205, vcc, v42, v9
	v_mad_u64_u32 v[8:9], s[4:5], s23, v13, v[8:9]
	v_addc_co_u32_e32 v206, vcc, v43, v12, vcc
	v_sub_co_u32_e32 v9, vcc, v7, v38
	v_add_u32_e32 v13, 0x500, v10
	;; [unrolled: 7-line block ×14, first 2 shown]
	v_subb_co_u32_e32 v12, vcc, v8, v39, vcc
	v_mad_u64_u32 v[7:8], s[4:5], s22, v10, 0
	v_add_co_u32_e32 v231, vcc, v42, v9
	v_mad_u64_u32 v[8:9], s[4:5], s23, v10, v[8:9]
	v_addc_co_u32_e32 v232, vcc, v43, v12, vcc
	v_sub_co_u32_e32 v7, vcc, v7, v38
	v_subb_co_u32_e32 v8, vcc, v8, v39, vcc
	v_lshlrev_b32_e32 v178, 2, v1
	s_movk_i32 s2, 0x10c0
	v_add_co_u32_e32 v233, vcc, v42, v7
	s_add_i32 s26, s7, -2
	v_add_u32_e32 v181, 0x4300, v177
	v_add_u32_e32 v183, 0x4700, v177
	v_mad_u32_u24 v184, v1, s2, v177
	v_cmp_gt_u32_e64 s[2:3], 64, v44
	v_or_b32_e32 v188, 1, v178
	v_or_b32_e32 v189, 2, v178
	;; [unrolled: 1-line block ×3, first 2 shown]
	v_add_u32_e32 v191, 16, v178
	v_add_u32_e32 v192, 17, v178
	v_add_u32_e32 v193, 18, v178
	v_add_u32_e32 v194, 19, v178
	v_add_u32_e32 v195, 32, v178
	v_add_u32_e32 v196, 33, v178
	v_add_u32_e32 v197, 34, v178
	v_add_u32_e32 v198, 35, v178
	v_add_u32_e32 v199, 48, v178
	v_add_u32_e32 v200, 49, v178
	v_add_u32_e32 v201, 50, v178
	v_add_u32_e32 v202, 51, v178
	s_add_i32 s27, s28, 64
	v_mov_b32_e32 v6, 0
	s_lshl_b64 s[10:11], s[22:23], 10
	v_addc_co_u32_e32 v234, vcc, v43, v8, vcc
	v_add_u32_e32 v235, v185, v11
	s_cmp_eq_u32 s26, s6
	s_cselect_b32 s22, s25, 0
	s_and_saveexec_b64 s[4:5], s[0:1]
	s_cbranch_execz .LBB188_102
	s_branch .LBB188_98
.LBB188_97:                             ;   in Loop: Header=BB188_102 Depth=1
	s_mov_b32 s6, s4
	s_cmp_eq_u32 s26, s6
	s_cselect_b32 s22, s25, 0
	s_and_saveexec_b64 s[4:5], s[0:1]
	s_cbranch_execz .LBB188_102
.LBB188_98:
	s_cmp_lg_u32 s22, 0
	s_cselect_b64 s[8:9], -1, 0
	v_cmp_le_i32_e32 vcc, s22, v0
	s_and_b64 s[8:9], s[8:9], vcc
	s_and_saveexec_b64 s[12:13], s[8:9]
	s_xor_b64 s[8:9], exec, s[12:13]
; %bb.99:
	v_mov_b32_e32 v7, v6
	v_mov_b32_e32 v8, v6
	;; [unrolled: 1-line block ×3, first 2 shown]
	ds_write_b128 v181, v[6:9]
; %bb.100:
	s_andn2_saveexec_b64 s[8:9], s[8:9]
	s_cbranch_execz .LBB188_102
; %bb.101:
	s_ashr_i32 s8, s27, 31
	s_mul_hi_u32 s9, s16, s27
	s_mul_i32 s8, s16, s8
	s_add_i32 s8, s9, s8
	s_mul_i32 s9, s17, s27
	s_add_i32 s9, s8, s9
	s_mul_i32 s8, s16, s27
	s_lshl_b64 s[8:9], s[8:9], 4
	v_mov_b32_e32 v8, s9
	v_add_co_u32_e32 v7, vcc, s8, v179
	v_addc_co_u32_e32 v8, vcc, v180, v8, vcc
	flat_load_dwordx4 v[7:10], v[7:8]
	s_waitcnt vmcnt(0) lgkmcnt(0)
	ds_write2_b64 v181, v[7:8], v[9:10] offset1:1
.LBB188_102:                            ; =>This Inner Loop Header: Depth=1
	s_or_b64 exec, exec, s[4:5]
	s_cmp_eq_u32 s22, 0
	v_add_co_u32_e32 v19, vcc, v211, v177
	s_cselect_b64 s[12:13], -1, 0
	s_cmp_lg_u32 s22, 0
	v_addc_co_u32_e32 v20, vcc, 0, v212, vcc
	s_cselect_b64 s[8:9], -1, 0
	s_and_b64 vcc, exec, s[8:9]
	s_waitcnt lgkmcnt(0)
	s_barrier
	s_cbranch_vccz .LBB188_110
; %bb.103:                              ;   in Loop: Header=BB188_102 Depth=1
	v_mov_b32_e32 v11, 0
	v_mov_b32_e32 v7, 0
	;; [unrolled: 1-line block ×6, first 2 shown]
	v_cmp_gt_i32_e32 vcc, s22, v178
	s_and_saveexec_b64 s[4:5], vcc
	s_cbranch_execz .LBB188_105
; %bb.104:                              ;   in Loop: Header=BB188_102 Depth=1
	flat_load_dwordx4 v[7:10], v[19:20]
.LBB188_105:                            ;   in Loop: Header=BB188_102 Depth=1
	s_or_b64 exec, exec, s[4:5]
	v_mov_b32_e32 v13, 0
	v_mov_b32_e32 v14, 0
	v_cmp_gt_i32_e32 vcc, s22, v188
	s_and_saveexec_b64 s[4:5], vcc
	s_cbranch_execz .LBB188_107
; %bb.106:                              ;   in Loop: Header=BB188_102 Depth=1
	v_add_co_u32_e32 v11, vcc, v207, v177
	v_addc_co_u32_e32 v12, vcc, 0, v208, vcc
	flat_load_dwordx4 v[11:14], v[11:12]
.LBB188_107:                            ;   in Loop: Header=BB188_102 Depth=1
	s_or_b64 exec, exec, s[4:5]
	v_mov_b32_e32 v15, 0
	v_mov_b32_e32 v17, 0
	;; [unrolled: 1-line block ×4, first 2 shown]
	v_cmp_gt_i32_e32 vcc, s22, v189
	s_and_saveexec_b64 s[4:5], vcc
	s_cbranch_execz .LBB188_109
; %bb.108:                              ;   in Loop: Header=BB188_102 Depth=1
	v_add_co_u32_e32 v15, vcc, v203, v177
	v_addc_co_u32_e32 v16, vcc, 0, v204, vcc
	flat_load_dwordx4 v[15:18], v[15:16]
.LBB188_109:                            ;   in Loop: Header=BB188_102 Depth=1
	s_or_b64 exec, exec, s[4:5]
	v_cmp_gt_i32_e64 s[4:5], s22, v190
	s_branch .LBB188_112
.LBB188_110:                            ;   in Loop: Header=BB188_102 Depth=1
	s_mov_b64 s[4:5], 0
                                        ; implicit-def: $vgpr17_vgpr18
                                        ; implicit-def: $vgpr13_vgpr14
                                        ; implicit-def: $vgpr9_vgpr10
	s_cbranch_execz .LBB188_112
; %bb.111:                              ;   in Loop: Header=BB188_102 Depth=1
	s_waitcnt vmcnt(0) lgkmcnt(0)
	v_add_co_u32_e32 v11, vcc, v207, v177
	v_addc_co_u32_e32 v12, vcc, 0, v208, vcc
	v_add_co_u32_e32 v15, vcc, v203, v177
	v_addc_co_u32_e32 v16, vcc, 0, v204, vcc
	flat_load_dwordx4 v[7:10], v[19:20]
	s_or_b64 s[4:5], s[4:5], exec
	flat_load_dwordx4 v[11:14], v[11:12]
	s_nop 0
	flat_load_dwordx4 v[15:18], v[15:16]
.LBB188_112:                            ;   in Loop: Header=BB188_102 Depth=1
	v_mov_b32_e32 v19, 0
	v_mov_b32_e32 v21, 0
	;; [unrolled: 1-line block ×4, first 2 shown]
	s_and_saveexec_b64 s[14:15], s[4:5]
	s_cbranch_execz .LBB188_114
; %bb.113:                              ;   in Loop: Header=BB188_102 Depth=1
	v_add_co_u32_e32 v19, vcc, v215, v177
	v_addc_co_u32_e32 v20, vcc, 0, v216, vcc
	flat_load_dwordx4 v[19:22], v[19:20]
.LBB188_114:                            ;   in Loop: Header=BB188_102 Depth=1
	s_or_b64 exec, exec, s[14:15]
	ds_read_b128 v[23:26], v183
	s_andn2_b64 vcc, exec, s[8:9]
	s_waitcnt vmcnt(0) lgkmcnt(0)
	v_mul_f64 v[27:28], v[9:10], v[25:26]
	v_mul_f64 v[29:30], v[7:8], v[25:26]
	;; [unrolled: 1-line block ×8, first 2 shown]
	v_fma_f64 v[27:28], v[7:8], v[23:24], -v[27:28]
	v_fma_f64 v[29:30], v[9:10], v[23:24], v[29:30]
	v_fma_f64 v[31:32], v[11:12], v[23:24], -v[31:32]
	v_fma_f64 v[33:34], v[13:14], v[23:24], v[33:34]
	;; [unrolled: 2-line block ×4, first 2 shown]
	ds_read_b128 v[47:50], v182
	ds_read_b128 v[43:46], v182 offset:16
	ds_read_b128 v[35:38], v182 offset:32
	;; [unrolled: 1-line block ×3, first 2 shown]
	ds_write_b128 v184, v[27:30]
	ds_write_b128 v184, v[31:34] offset:1072
	ds_write_b128 v184, v[39:42] offset:2144
	;; [unrolled: 1-line block ×3, first 2 shown]
	s_waitcnt lgkmcnt(0)
	s_barrier
	ds_read_b128 v[95:98], v185
	ds_read_b128 v[91:94], v185 offset:16
	ds_read_b128 v[87:90], v185 offset:32
	;; [unrolled: 1-line block ×3, first 2 shown]
	v_cndmask_b32_e64 v27, 0, 1, s[8:9]
	v_add_co_u32_e64 v51, s[8:9], v227, v177
	v_cmp_ne_u32_e64 s[4:5], 1, v27
	v_addc_co_u32_e64 v52, s[8:9], 0, v228, s[8:9]
	s_waitcnt lgkmcnt(0)
	s_barrier
	s_cbranch_vccnz .LBB188_122
; %bb.115:                              ;   in Loop: Header=BB188_102 Depth=1
	v_mov_b32_e32 v27, 0
	v_mov_b32_e32 v31, 0
	;; [unrolled: 1-line block ×6, first 2 shown]
	v_cmp_gt_i32_e32 vcc, s22, v191
	s_and_saveexec_b64 s[8:9], vcc
	s_cbranch_execz .LBB188_117
; %bb.116:                              ;   in Loop: Header=BB188_102 Depth=1
	flat_load_dwordx4 v[31:34], v[51:52]
.LBB188_117:                            ;   in Loop: Header=BB188_102 Depth=1
	s_or_b64 exec, exec, s[8:9]
	v_mov_b32_e32 v29, 0
	v_mov_b32_e32 v30, 0
	v_cmp_gt_i32_e32 vcc, s22, v192
	s_and_saveexec_b64 s[8:9], vcc
	s_cbranch_execz .LBB188_119
; %bb.118:                              ;   in Loop: Header=BB188_102 Depth=1
	v_add_co_u32_e32 v27, vcc, v223, v177
	v_addc_co_u32_e32 v28, vcc, 0, v224, vcc
	flat_load_dwordx4 v[27:30], v[27:28]
.LBB188_119:                            ;   in Loop: Header=BB188_102 Depth=1
	s_or_b64 exec, exec, s[8:9]
	v_mov_b32_e32 v39, 0
	v_mov_b32_e32 v41, 0
	;; [unrolled: 1-line block ×4, first 2 shown]
	v_cmp_gt_i32_e32 vcc, s22, v193
	s_and_saveexec_b64 s[8:9], vcc
	s_cbranch_execz .LBB188_121
; %bb.120:                              ;   in Loop: Header=BB188_102 Depth=1
	v_add_co_u32_e32 v39, vcc, v217, v177
	v_addc_co_u32_e32 v40, vcc, 0, v218, vcc
	flat_load_dwordx4 v[39:42], v[39:40]
.LBB188_121:                            ;   in Loop: Header=BB188_102 Depth=1
	s_or_b64 exec, exec, s[8:9]
	v_cmp_gt_i32_e64 s[8:9], s22, v194
	s_branch .LBB188_124
.LBB188_122:                            ;   in Loop: Header=BB188_102 Depth=1
	s_mov_b64 s[8:9], 0
                                        ; implicit-def: $vgpr41_vgpr42
                                        ; implicit-def: $vgpr29_vgpr30
                                        ; implicit-def: $vgpr33_vgpr34
	s_cbranch_execz .LBB188_124
; %bb.123:                              ;   in Loop: Header=BB188_102 Depth=1
	s_waitcnt vmcnt(0) lgkmcnt(0)
	v_add_co_u32_e32 v27, vcc, v223, v177
	v_addc_co_u32_e32 v28, vcc, 0, v224, vcc
	v_add_co_u32_e32 v39, vcc, v217, v177
	v_addc_co_u32_e32 v40, vcc, 0, v218, vcc
	flat_load_dwordx4 v[31:34], v[51:52]
	s_or_b64 s[8:9], s[8:9], exec
	flat_load_dwordx4 v[27:30], v[27:28]
	s_nop 0
	flat_load_dwordx4 v[39:42], v[39:40]
.LBB188_124:                            ;   in Loop: Header=BB188_102 Depth=1
	v_mov_b32_e32 v51, 0
	v_mov_b32_e32 v53, 0
	v_mov_b32_e32 v52, 0
	v_mov_b32_e32 v54, 0
	s_and_saveexec_b64 s[14:15], s[8:9]
	s_cbranch_execz .LBB188_126
; %bb.125:                              ;   in Loop: Header=BB188_102 Depth=1
	v_add_co_u32_e32 v51, vcc, v231, v177
	v_addc_co_u32_e32 v52, vcc, 0, v232, vcc
	flat_load_dwordx4 v[51:54], v[51:52]
.LBB188_126:                            ;   in Loop: Header=BB188_102 Depth=1
	s_or_b64 exec, exec, s[14:15]
	ds_read_b128 v[55:58], v183
	s_and_b64 vcc, exec, s[4:5]
	s_waitcnt vmcnt(0) lgkmcnt(0)
	v_mul_f64 v[59:60], v[33:34], v[57:58]
	v_mul_f64 v[61:62], v[31:32], v[57:58]
	;; [unrolled: 1-line block ×8, first 2 shown]
	v_fma_f64 v[63:64], v[31:32], v[55:56], -v[59:60]
	v_fma_f64 v[65:66], v[33:34], v[55:56], v[61:62]
	v_fma_f64 v[67:68], v[27:28], v[55:56], -v[67:68]
	v_fma_f64 v[69:70], v[29:30], v[55:56], v[69:70]
	;; [unrolled: 2-line block ×4, first 2 shown]
	ds_read_b128 v[75:78], v182 offset:256
	ds_read_b128 v[71:74], v182 offset:272
	;; [unrolled: 1-line block ×4, first 2 shown]
	ds_write_b128 v184, v[63:66]
	ds_write_b128 v184, v[67:70] offset:1072
	ds_write_b128 v184, v[79:82] offset:2144
	;; [unrolled: 1-line block ×3, first 2 shown]
	s_waitcnt lgkmcnt(0)
	s_barrier
	ds_read_b128 v[147:150], v185
	ds_read_b128 v[139:142], v185 offset:16
	ds_read_b128 v[135:138], v185 offset:32
	ds_read_b128 v[131:134], v185 offset:48
	v_add_co_u32_e64 v99, s[8:9], v225, v177
	v_addc_co_u32_e64 v100, s[8:9], 0, v226, s[8:9]
	s_waitcnt lgkmcnt(0)
	s_barrier
	s_cbranch_vccnz .LBB188_134
; %bb.127:                              ;   in Loop: Header=BB188_102 Depth=1
	v_mov_b32_e32 v67, 0
	v_mov_b32_e32 v63, 0
	;; [unrolled: 1-line block ×6, first 2 shown]
	v_cmp_gt_i32_e32 vcc, s22, v195
	s_and_saveexec_b64 s[8:9], vcc
	s_cbranch_execz .LBB188_129
; %bb.128:                              ;   in Loop: Header=BB188_102 Depth=1
	flat_load_dwordx4 v[63:66], v[99:100]
.LBB188_129:                            ;   in Loop: Header=BB188_102 Depth=1
	s_or_b64 exec, exec, s[8:9]
	v_mov_b32_e32 v69, 0
	v_mov_b32_e32 v70, 0
	v_cmp_gt_i32_e32 vcc, s22, v196
	s_and_saveexec_b64 s[8:9], vcc
	s_cbranch_execz .LBB188_131
; %bb.130:                              ;   in Loop: Header=BB188_102 Depth=1
	v_add_co_u32_e32 v67, vcc, v229, v177
	v_addc_co_u32_e32 v68, vcc, 0, v230, vcc
	flat_load_dwordx4 v[67:70], v[67:68]
.LBB188_131:                            ;   in Loop: Header=BB188_102 Depth=1
	s_or_b64 exec, exec, s[8:9]
	v_mov_b32_e32 v79, 0
	v_mov_b32_e32 v81, 0
	;; [unrolled: 1-line block ×4, first 2 shown]
	v_cmp_gt_i32_e32 vcc, s22, v197
	s_and_saveexec_b64 s[8:9], vcc
	s_cbranch_execz .LBB188_133
; %bb.132:                              ;   in Loop: Header=BB188_102 Depth=1
	v_add_co_u32_e32 v79, vcc, v233, v177
	v_addc_co_u32_e32 v80, vcc, 0, v234, vcc
	flat_load_dwordx4 v[79:82], v[79:80]
.LBB188_133:                            ;   in Loop: Header=BB188_102 Depth=1
	s_or_b64 exec, exec, s[8:9]
	v_cmp_gt_i32_e64 s[8:9], s22, v198
	s_branch .LBB188_136
.LBB188_134:                            ;   in Loop: Header=BB188_102 Depth=1
	s_mov_b64 s[8:9], 0
                                        ; implicit-def: $vgpr81_vgpr82
                                        ; implicit-def: $vgpr69_vgpr70
                                        ; implicit-def: $vgpr65_vgpr66
	s_cbranch_execz .LBB188_136
; %bb.135:                              ;   in Loop: Header=BB188_102 Depth=1
	s_waitcnt vmcnt(0) lgkmcnt(0)
	v_add_co_u32_e32 v67, vcc, v229, v177
	v_addc_co_u32_e32 v68, vcc, 0, v230, vcc
	v_add_co_u32_e32 v79, vcc, v233, v177
	v_addc_co_u32_e32 v80, vcc, 0, v234, vcc
	flat_load_dwordx4 v[63:66], v[99:100]
	s_or_b64 s[8:9], s[8:9], exec
	flat_load_dwordx4 v[67:70], v[67:68]
	s_nop 0
	flat_load_dwordx4 v[79:82], v[79:80]
.LBB188_136:                            ;   in Loop: Header=BB188_102 Depth=1
	v_mov_b32_e32 v99, 0
	v_mov_b32_e32 v101, 0
	;; [unrolled: 1-line block ×4, first 2 shown]
	s_and_saveexec_b64 s[14:15], s[8:9]
	s_cbranch_execz .LBB188_138
; %bb.137:                              ;   in Loop: Header=BB188_102 Depth=1
	v_add_co_u32_e32 v99, vcc, v221, v177
	v_addc_co_u32_e32 v100, vcc, 0, v222, vcc
	flat_load_dwordx4 v[99:102], v[99:100]
.LBB188_138:                            ;   in Loop: Header=BB188_102 Depth=1
	s_or_b64 exec, exec, s[14:15]
	ds_read_b128 v[103:106], v183
	s_and_b64 vcc, exec, s[4:5]
	s_waitcnt vmcnt(0) lgkmcnt(0)
	v_mul_f64 v[107:108], v[65:66], v[105:106]
	v_mul_f64 v[109:110], v[63:64], v[105:106]
	;; [unrolled: 1-line block ×8, first 2 shown]
	v_fma_f64 v[119:120], v[63:64], v[103:104], -v[107:108]
	v_fma_f64 v[121:122], v[65:66], v[103:104], v[109:110]
	v_fma_f64 v[123:124], v[67:68], v[103:104], -v[111:112]
	v_fma_f64 v[125:126], v[69:70], v[103:104], v[113:114]
	;; [unrolled: 2-line block ×4, first 2 shown]
	ds_read_b128 v[115:118], v182 offset:512
	ds_read_b128 v[111:114], v182 offset:528
	;; [unrolled: 1-line block ×4, first 2 shown]
	ds_write_b128 v184, v[119:122]
	ds_write_b128 v184, v[123:126] offset:1072
	ds_write_b128 v184, v[127:130] offset:2144
	;; [unrolled: 1-line block ×3, first 2 shown]
	s_waitcnt lgkmcnt(0)
	s_barrier
	ds_read_b128 v[155:158], v185
	ds_read_b128 v[151:154], v185 offset:16
	ds_read_b128 v[171:174], v185 offset:32
	;; [unrolled: 1-line block ×3, first 2 shown]
	v_add_co_u32_e64 v143, s[4:5], v209, v177
	v_addc_co_u32_e64 v144, s[4:5], 0, v210, s[4:5]
	s_waitcnt lgkmcnt(0)
	s_barrier
	s_cbranch_vccnz .LBB188_146
; %bb.139:                              ;   in Loop: Header=BB188_102 Depth=1
	v_mov_b32_e32 v123, 0
	v_mov_b32_e32 v119, 0
	;; [unrolled: 1-line block ×6, first 2 shown]
	v_cmp_gt_i32_e32 vcc, s22, v199
	s_and_saveexec_b64 s[4:5], vcc
	s_cbranch_execz .LBB188_141
; %bb.140:                              ;   in Loop: Header=BB188_102 Depth=1
	flat_load_dwordx4 v[119:122], v[143:144]
.LBB188_141:                            ;   in Loop: Header=BB188_102 Depth=1
	s_or_b64 exec, exec, s[4:5]
	v_mov_b32_e32 v125, 0
	v_mov_b32_e32 v126, 0
	v_cmp_gt_i32_e32 vcc, s22, v200
	s_and_saveexec_b64 s[4:5], vcc
	s_cbranch_execz .LBB188_143
; %bb.142:                              ;   in Loop: Header=BB188_102 Depth=1
	v_add_co_u32_e32 v123, vcc, v213, v177
	v_addc_co_u32_e32 v124, vcc, 0, v214, vcc
	flat_load_dwordx4 v[123:126], v[123:124]
.LBB188_143:                            ;   in Loop: Header=BB188_102 Depth=1
	s_or_b64 exec, exec, s[4:5]
	v_mov_b32_e32 v127, 0
	v_mov_b32_e32 v129, 0
	v_mov_b32_e32 v128, 0
	v_mov_b32_e32 v130, 0
	v_cmp_gt_i32_e32 vcc, s22, v201
	s_and_saveexec_b64 s[4:5], vcc
	s_cbranch_execz .LBB188_145
; %bb.144:                              ;   in Loop: Header=BB188_102 Depth=1
	v_add_co_u32_e32 v127, vcc, v219, v177
	v_addc_co_u32_e32 v128, vcc, 0, v220, vcc
	flat_load_dwordx4 v[127:130], v[127:128]
.LBB188_145:                            ;   in Loop: Header=BB188_102 Depth=1
	s_or_b64 exec, exec, s[4:5]
	v_cmp_gt_i32_e64 s[4:5], s22, v202
	s_branch .LBB188_148
.LBB188_146:                            ;   in Loop: Header=BB188_102 Depth=1
	s_mov_b64 s[4:5], 0
                                        ; implicit-def: $vgpr129_vgpr130
                                        ; implicit-def: $vgpr125_vgpr126
                                        ; implicit-def: $vgpr121_vgpr122
	s_cbranch_execz .LBB188_148
; %bb.147:                              ;   in Loop: Header=BB188_102 Depth=1
	s_waitcnt vmcnt(0) lgkmcnt(0)
	v_add_co_u32_e32 v123, vcc, v213, v177
	v_addc_co_u32_e32 v124, vcc, 0, v214, vcc
	v_add_co_u32_e32 v127, vcc, v219, v177
	v_addc_co_u32_e32 v128, vcc, 0, v220, vcc
	flat_load_dwordx4 v[119:122], v[143:144]
	s_or_b64 s[4:5], s[4:5], exec
	flat_load_dwordx4 v[123:126], v[123:124]
	s_nop 0
	flat_load_dwordx4 v[127:130], v[127:128]
.LBB188_148:                            ;   in Loop: Header=BB188_102 Depth=1
	v_mov_b32_e32 v143, 0
	v_mov_b32_e32 v145, 0
	;; [unrolled: 1-line block ×4, first 2 shown]
	s_and_saveexec_b64 s[8:9], s[4:5]
	s_cbranch_execz .LBB188_150
; %bb.149:                              ;   in Loop: Header=BB188_102 Depth=1
	v_add_co_u32_e32 v143, vcc, v205, v177
	v_addc_co_u32_e32 v144, vcc, 0, v206, vcc
	flat_load_dwordx4 v[143:146], v[143:144]
.LBB188_150:                            ;   in Loop: Header=BB188_102 Depth=1
	s_or_b64 exec, exec, s[8:9]
	v_add_f64 v[155:156], v[155:156], 0
	v_add_f64 v[157:158], v[157:158], 0
	ds_read_b128 v[159:162], v183
	v_add_f64 v[147:148], v[147:148], 0
	v_add_f64 v[149:150], v[149:150], 0
	v_cmp_gt_i32_e32 vcc, s22, v0
	s_or_b64 s[4:5], s[12:13], vcc
	s_waitcnt vmcnt(0) lgkmcnt(0)
	v_mul_f64 v[163:164], v[121:122], v[161:162]
	v_mul_f64 v[165:166], v[119:120], v[161:162]
	;; [unrolled: 1-line block ×3, first 2 shown]
	v_add_f64 v[252:253], v[155:156], v[151:152]
	v_mul_f64 v[151:152], v[123:124], v[161:162]
	v_add_f64 v[254:255], v[157:158], v[153:154]
	v_mul_f64 v[153:154], v[129:130], v[161:162]
	v_mul_f64 v[155:156], v[127:128], v[161:162]
	;; [unrolled: 1-line block ×4, first 2 shown]
	v_fma_f64 v[236:237], v[119:120], v[159:160], -v[163:164]
	v_fma_f64 v[238:239], v[121:122], v[159:160], v[165:166]
	v_fma_f64 v[240:241], v[123:124], v[159:160], -v[240:241]
	v_fma_f64 v[242:243], v[125:126], v[159:160], v[151:152]
	;; [unrolled: 2-line block ×4, first 2 shown]
	ds_read_b128 v[163:166], v182 offset:768
	ds_read_b128 v[159:162], v182 offset:784
	;; [unrolled: 1-line block ×4, first 2 shown]
	ds_write_b128 v184, v[236:239]
	ds_write_b128 v184, v[240:243] offset:1072
	ds_write_b128 v184, v[244:247] offset:2144
	;; [unrolled: 1-line block ×3, first 2 shown]
	s_waitcnt lgkmcnt(0)
	s_barrier
	ds_read_b128 v[236:239], v185
	v_add_f64 v[240:241], v[95:96], 0
	v_add_f64 v[242:243], v[97:98], 0
	ds_read_b128 v[95:98], v185 offset:16
	v_add_f64 v[139:140], v[147:148], v[139:140]
	s_waitcnt lgkmcnt(1)
	v_add_f64 v[236:237], v[236:237], 0
	v_add_f64 v[238:239], v[238:239], 0
	;; [unrolled: 1-line block ×6, first 2 shown]
	ds_read_b128 v[91:94], v185 offset:32
	v_add_f64 v[135:136], v[139:140], v[135:136]
	s_waitcnt lgkmcnt(1)
	v_add_f64 v[95:96], v[236:237], v[95:96]
	v_add_f64 v[97:98], v[238:239], v[97:98]
	;; [unrolled: 1-line block ×6, first 2 shown]
	ds_read_b128 v[87:90], v185 offset:48
	s_and_b64 s[8:9], s[2:3], s[4:5]
	s_waitcnt lgkmcnt(1)
	v_add_f64 v[149:150], v[95:96], v[91:92]
	v_add_f64 v[171:172], v[97:98], v[93:94]
	;; [unrolled: 1-line block ×8, first 2 shown]
	s_waitcnt lgkmcnt(0)
	v_add_f64 v[87:88], v[149:150], v[87:88]
	v_add_f64 v[89:90], v[171:172], v[89:90]
	s_barrier
	ds_write_b128 v235, v[83:86]
	ds_write_b128 v235, v[95:98] offset:256
	ds_write_b128 v235, v[91:94] offset:512
	ds_write_b128 v235, v[87:90] offset:768
	s_waitcnt lgkmcnt(0)
	s_barrier
	s_and_saveexec_b64 s[4:5], s[8:9]
	s_cbranch_execz .LBB188_152
; %bb.151:                              ;   in Loop: Header=BB188_102 Depth=1
	ds_read_b128 v[83:86], v186
	ds_read_b128 v[87:90], v186 offset:16
	s_waitcnt lgkmcnt(0)
	v_add_f64 v[91:92], v[87:88], v[83:84]
	v_add_f64 v[93:94], v[89:90], v[85:86]
	ds_read_b128 v[83:86], v186 offset:32
	ds_read_b128 v[87:90], v186 offset:48
	s_waitcnt lgkmcnt(1)
	v_add_f64 v[83:84], v[91:92], v[83:84]
	v_add_f64 v[85:86], v[93:94], v[85:86]
	s_waitcnt lgkmcnt(0)
	v_add_f64 v[91:92], v[83:84], v[87:88]
	v_add_f64 v[93:94], v[85:86], v[89:90]
	ds_read_b128 v[83:86], v186 offset:64
	ds_read_b128 v[87:90], v186 offset:80
	s_waitcnt lgkmcnt(1)
	v_add_f64 v[83:84], v[91:92], v[83:84]
	v_add_f64 v[85:86], v[93:94], v[85:86]
	;; [unrolled: 8-line block ×6, first 2 shown]
	s_waitcnt lgkmcnt(0)
	v_add_f64 v[91:92], v[83:84], v[87:88]
	v_add_f64 v[93:94], v[85:86], v[89:90]
	ds_read_b128 v[83:86], v186 offset:224
	ds_read_b128 v[87:90], v187
	s_waitcnt lgkmcnt(1)
	v_add_f64 v[83:84], v[91:92], v[83:84]
	v_add_f64 v[85:86], v[93:94], v[85:86]
	s_waitcnt lgkmcnt(0)
	v_add_f64 v[83:84], v[83:84], v[87:88]
	v_add_f64 v[85:86], v[85:86], v[89:90]
	v_add_u32_e32 v87, s27, v0
	v_ashrrev_i32_e32 v88, 31, v87
	v_lshlrev_b64 v[87:88], 4, v[87:88]
	v_mov_b32_e32 v89, s24
	v_add_co_u32_e32 v87, vcc, s19, v87
	v_addc_co_u32_e32 v88, vcc, v89, v88, vcc
	global_store_dwordx4 v[87:88], v[83:86], off
.LBB188_152:                            ;   in Loop: Header=BB188_102 Depth=1
	s_or_b64 exec, exec, s[4:5]
	v_mul_f64 v[83:84], v[9:10], v[49:50]
	v_mul_f64 v[49:50], v[7:8], v[49:50]
	;; [unrolled: 1-line block ×4, first 2 shown]
	v_add_co_u32_e32 v203, vcc, s10, v203
	s_add_i32 s4, s6, 1
	s_add_i32 s27, s27, 64
	v_fma_f64 v[7:8], v[7:8], v[47:48], -v[83:84]
	v_fma_f64 v[9:10], v[9:10], v[47:48], v[49:50]
	v_mul_f64 v[47:48], v[17:18], v[37:38]
	v_mul_f64 v[37:38], v[15:16], v[37:38]
	v_fma_f64 v[11:12], v[11:12], v[43:44], -v[85:86]
	v_fma_f64 v[13:14], v[13:14], v[43:44], v[45:46]
	v_mul_f64 v[49:50], v[21:22], v[25:26]
	v_mul_f64 v[43:44], v[29:30], v[73:74]
	v_add_f64 v[2:3], v[2:3], v[7:8]
	v_add_f64 v[4:5], v[4:5], v[9:10]
	v_mul_f64 v[7:8], v[19:20], v[25:26]
	v_fma_f64 v[15:16], v[15:16], v[35:36], -v[47:48]
	v_fma_f64 v[17:18], v[17:18], v[35:36], v[37:38]
	v_mul_f64 v[9:10], v[33:34], v[77:78]
	v_mul_f64 v[25:26], v[31:32], v[77:78]
	v_fma_f64 v[19:20], v[19:20], v[23:24], -v[49:50]
	v_add_f64 v[2:3], v[2:3], v[11:12]
	v_add_f64 v[4:5], v[4:5], v[13:14]
	v_fma_f64 v[7:8], v[21:22], v[23:24], v[7:8]
	v_mul_f64 v[11:12], v[27:28], v[73:74]
	v_mul_f64 v[13:14], v[41:42], v[61:62]
	v_fma_f64 v[9:10], v[31:32], v[75:76], -v[9:10]
	v_fma_f64 v[25:26], v[33:34], v[75:76], v[25:26]
	v_mul_f64 v[35:36], v[39:40], v[61:62]
	v_add_f64 v[2:3], v[2:3], v[15:16]
	v_add_f64 v[4:5], v[4:5], v[17:18]
	v_fma_f64 v[27:28], v[27:28], v[71:72], -v[43:44]
	v_fma_f64 v[11:12], v[29:30], v[71:72], v[11:12]
	v_mul_f64 v[37:38], v[53:54], v[57:58]
	v_mul_f64 v[15:16], v[51:52], v[57:58]
	v_fma_f64 v[13:14], v[39:40], v[59:60], -v[13:14]
	v_fma_f64 v[35:36], v[41:42], v[59:60], v[35:36]
	v_add_f64 v[2:3], v[2:3], v[19:20]
	v_add_f64 v[4:5], v[4:5], v[7:8]
	v_mul_f64 v[17:18], v[65:66], v[117:118]
	v_mul_f64 v[21:22], v[63:64], v[117:118]
	v_fma_f64 v[37:38], v[51:52], v[55:56], -v[37:38]
	v_fma_f64 v[15:16], v[53:54], v[55:56], v[15:16]
	v_mul_f64 v[23:24], v[69:70], v[113:114]
	v_mul_f64 v[7:8], v[67:68], v[113:114]
	v_add_f64 v[2:3], v[2:3], v[9:10]
	v_add_f64 v[4:5], v[4:5], v[25:26]
	v_fma_f64 v[17:18], v[63:64], v[115:116], -v[17:18]
	v_fma_f64 v[21:22], v[65:66], v[115:116], v[21:22]
	v_mul_f64 v[19:20], v[81:82], v[109:110]
	v_mul_f64 v[31:32], v[79:80], v[109:110]
	;; [unrolled: 1-line block ×3, first 2 shown]
	v_fma_f64 v[7:8], v[69:70], v[111:112], v[7:8]
	v_add_f64 v[2:3], v[2:3], v[27:28]
	v_add_f64 v[4:5], v[4:5], v[11:12]
	v_mul_f64 v[9:10], v[99:100], v[105:106]
	v_mul_f64 v[25:26], v[121:122], v[165:166]
	;; [unrolled: 1-line block ×6, first 2 shown]
	v_add_f64 v[2:3], v[2:3], v[13:14]
	v_add_f64 v[4:5], v[4:5], v[35:36]
	v_fma_f64 v[9:10], v[101:102], v[103:104], v[9:10]
	v_mul_f64 v[39:40], v[127:128], v[157:158]
	v_mov_b32_e32 v35, s11
	v_addc_co_u32_e32 v204, vcc, v204, v35, vcc
	v_add_co_u32_e32 v205, vcc, s10, v205
	v_add_f64 v[2:3], v[2:3], v[37:38]
	v_add_f64 v[4:5], v[4:5], v[15:16]
	v_fma_f64 v[15:16], v[67:68], v[111:112], -v[23:24]
	v_addc_co_u32_e32 v206, vcc, v206, v35, vcc
	v_add_co_u32_e32 v207, vcc, s10, v207
	v_addc_co_u32_e32 v208, vcc, v208, v35, vcc
	v_add_f64 v[2:3], v[2:3], v[17:18]
	v_add_f64 v[4:5], v[4:5], v[21:22]
	v_fma_f64 v[17:18], v[79:80], v[107:108], -v[19:20]
	v_fma_f64 v[19:20], v[81:82], v[107:108], v[31:32]
	v_add_co_u32_e32 v209, vcc, s10, v209
	v_addc_co_u32_e32 v210, vcc, v210, v35, vcc
	v_add_f64 v[2:3], v[2:3], v[15:16]
	v_add_f64 v[4:5], v[4:5], v[7:8]
	v_fma_f64 v[7:8], v[99:100], v[103:104], -v[33:34]
	v_fma_f64 v[15:16], v[119:120], v[163:164], -v[25:26]
	v_mul_f64 v[41:42], v[145:146], v[153:154]
	v_mul_f64 v[13:14], v[143:144], v[153:154]
	v_add_co_u32_e32 v211, vcc, s10, v211
	v_add_f64 v[2:3], v[2:3], v[17:18]
	v_add_f64 v[4:5], v[4:5], v[19:20]
	v_fma_f64 v[17:18], v[121:122], v[163:164], v[29:30]
	v_addc_co_u32_e32 v212, vcc, v212, v35, vcc
	v_add_co_u32_e32 v213, vcc, s10, v213
	v_addc_co_u32_e32 v214, vcc, v214, v35, vcc
	v_add_f64 v[2:3], v[2:3], v[7:8]
	v_add_f64 v[4:5], v[4:5], v[9:10]
	v_fma_f64 v[7:8], v[123:124], v[159:160], -v[43:44]
	v_fma_f64 v[9:10], v[125:126], v[159:160], v[11:12]
	v_fma_f64 v[11:12], v[127:128], v[155:156], -v[27:28]
	v_add_co_u32_e32 v215, vcc, s10, v215
	v_addc_co_u32_e32 v216, vcc, v216, v35, vcc
	v_add_f64 v[2:3], v[2:3], v[15:16]
	v_add_f64 v[4:5], v[4:5], v[17:18]
	v_fma_f64 v[15:16], v[129:130], v[155:156], v[39:40]
	v_add_co_u32_e32 v217, vcc, s10, v217
	v_addc_co_u32_e32 v218, vcc, v218, v35, vcc
	v_add_co_u32_e32 v219, vcc, s10, v219
	v_add_f64 v[2:3], v[2:3], v[7:8]
	v_add_f64 v[4:5], v[4:5], v[9:10]
	v_fma_f64 v[7:8], v[143:144], v[151:152], -v[41:42]
	v_fma_f64 v[9:10], v[145:146], v[151:152], v[13:14]
	v_addc_co_u32_e32 v220, vcc, v220, v35, vcc
	v_add_co_u32_e32 v221, vcc, s10, v221
	v_add_f64 v[2:3], v[2:3], v[11:12]
	v_add_f64 v[4:5], v[4:5], v[15:16]
	v_addc_co_u32_e32 v222, vcc, v222, v35, vcc
	v_add_co_u32_e32 v223, vcc, s10, v223
	v_addc_co_u32_e32 v224, vcc, v224, v35, vcc
	v_add_co_u32_e32 v225, vcc, s10, v225
	v_addc_co_u32_e32 v226, vcc, v226, v35, vcc
	v_add_f64 v[2:3], v[2:3], v[7:8]
	v_add_f64 v[4:5], v[4:5], v[9:10]
	v_add_co_u32_e32 v227, vcc, s10, v227
	v_addc_co_u32_e32 v228, vcc, v228, v35, vcc
	v_add_co_u32_e32 v229, vcc, s10, v229
	v_addc_co_u32_e32 v230, vcc, v230, v35, vcc
	v_add_co_u32_e32 v231, vcc, s10, v231
	v_addc_co_u32_e32 v232, vcc, v232, v35, vcc
	s_add_i32 s5, s6, 2
	v_add_co_u32_e32 v233, vcc, s10, v233
	s_cmp_ge_u32 s5, s7
	v_addc_co_u32_e32 v234, vcc, v234, v35, vcc
	s_waitcnt vmcnt(0)
	s_barrier
	s_cbranch_scc0 .LBB188_97
.LBB188_153:
	s_movk_i32 s2, 0x430
	v_cmp_gt_i32_e32 vcc, s18, v0
	v_mad_u32_u24 v1, v1, s2, v177
	s_or_b64 s[2:3], s[20:21], vcc
	s_and_b64 s[0:1], s[0:1], s[2:3]
	ds_write_b128 v1, v[2:5]
	s_waitcnt lgkmcnt(0)
	s_barrier
	s_and_saveexec_b64 s[2:3], s[0:1]
	s_cbranch_execz .LBB188_155
; %bb.154:
	ds_read_b128 v[0:3], v177 offset:1072
	ds_read_b128 v[4:7], v177
	s_waitcnt lgkmcnt(0)
	v_add_f64 v[8:9], v[0:1], v[4:5]
	v_add_f64 v[10:11], v[2:3], v[6:7]
	ds_read_b128 v[0:3], v177 offset:2144
	ds_read_b128 v[4:7], v177 offset:3216
	s_waitcnt lgkmcnt(1)
	v_add_f64 v[0:1], v[8:9], v[0:1]
	v_add_f64 v[2:3], v[10:11], v[2:3]
	s_waitcnt lgkmcnt(0)
	v_add_f64 v[0:1], v[0:1], v[4:5]
	v_add_f64 v[2:3], v[2:3], v[6:7]
	v_lshlrev_b64 v[4:5], 4, v[175:176]
	v_mov_b32_e32 v6, s24
	v_add_co_u32_e32 v4, vcc, s19, v4
	v_addc_co_u32_e32 v5, vcc, v6, v5, vcc
	global_store_dwordx4 v[4:5], v[0:3], off
.LBB188_155:
	s_endpgm
	.section	.rodata,"a",@progbits
	.p2align	6, 0x0
	.amdhsa_kernel _ZL26rocblas_hemvn_kernel_upperILb0ELi64ELi4ELi33ELi32ELi16ElPK19rocblas_complex_numIdEPKS3_PS1_EviT6_lT7_lT5_lS8_lS9_lS7_lT8_i
		.amdhsa_group_segment_fixed_size 19200
		.amdhsa_private_segment_fixed_size 0
		.amdhsa_kernarg_size 376
		.amdhsa_user_sgpr_count 6
		.amdhsa_user_sgpr_private_segment_buffer 1
		.amdhsa_user_sgpr_dispatch_ptr 0
		.amdhsa_user_sgpr_queue_ptr 0
		.amdhsa_user_sgpr_kernarg_segment_ptr 1
		.amdhsa_user_sgpr_dispatch_id 0
		.amdhsa_user_sgpr_flat_scratch_init 0
		.amdhsa_user_sgpr_private_segment_size 0
		.amdhsa_uses_dynamic_stack 0
		.amdhsa_system_sgpr_private_segment_wavefront_offset 0
		.amdhsa_system_sgpr_workgroup_id_x 1
		.amdhsa_system_sgpr_workgroup_id_y 0
		.amdhsa_system_sgpr_workgroup_id_z 1
		.amdhsa_system_sgpr_workgroup_info 0
		.amdhsa_system_vgpr_workitem_id 1
		.amdhsa_next_free_vgpr 256
		.amdhsa_next_free_sgpr 98
		.amdhsa_reserve_vcc 1
		.amdhsa_reserve_flat_scratch 0
		.amdhsa_float_round_mode_32 0
		.amdhsa_float_round_mode_16_64 0
		.amdhsa_float_denorm_mode_32 3
		.amdhsa_float_denorm_mode_16_64 3
		.amdhsa_dx10_clamp 1
		.amdhsa_ieee_mode 1
		.amdhsa_fp16_overflow 0
		.amdhsa_exception_fp_ieee_invalid_op 0
		.amdhsa_exception_fp_denorm_src 0
		.amdhsa_exception_fp_ieee_div_zero 0
		.amdhsa_exception_fp_ieee_overflow 0
		.amdhsa_exception_fp_ieee_underflow 0
		.amdhsa_exception_fp_ieee_inexact 0
		.amdhsa_exception_int_div_zero 0
	.end_amdhsa_kernel
	.section	.text._ZL26rocblas_hemvn_kernel_upperILb0ELi64ELi4ELi33ELi32ELi16ElPK19rocblas_complex_numIdEPKS3_PS1_EviT6_lT7_lT5_lS8_lS9_lS7_lT8_i,"axG",@progbits,_ZL26rocblas_hemvn_kernel_upperILb0ELi64ELi4ELi33ELi32ELi16ElPK19rocblas_complex_numIdEPKS3_PS1_EviT6_lT7_lT5_lS8_lS9_lS7_lT8_i,comdat
.Lfunc_end188:
	.size	_ZL26rocblas_hemvn_kernel_upperILb0ELi64ELi4ELi33ELi32ELi16ElPK19rocblas_complex_numIdEPKS3_PS1_EviT6_lT7_lT5_lS8_lS9_lS7_lT8_i, .Lfunc_end188-_ZL26rocblas_hemvn_kernel_upperILb0ELi64ELi4ELi33ELi32ELi16ElPK19rocblas_complex_numIdEPKS3_PS1_EviT6_lT7_lT5_lS8_lS9_lS7_lT8_i
                                        ; -- End function
	.set _ZL26rocblas_hemvn_kernel_upperILb0ELi64ELi4ELi33ELi32ELi16ElPK19rocblas_complex_numIdEPKS3_PS1_EviT6_lT7_lT5_lS8_lS9_lS7_lT8_i.num_vgpr, 256
	.set _ZL26rocblas_hemvn_kernel_upperILb0ELi64ELi4ELi33ELi32ELi16ElPK19rocblas_complex_numIdEPKS3_PS1_EviT6_lT7_lT5_lS8_lS9_lS7_lT8_i.num_agpr, 0
	.set _ZL26rocblas_hemvn_kernel_upperILb0ELi64ELi4ELi33ELi32ELi16ElPK19rocblas_complex_numIdEPKS3_PS1_EviT6_lT7_lT5_lS8_lS9_lS7_lT8_i.numbered_sgpr, 42
	.set _ZL26rocblas_hemvn_kernel_upperILb0ELi64ELi4ELi33ELi32ELi16ElPK19rocblas_complex_numIdEPKS3_PS1_EviT6_lT7_lT5_lS8_lS9_lS7_lT8_i.num_named_barrier, 0
	.set _ZL26rocblas_hemvn_kernel_upperILb0ELi64ELi4ELi33ELi32ELi16ElPK19rocblas_complex_numIdEPKS3_PS1_EviT6_lT7_lT5_lS8_lS9_lS7_lT8_i.private_seg_size, 0
	.set _ZL26rocblas_hemvn_kernel_upperILb0ELi64ELi4ELi33ELi32ELi16ElPK19rocblas_complex_numIdEPKS3_PS1_EviT6_lT7_lT5_lS8_lS9_lS7_lT8_i.uses_vcc, 1
	.set _ZL26rocblas_hemvn_kernel_upperILb0ELi64ELi4ELi33ELi32ELi16ElPK19rocblas_complex_numIdEPKS3_PS1_EviT6_lT7_lT5_lS8_lS9_lS7_lT8_i.uses_flat_scratch, 0
	.set _ZL26rocblas_hemvn_kernel_upperILb0ELi64ELi4ELi33ELi32ELi16ElPK19rocblas_complex_numIdEPKS3_PS1_EviT6_lT7_lT5_lS8_lS9_lS7_lT8_i.has_dyn_sized_stack, 0
	.set _ZL26rocblas_hemvn_kernel_upperILb0ELi64ELi4ELi33ELi32ELi16ElPK19rocblas_complex_numIdEPKS3_PS1_EviT6_lT7_lT5_lS8_lS9_lS7_lT8_i.has_recursion, 0
	.set _ZL26rocblas_hemvn_kernel_upperILb0ELi64ELi4ELi33ELi32ELi16ElPK19rocblas_complex_numIdEPKS3_PS1_EviT6_lT7_lT5_lS8_lS9_lS7_lT8_i.has_indirect_call, 0
	.section	.AMDGPU.csdata,"",@progbits
; Kernel info:
; codeLenInByte = 10744
; TotalNumSgprs: 46
; NumVgprs: 256
; ScratchSize: 0
; MemoryBound: 1
; FloatMode: 240
; IeeeMode: 1
; LDSByteSize: 19200 bytes/workgroup (compile time only)
; SGPRBlocks: 12
; VGPRBlocks: 63
; NumSGPRsForWavesPerEU: 102
; NumVGPRsForWavesPerEU: 256
; Occupancy: 1
; WaveLimiterHint : 1
; COMPUTE_PGM_RSRC2:SCRATCH_EN: 0
; COMPUTE_PGM_RSRC2:USER_SGPR: 6
; COMPUTE_PGM_RSRC2:TRAP_HANDLER: 0
; COMPUTE_PGM_RSRC2:TGID_X_EN: 1
; COMPUTE_PGM_RSRC2:TGID_Y_EN: 0
; COMPUTE_PGM_RSRC2:TGID_Z_EN: 1
; COMPUTE_PGM_RSRC2:TIDIG_COMP_CNT: 1
	.section	.text._ZL26rocblas_hemvn_kernel_upperILb0ELi64ELi4ELi33ELi32ELi16EiPK19rocblas_complex_numIdEPKS3_PS1_EviT6_lT7_lT5_lS8_lS9_lS7_lT8_i,"axG",@progbits,_ZL26rocblas_hemvn_kernel_upperILb0ELi64ELi4ELi33ELi32ELi16EiPK19rocblas_complex_numIdEPKS3_PS1_EviT6_lT7_lT5_lS8_lS9_lS7_lT8_i,comdat
	.globl	_ZL26rocblas_hemvn_kernel_upperILb0ELi64ELi4ELi33ELi32ELi16EiPK19rocblas_complex_numIdEPKS3_PS1_EviT6_lT7_lT5_lS8_lS9_lS7_lT8_i ; -- Begin function _ZL26rocblas_hemvn_kernel_upperILb0ELi64ELi4ELi33ELi32ELi16EiPK19rocblas_complex_numIdEPKS3_PS1_EviT6_lT7_lT5_lS8_lS9_lS7_lT8_i
	.p2align	8
	.type	_ZL26rocblas_hemvn_kernel_upperILb0ELi64ELi4ELi33ELi32ELi16EiPK19rocblas_complex_numIdEPKS3_PS1_EviT6_lT7_lT5_lS8_lS9_lS7_lT8_i,@function
_ZL26rocblas_hemvn_kernel_upperILb0ELi64ELi4ELi33ELi32ELi16EiPK19rocblas_complex_numIdEPKS3_PS1_EviT6_lT7_lT5_lS8_lS9_lS7_lT8_i: ; @_ZL26rocblas_hemvn_kernel_upperILb0ELi64ELi4ELi33ELi32ELi16EiPK19rocblas_complex_numIdEPKS3_PS1_EviT6_lT7_lT5_lS8_lS9_lS7_lT8_i
; %bb.0:
	s_load_dwordx2 s[0:1], s[4:5], 0x84
	s_add_u32 s16, s4, 0x78
	s_addc_u32 s17, s5, 0
	s_waitcnt lgkmcnt(0)
	s_lshr_b32 s2, s0, 16
	s_and_b32 s0, s0, 0xffff
	s_and_b32 s1, s1, 0xffff
	s_mul_i32 s0, s2, s0
	s_mul_i32 s0, s0, s1
	s_cmpk_lg_i32 s0, 0x100
	s_cbranch_scc1 .LBB189_155
; %bb.1:
	s_load_dwordx8 s[8:15], s[4:5], 0x8
	s_mov_b32 s20, s7
	s_mov_b32 s21, 0
	s_waitcnt lgkmcnt(0)
	s_mul_i32 s1, s11, s7
	s_mul_hi_u32 s2, s10, s7
	s_mul_i32 s0, s10, s7
	s_add_i32 s1, s2, s1
	s_lshl_b64 s[0:1], s[0:1], 4
	s_add_u32 s8, s8, s0
	s_addc_u32 s9, s9, s1
	s_load_dwordx4 s[0:3], s[8:9], 0x0
	s_waitcnt lgkmcnt(0)
	v_cmp_neq_f64_e64 s[8:9], s[0:1], 0
	v_cmp_neq_f64_e64 s[10:11], s[2:3], 0
	s_load_dwordx2 s[22:23], s[4:5], 0x68
	s_load_dwordx4 s[0:3], s[4:5], 0x58
	s_or_b64 s[10:11], s[8:9], s[10:11]
	s_mov_b64 s[8:9], -1
	s_and_b64 vcc, exec, s[10:11]
	s_cbranch_vccnz .LBB189_3
; %bb.2:
	s_waitcnt lgkmcnt(0)
	s_mul_i32 s3, s3, s20
	s_mul_hi_u32 s7, s2, s20
	s_add_i32 s3, s7, s3
	s_mul_i32 s2, s2, s20
	s_lshl_b64 s[2:3], s[2:3], 4
	s_add_u32 s8, s0, s2
	s_addc_u32 s9, s1, s3
	s_load_dwordx4 s[0:3], s[8:9], 0x0
	s_mov_b64 s[8:9], 0
	s_waitcnt lgkmcnt(0)
	v_cmp_eq_f64_e64 s[0:1], s[0:1], 1.0
	v_cmp_eq_f64_e64 s[2:3], s[2:3], 0
	s_and_b64 s[0:1], s[0:1], s[2:3]
	s_andn2_b64 vcc, exec, s[0:1]
.LBB189_3:
	s_andn2_b64 vcc, exec, s[8:9]
	s_cbranch_vccnz .LBB189_155
; %bb.4:
	s_load_dwordx4 s[8:11], s[4:5], 0x38
	s_load_dword s40, s[4:5], 0x48
	s_waitcnt lgkmcnt(0)
	s_lshl_b64 s[0:1], s[20:21], 3
	s_add_u32 s12, s12, s0
	s_addc_u32 s13, s13, s1
	s_add_u32 s0, s8, s0
	s_addc_u32 s1, s9, s1
	s_load_dwordx2 s[8:9], s[0:1], 0x0
	s_load_dword s21, s[4:5], 0x0
	s_load_dword s7, s[16:17], 0x0
	s_load_dwordx2 s[2:3], s[12:13], 0x0
	s_lshl_b64 s[0:1], s[10:11], 4
	s_waitcnt lgkmcnt(0)
	s_add_u32 s0, s8, s0
	s_addc_u32 s1, s9, s1
	s_lshl_b32 s26, s6, 6
	v_add_u32_e32 v167, s26, v0
	v_mul_lo_u32 v2, s40, v167
	s_ashr_i32 s41, s21, 31
	s_lshr_b32 s9, s41, 26
	s_add_i32 s9, s21, s9
	v_ashrrev_i32_e32 v3, 31, v2
	s_andn2_b32 s9, s9, 63
	v_lshlrev_b64 v[2:3], 4, v[2:3]
	s_add_i32 s8, s7, -1
	s_sub_i32 s33, s21, s9
	s_cmp_eq_u32 s6, s8
	v_mov_b32_e32 v4, s1
	v_add_co_u32_e32 v38, vcc, s0, v2
	s_cselect_b32 s16, s33, 0
	v_addc_co_u32_e32 v39, vcc, v4, v3, vcc
	v_cmp_eq_u32_e64 s[0:1], 0, v1
	s_and_saveexec_b64 s[8:9], s[0:1]
	s_cbranch_execz .LBB189_9
; %bb.5:
	s_cmp_lg_u32 s16, 0
	s_cselect_b64 s[10:11], -1, 0
	v_cmp_le_i32_e32 vcc, s16, v0
	v_mov_b32_e32 v2, 0x4700
	s_and_b64 s[10:11], s[10:11], vcc
	v_lshl_add_u32 v2, v0, 4, v2
	s_and_saveexec_b64 s[12:13], s[10:11]
	s_xor_b64 s[10:11], exec, s[12:13]
; %bb.6:
	v_mov_b32_e32 v3, 0
	v_mov_b32_e32 v4, v3
	;; [unrolled: 1-line block ×4, first 2 shown]
	ds_write_b128 v2, v[3:6]
                                        ; implicit-def: $vgpr2
; %bb.7:
	s_andn2_saveexec_b64 s[10:11], s[10:11]
	s_cbranch_execz .LBB189_9
; %bb.8:
	flat_load_dwordx4 v[3:6], v[38:39]
	s_waitcnt vmcnt(0) lgkmcnt(0)
	ds_write2_b64 v2, v[3:4], v[5:6] offset1:1
.LBB189_9:
	s_or_b64 exec, exec, s[8:9]
	s_load_dword s24, s[4:5], 0x28
	s_lshl_b64 s[8:9], s[14:15], 4
	v_lshl_add_u32 v44, v1, 6, v0
	s_add_u32 s8, s2, s8
	v_and_b32_e32 v6, 31, v0
	v_lshrrev_b32_e32 v11, 5, v44
	s_addc_u32 s9, s3, s9
	s_waitcnt lgkmcnt(0)
	v_mad_u64_u32 v[2:3], s[2:3], s24, v11, v[6:7]
	s_ashr_i32 s27, s26, 31
	s_lshl_b64 s[2:3], s[26:27], 4
	v_ashrrev_i32_e32 v3, 31, v2
	v_lshlrev_b64 v[40:41], 4, v[2:3]
	s_add_u32 s2, s8, s2
	s_addc_u32 s3, s9, s3
	v_add_co_u32_e32 v3, vcc, s2, v40
	s_mul_i32 s2, s24, s26
	v_mov_b32_e32 v2, s3
	s_ashr_i32 s3, s2, 31
	s_lshl_b64 s[2:3], s[2:3], 4
	v_addc_co_u32_e32 v4, vcc, v2, v41, vcc
	s_cmp_eq_u32 s16, 0
	v_mov_b32_e32 v5, s3
	v_add_co_u32_e32 v2, vcc, s2, v3
	s_cselect_b64 s[18:19], -1, 0
	s_cmp_lg_u32 s16, 0
	v_addc_co_u32_e32 v3, vcc, v4, v5, vcc
	s_cselect_b64 s[34:35], -1, 0
	s_and_b64 vcc, exec, s[34:35]
	v_cmp_gt_i32_e64 s[2:3], s16, v6
	v_lshlrev_b32_e32 v12, 4, v6
	s_cbranch_vccz .LBB189_27
; %bb.10:
	v_sub_co_u32_e32 v4, vcc, v2, v12
	s_ashr_i32 s17, s16, 31
	v_subbrev_co_u32_e32 v5, vcc, 0, v3, vcc
	s_lshl_b64 s[4:5], s[16:17], 4
	v_mov_b32_e32 v7, s5
	v_add_co_u32_e32 v4, vcc, s4, v4
	v_addc_co_u32_e32 v5, vcc, v5, v7, vcc
	v_add_co_u32_e32 v4, vcc, -16, v4
	v_addc_co_u32_e32 v5, vcc, -1, v5, vcc
	s_movk_i32 s8, 0x210
	v_cndmask_b32_e64 v5, v5, v3, s[2:3]
	v_cndmask_b32_e64 v4, v4, v2, s[2:3]
	v_cmp_le_i32_e32 vcc, s16, v11
	v_mad_u32_u24 v8, v11, s8, v12
	s_and_saveexec_b64 s[8:9], vcc
	s_xor_b64 s[8:9], exec, s[8:9]
; %bb.11:
	v_mov_b32_e32 v13, 0
	v_mov_b32_e32 v14, v13
	v_mov_b32_e32 v15, v13
	v_mov_b32_e32 v16, v13
	ds_write_b128 v8, v[13:16]
                                        ; implicit-def: $vgpr8
; %bb.12:
	s_or_saveexec_b64 s[8:9], s[8:9]
	v_mul_u32_u24_e32 v7, 0x210, v11
	s_xor_b64 exec, exec, s[8:9]
	s_cbranch_execz .LBB189_14
; %bb.13:
	flat_load_dwordx4 v[13:16], v[4:5]
	s_waitcnt vmcnt(0) lgkmcnt(0)
	ds_write2_b64 v8, v[13:14], v[15:16] offset1:1
.LBB189_14:
	s_or_b64 exec, exec, s[8:9]
	v_add_u32_e32 v8, 8, v11
	v_cmp_le_i32_e32 vcc, s16, v8
	v_add_u32_e32 v8, v7, v12
	s_and_saveexec_b64 s[8:9], vcc
	s_xor_b64 s[8:9], exec, s[8:9]
; %bb.15:
	v_mov_b32_e32 v13, 0
	v_mov_b32_e32 v14, v13
	;; [unrolled: 1-line block ×4, first 2 shown]
	ds_write_b128 v8, v[13:16] offset:4224
; %bb.16:
	s_andn2_saveexec_b64 s[8:9], s[8:9]
	s_cbranch_execz .LBB189_18
; %bb.17:
	s_lshl_b32 s10, s24, 3
	s_ashr_i32 s11, s10, 31
	s_lshl_b64 s[10:11], s[10:11], 4
	v_mov_b32_e32 v10, s11
	v_add_co_u32_e32 v9, vcc, s10, v4
	v_addc_co_u32_e32 v10, vcc, v5, v10, vcc
	flat_load_dwordx4 v[13:16], v[9:10]
	s_movk_i32 s10, 0x1080
	v_add3_u32 v9, v7, v12, s10
	s_waitcnt vmcnt(0) lgkmcnt(0)
	ds_write2_b64 v9, v[13:14], v[15:16] offset1:1
.LBB189_18:
	s_or_b64 exec, exec, s[8:9]
	v_add_u32_e32 v9, 16, v11
	v_cmp_le_i32_e32 vcc, s16, v9
	s_and_saveexec_b64 s[8:9], vcc
	s_xor_b64 s[8:9], exec, s[8:9]
; %bb.19:
	v_mov_b32_e32 v13, 0
	v_mov_b32_e32 v14, v13
	;; [unrolled: 1-line block ×4, first 2 shown]
	ds_write_b128 v8, v[13:16] offset:8448
; %bb.20:
	s_andn2_saveexec_b64 s[8:9], s[8:9]
	s_cbranch_execz .LBB189_22
; %bb.21:
	s_lshl_b32 s10, s24, 4
	s_ashr_i32 s11, s10, 31
	s_lshl_b64 s[10:11], s[10:11], 4
	v_mov_b32_e32 v10, s11
	v_add_co_u32_e32 v9, vcc, s10, v4
	v_addc_co_u32_e32 v10, vcc, v5, v10, vcc
	flat_load_dwordx4 v[13:16], v[9:10]
	s_movk_i32 s10, 0x2100
	v_add3_u32 v9, v7, v12, s10
	s_waitcnt vmcnt(0) lgkmcnt(0)
	ds_write2_b64 v9, v[13:14], v[15:16] offset1:1
.LBB189_22:
	s_or_b64 exec, exec, s[8:9]
	v_add_u32_e32 v9, 24, v11
	v_cmp_le_i32_e32 vcc, s16, v9
	s_and_saveexec_b64 s[8:9], vcc
	s_xor_b64 s[8:9], exec, s[8:9]
; %bb.23:
	v_mov_b32_e32 v13, 0
	v_mov_b32_e32 v14, v13
	;; [unrolled: 1-line block ×4, first 2 shown]
	ds_write_b128 v8, v[13:16] offset:12672
                                        ; implicit-def: $vgpr7
; %bb.24:
	s_andn2_saveexec_b64 s[8:9], s[8:9]
	s_cbranch_execz .LBB189_26
; %bb.25:
	s_mul_i32 s10, s24, 24
	s_ashr_i32 s11, s10, 31
	s_lshl_b64 s[10:11], s[10:11], 4
	v_mov_b32_e32 v9, s11
	v_add_co_u32_e32 v8, vcc, s10, v4
	v_addc_co_u32_e32 v9, vcc, v5, v9, vcc
	flat_load_dwordx4 v[13:16], v[8:9]
	s_movk_i32 s10, 0x3180
	v_add3_u32 v7, v7, v12, s10
	s_waitcnt vmcnt(0) lgkmcnt(0)
	ds_write2_b64 v7, v[13:14], v[15:16] offset1:1
.LBB189_26:
	s_or_b64 exec, exec, s[8:9]
	v_add_co_u32_e32 v4, vcc, v4, v12
	v_addc_co_u32_e32 v5, vcc, 0, v5, vcc
	v_mov_b32_e32 v7, s5
	v_subrev_co_u32_e32 v4, vcc, s4, v4
	v_subb_co_u32_e32 v5, vcc, v5, v7, vcc
	v_add_co_u32_e32 v4, vcc, 16, v4
	v_addc_co_u32_e32 v5, vcc, 0, v5, vcc
	v_cndmask_b32_e64 v8, v5, v3, s[2:3]
	v_cndmask_b32_e64 v7, v4, v2, s[2:3]
	s_branch .LBB189_29
.LBB189_27:
                                        ; implicit-def: $vgpr7_vgpr8
	s_cbranch_execz .LBB189_29
; %bb.28:
	flat_load_dwordx4 v[7:10], v[2:3]
	s_lshl_b32 s2, s24, 3
	s_ashr_i32 s3, s2, 31
	v_mul_u32_u24_e32 v4, 0x210, v11
	s_lshl_b64 s[2:3], s[2:3], 4
	v_lshl_add_u32 v13, v6, 4, v4
	v_mov_b32_e32 v5, s3
	v_add_co_u32_e32 v4, vcc, s2, v2
	v_addc_co_u32_e32 v5, vcc, v3, v5, vcc
	s_ashr_i32 s25, s24, 31
	s_lshl_b64 s[2:3], s[24:25], 7
	v_add_u32_e32 v14, 0x1080, v13
	v_mov_b32_e32 v15, s3
	s_waitcnt vmcnt(0) lgkmcnt(0)
	ds_write2_b64 v13, v[7:8], v[9:10] offset1:1
	flat_load_dwordx4 v[7:10], v[4:5]
	v_add_co_u32_e32 v4, vcc, s2, v4
	v_addc_co_u32_e32 v5, vcc, v5, v15, vcc
	s_waitcnt vmcnt(0) lgkmcnt(0)
	ds_write2_b64 v14, v[7:8], v[9:10] offset1:1
	flat_load_dwordx4 v[7:10], v[4:5]
	v_add_u32_e32 v14, 0x2100, v13
	v_add_co_u32_e32 v4, vcc, s2, v4
	v_addc_co_u32_e32 v5, vcc, v5, v15, vcc
	s_waitcnt vmcnt(0) lgkmcnt(0)
	ds_write2_b64 v14, v[7:8], v[9:10] offset1:1
	flat_load_dwordx4 v[7:10], v[4:5]
	v_add_u32_e32 v4, 0x3180, v13
	s_waitcnt vmcnt(0) lgkmcnt(0)
	ds_write2_b64 v4, v[7:8], v[9:10] offset1:1
	v_mov_b32_e32 v8, v3
	v_mov_b32_e32 v7, v2
.LBB189_29:
	v_lshlrev_b32_e32 v16, 2, v11
	v_lshl_or_b32 v2, v6, 9, v12
	v_cmp_gt_u32_e64 s[4:5], v16, v6
	v_lshl_add_u32 v4, v16, 4, v2
	s_waitcnt lgkmcnt(0)
	s_barrier
	s_and_saveexec_b64 s[2:3], s[4:5]
	s_cbranch_execz .LBB189_31
; %bb.30:
	s_movk_i32 s8, 0x840
	v_mad_u32_u24 v2, v11, s8, v12
	ds_read_b128 v[17:20], v2
	s_waitcnt lgkmcnt(0)
	ds_write_b128 v4, v[17:20]
.LBB189_31:
	s_or_b64 exec, exec, s[2:3]
	v_or_b32_e32 v2, 1, v16
	v_cmp_ge_u32_e64 s[14:15], v16, v6
	s_and_saveexec_b64 s[2:3], s[14:15]
	s_cbranch_execz .LBB189_33
; %bb.32:
	s_movk_i32 s8, 0x210
	v_mad_u32_u24 v3, v2, s8, v12
	ds_read_b128 v[17:20], v3
	s_waitcnt lgkmcnt(0)
	ds_write_b128 v4, v[17:20] offset:16
.LBB189_33:
	s_or_b64 exec, exec, s[2:3]
	v_or_b32_e32 v3, 2, v16
	v_cmp_gt_u32_e64 s[8:9], v3, v6
	s_and_saveexec_b64 s[2:3], s[8:9]
	s_cbranch_execz .LBB189_35
; %bb.34:
	s_movk_i32 s10, 0x210
	v_mad_u32_u24 v3, v3, s10, v12
	ds_read_b128 v[17:20], v3
	s_waitcnt lgkmcnt(0)
	ds_write_b128 v4, v[17:20] offset:32
.LBB189_35:
	s_or_b64 exec, exec, s[2:3]
	v_or_b32_e32 v5, 3, v16
	v_cmp_gt_u32_e64 s[10:11], v5, v6
	v_cmp_le_u32_e32 vcc, v5, v6
                                        ; implicit-def: $vgpr3
	s_and_saveexec_b64 s[2:3], vcc
	s_xor_b64 s[2:3], exec, s[2:3]
; %bb.36:
	v_mul_u32_u24_e32 v3, 0x210, v5
                                        ; implicit-def: $vgpr5
                                        ; implicit-def: $vgpr4
; %bb.37:
	s_andn2_saveexec_b64 s[2:3], s[2:3]
	s_cbranch_execz .LBB189_39
; %bb.38:
	s_movk_i32 s12, 0x210
	v_mad_u32_u24 v3, v5, s12, v12
	ds_read_b128 v[17:20], v3
	v_mul_u32_u24_e32 v3, 0x210, v5
	s_waitcnt lgkmcnt(0)
	ds_write_b128 v4, v[17:20] offset:48
.LBB189_39:
	s_or_b64 exec, exec, s[2:3]
	s_movk_i32 s2, 0x840
	v_mad_u32_u24 v13, v11, s2, v12
	s_waitcnt lgkmcnt(0)
	s_barrier
	v_lshlrev_b32_e32 v17, 4, v16
	ds_read_b128 v[18:21], v13
	ds_read_b128 v[22:25], v17 offset:18176
	ds_read_b128 v[26:29], v17 offset:18192
	s_movk_i32 s2, 0x210
	v_mad_u32_u24 v14, v2, s2, v12
	ds_read_b128 v[30:33], v14
	s_waitcnt lgkmcnt(2)
	v_mul_f64 v[4:5], v[24:25], v[20:21]
	v_mul_f64 v[9:10], v[22:23], v[20:21]
	v_add_u32_e32 v15, v12, v3
	v_cmp_gt_u32_e64 s[2:3], 32, v44
	v_fma_f64 v[36:37], v[22:23], v[18:19], -v[4:5]
	ds_read_b128 v[20:23], v14 offset:528
	s_waitcnt lgkmcnt(1)
	v_mul_f64 v[42:43], v[28:29], v[32:33]
	v_mul_f64 v[49:50], v[26:27], v[32:33]
	v_fma_f64 v[9:10], v[24:25], v[18:19], v[9:10]
	ds_read_b128 v[2:5], v17 offset:18208
	ds_read_b128 v[32:35], v17 offset:18224
	ds_read_b128 v[45:48], v15
	s_waitcnt lgkmcnt(0)
	v_add_f64 v[18:19], v[36:37], 0
	s_barrier
	v_mul_f64 v[24:25], v[4:5], v[22:23]
	v_fma_f64 v[26:27], v[26:27], v[30:31], -v[42:43]
	v_fma_f64 v[28:29], v[28:29], v[30:31], v[49:50]
	v_mul_f64 v[22:23], v[2:3], v[22:23]
	v_add_f64 v[9:10], v[9:10], 0
	v_mul_f64 v[30:31], v[34:35], v[47:48]
	v_fma_f64 v[2:3], v[2:3], v[20:21], -v[24:25]
	v_add_f64 v[18:19], v[18:19], v[26:27]
	v_mul_f64 v[24:25], v[32:33], v[47:48]
	v_fma_f64 v[4:5], v[4:5], v[20:21], v[22:23]
	v_add_f64 v[9:10], v[9:10], v[28:29]
	v_fma_f64 v[20:21], v[32:33], v[45:46], -v[30:31]
	v_add_f64 v[18:19], v[18:19], v[2:3]
	v_fma_f64 v[22:23], v[34:35], v[45:46], v[24:25]
	v_mov_b32_e32 v2, 0
	v_add_f64 v[4:5], v[9:10], v[4:5]
	v_mul_u32_u24_e32 v9, 33, v6
	v_lshlrev_b32_e32 v45, 4, v9
	v_mov_b32_e32 v3, 0
	v_lshl_add_u32 v46, v11, 4, v45
	v_add_f64 v[18:19], v[18:19], v[20:21]
	v_add_f64 v[20:21], v[4:5], v[22:23]
	v_mov_b32_e32 v4, 0
	v_mov_b32_e32 v5, 0
	ds_write_b128 v46, v[18:21]
	s_waitcnt lgkmcnt(0)
	s_barrier
	s_and_saveexec_b64 s[12:13], s[2:3]
	s_cbranch_execz .LBB189_41
; %bb.40:
	ds_read_b128 v[2:5], v45
	ds_read_b128 v[18:21], v45 offset:16
	s_waitcnt lgkmcnt(0)
	v_add_f64 v[9:10], v[18:19], v[2:3]
	v_add_f64 v[22:23], v[20:21], v[4:5]
	ds_read_b128 v[2:5], v45 offset:32
	ds_read_b128 v[18:21], v45 offset:48
	s_waitcnt lgkmcnt(1)
	v_add_f64 v[2:3], v[9:10], v[2:3]
	v_add_f64 v[4:5], v[22:23], v[4:5]
	s_waitcnt lgkmcnt(0)
	v_add_f64 v[9:10], v[2:3], v[18:19]
	v_add_f64 v[22:23], v[4:5], v[20:21]
	ds_read_b128 v[2:5], v45 offset:64
	ds_read_b128 v[18:21], v45 offset:80
	s_waitcnt lgkmcnt(1)
	v_add_f64 v[2:3], v[9:10], v[2:3]
	v_add_f64 v[4:5], v[22:23], v[4:5]
	;; [unrolled: 8-line block ×3, first 2 shown]
	s_waitcnt lgkmcnt(0)
	v_add_f64 v[2:3], v[2:3], v[18:19]
	v_add_f64 v[4:5], v[4:5], v[20:21]
.LBB189_41:
	s_or_b64 exec, exec, s[12:13]
	s_lshl_b32 s30, s24, 5
	s_ashr_i32 s31, s30, 31
	s_lshl_b64 s[28:29], s[30:31], 4
	v_mov_b32_e32 v9, s29
	v_add_co_u32_e32 v18, vcc, s28, v7
	v_addc_co_u32_e32 v19, vcc, v8, v9, vcc
	v_add_co_u32_e32 v7, vcc, 0x200, v18
	v_addc_co_u32_e32 v8, vcc, 0, v19, vcc
	s_and_b64 vcc, exec, s[34:35]
	s_barrier
	s_cbranch_vccz .LBB189_59
; %bb.42:
	v_sub_co_u32_e32 v10, vcc, v18, v12
	s_ashr_i32 s17, s16, 31
	v_subbrev_co_u32_e32 v20, vcc, 0, v19, vcc
	s_lshl_b64 s[36:37], s[16:17], 4
	v_mov_b32_e32 v21, s37
	v_add_co_u32_e32 v10, vcc, s36, v10
	v_addc_co_u32_e32 v20, vcc, v20, v21, vcc
	v_or_b32_e32 v9, 32, v6
	v_add_co_u32_e32 v21, vcc, -16, v10
	v_addc_co_u32_e32 v10, vcc, -1, v20, vcc
	v_cmp_gt_i32_e64 s[12:13], s16, v9
	s_sub_i32 s17, s16, 32
	s_movk_i32 s25, 0x210
	v_cndmask_b32_e64 v10, v10, v8, s[12:13]
	v_cndmask_b32_e64 v9, v21, v7, s[12:13]
	v_cmp_le_i32_e32 vcc, s17, v11
	v_mad_u32_u24 v21, v11, s25, v12
	s_and_saveexec_b64 s[38:39], vcc
	s_xor_b64 s[38:39], exec, s[38:39]
; %bb.43:
	v_mov_b32_e32 v22, 0
	v_mov_b32_e32 v23, v22
	;; [unrolled: 1-line block ×4, first 2 shown]
	ds_write_b128 v21, v[22:25]
                                        ; implicit-def: $vgpr21
; %bb.44:
	s_or_saveexec_b64 s[38:39], s[38:39]
	v_mul_u32_u24_e32 v20, 0x210, v11
	s_xor_b64 exec, exec, s[38:39]
	s_cbranch_execz .LBB189_46
; %bb.45:
	flat_load_dwordx4 v[22:25], v[9:10]
	s_waitcnt vmcnt(0) lgkmcnt(0)
	ds_write2_b64 v21, v[22:23], v[24:25] offset1:1
.LBB189_46:
	s_or_b64 exec, exec, s[38:39]
	v_add_u32_e32 v21, 8, v11
	v_cmp_le_i32_e32 vcc, s17, v21
	v_add_u32_e32 v21, v20, v12
	s_and_saveexec_b64 s[38:39], vcc
	s_xor_b64 s[38:39], exec, s[38:39]
; %bb.47:
	v_mov_b32_e32 v22, 0
	v_mov_b32_e32 v23, v22
	;; [unrolled: 1-line block ×4, first 2 shown]
	ds_write_b128 v21, v[22:25] offset:4224
; %bb.48:
	s_andn2_saveexec_b64 s[38:39], s[38:39]
	s_cbranch_execz .LBB189_50
; %bb.49:
	s_lshl_b32 s42, s24, 3
	s_ashr_i32 s43, s42, 31
	s_lshl_b64 s[42:43], s[42:43], 4
	v_mov_b32_e32 v23, s43
	v_add_co_u32_e32 v22, vcc, s42, v9
	v_addc_co_u32_e32 v23, vcc, v10, v23, vcc
	flat_load_dwordx4 v[22:25], v[22:23]
	s_movk_i32 s25, 0x1080
	v_add3_u32 v26, v20, v12, s25
	s_waitcnt vmcnt(0) lgkmcnt(0)
	ds_write2_b64 v26, v[22:23], v[24:25] offset1:1
.LBB189_50:
	s_or_b64 exec, exec, s[38:39]
	v_add_u32_e32 v22, 16, v11
	v_cmp_le_i32_e32 vcc, s17, v22
	s_and_saveexec_b64 s[38:39], vcc
	s_xor_b64 s[38:39], exec, s[38:39]
; %bb.51:
	v_mov_b32_e32 v22, 0
	v_mov_b32_e32 v23, v22
	;; [unrolled: 1-line block ×4, first 2 shown]
	ds_write_b128 v21, v[22:25] offset:8448
; %bb.52:
	s_andn2_saveexec_b64 s[38:39], s[38:39]
	s_cbranch_execz .LBB189_54
; %bb.53:
	s_lshl_b32 s42, s24, 4
	s_ashr_i32 s43, s42, 31
	s_lshl_b64 s[42:43], s[42:43], 4
	v_mov_b32_e32 v23, s43
	v_add_co_u32_e32 v22, vcc, s42, v9
	v_addc_co_u32_e32 v23, vcc, v10, v23, vcc
	flat_load_dwordx4 v[22:25], v[22:23]
	s_movk_i32 s25, 0x2100
	v_add3_u32 v26, v20, v12, s25
	s_waitcnt vmcnt(0) lgkmcnt(0)
	ds_write2_b64 v26, v[22:23], v[24:25] offset1:1
.LBB189_54:
	s_or_b64 exec, exec, s[38:39]
	v_add_u32_e32 v22, 24, v11
	v_cmp_le_i32_e32 vcc, s17, v22
	s_and_saveexec_b64 s[38:39], vcc
	s_xor_b64 s[38:39], exec, s[38:39]
; %bb.55:
	v_mov_b32_e32 v22, 0
	v_mov_b32_e32 v23, v22
	;; [unrolled: 1-line block ×4, first 2 shown]
	ds_write_b128 v21, v[22:25] offset:12672
                                        ; implicit-def: $vgpr20
; %bb.56:
	s_andn2_saveexec_b64 s[38:39], s[38:39]
	s_cbranch_execz .LBB189_58
; %bb.57:
	s_mul_i32 s42, s24, 24
	s_ashr_i32 s43, s42, 31
	s_lshl_b64 s[42:43], s[42:43], 4
	v_mov_b32_e32 v22, s43
	v_add_co_u32_e32 v21, vcc, s42, v9
	v_addc_co_u32_e32 v22, vcc, v10, v22, vcc
	flat_load_dwordx4 v[21:24], v[21:22]
	s_movk_i32 s17, 0x3180
	v_add3_u32 v20, v20, v12, s17
	s_waitcnt vmcnt(0) lgkmcnt(0)
	ds_write2_b64 v20, v[21:22], v[23:24] offset1:1
.LBB189_58:
	s_or_b64 exec, exec, s[38:39]
	v_add_co_u32_e32 v9, vcc, v9, v12
	v_addc_co_u32_e32 v10, vcc, 0, v10, vcc
	v_mov_b32_e32 v20, s37
	v_subrev_co_u32_e32 v9, vcc, s36, v9
	v_subb_co_u32_e32 v10, vcc, v10, v20, vcc
	v_add_co_u32_e32 v9, vcc, 0x210, v9
	v_addc_co_u32_e32 v10, vcc, 0, v10, vcc
	v_cndmask_b32_e64 v10, v10, v8, s[12:13]
	v_cndmask_b32_e64 v9, v9, v7, s[12:13]
	s_branch .LBB189_61
.LBB189_59:
                                        ; implicit-def: $vgpr9_vgpr10
	s_cbranch_execz .LBB189_61
; %bb.60:
	flat_load_dwordx4 v[20:23], v[7:8]
	s_movk_i32 s13, 0x210
	s_lshl_b32 s12, s24, 3
	v_mad_u32_u24 v24, v11, s13, v12
	s_ashr_i32 s13, s12, 31
	s_lshl_b64 s[12:13], s[12:13], 4
	v_mov_b32_e32 v10, s13
	v_add_co_u32_e32 v9, vcc, s12, v18
	v_addc_co_u32_e32 v10, vcc, v19, v10, vcc
	s_ashr_i32 s25, s24, 31
	s_lshl_b64 s[12:13], s[24:25], 7
	s_waitcnt vmcnt(0) lgkmcnt(0)
	ds_write2_b64 v24, v[20:21], v[22:23] offset1:1
	flat_load_dwordx4 v[18:21], v[9:10] offset:512
	v_add_u32_e32 v22, 0x1080, v24
	v_mov_b32_e32 v23, s13
	v_add_co_u32_e32 v9, vcc, s12, v9
	v_addc_co_u32_e32 v10, vcc, v10, v23, vcc
	s_waitcnt vmcnt(0) lgkmcnt(0)
	ds_write2_b64 v22, v[18:19], v[20:21] offset1:1
	flat_load_dwordx4 v[18:21], v[9:10] offset:512
	v_add_u32_e32 v22, 0x2100, v24
	v_add_co_u32_e32 v9, vcc, s12, v9
	v_addc_co_u32_e32 v10, vcc, v10, v23, vcc
	s_waitcnt vmcnt(0) lgkmcnt(0)
	ds_write2_b64 v22, v[18:19], v[20:21] offset1:1
	flat_load_dwordx4 v[18:21], v[9:10] offset:512
	v_add_u32_e32 v9, 0x3180, v24
	s_waitcnt vmcnt(0) lgkmcnt(0)
	ds_write2_b64 v9, v[18:19], v[20:21] offset1:1
	v_mov_b32_e32 v10, v8
	v_mov_b32_e32 v9, v7
.LBB189_61:
	v_lshl_add_u32 v7, v16, 4, v45
	s_waitcnt lgkmcnt(0)
	s_barrier
	s_and_saveexec_b64 s[12:13], s[4:5]
	s_cbranch_execz .LBB189_65
; %bb.62:
	ds_read_b128 v[18:21], v13
	s_waitcnt lgkmcnt(0)
	ds_write_b128 v7, v[18:21]
	s_or_b64 exec, exec, s[12:13]
	s_and_saveexec_b64 s[4:5], s[14:15]
	s_cbranch_execnz .LBB189_66
.LBB189_63:
	s_or_b64 exec, exec, s[4:5]
	v_add_u32_e32 v16, 0x210, v14
	s_and_saveexec_b64 s[4:5], s[8:9]
	s_cbranch_execz .LBB189_67
.LBB189_64:
	ds_read_b128 v[18:21], v16
	s_waitcnt lgkmcnt(0)
	ds_write_b128 v7, v[18:21] offset:32
	s_or_b64 exec, exec, s[4:5]
	v_add_u32_e32 v17, 0x4700, v17
	s_and_saveexec_b64 s[4:5], s[10:11]
	s_cbranch_execnz .LBB189_68
	s_branch .LBB189_69
.LBB189_65:
	s_or_b64 exec, exec, s[12:13]
	s_and_saveexec_b64 s[4:5], s[14:15]
	s_cbranch_execz .LBB189_63
.LBB189_66:
	ds_read_b128 v[18:21], v14
	s_waitcnt lgkmcnt(0)
	ds_write_b128 v7, v[18:21] offset:16
	s_or_b64 exec, exec, s[4:5]
	v_add_u32_e32 v16, 0x210, v14
	s_and_saveexec_b64 s[4:5], s[8:9]
	s_cbranch_execnz .LBB189_64
.LBB189_67:
	s_or_b64 exec, exec, s[4:5]
	v_add_u32_e32 v17, 0x4700, v17
	s_and_saveexec_b64 s[4:5], s[10:11]
	s_cbranch_execz .LBB189_69
.LBB189_68:
	ds_read_b128 v[18:21], v15
	s_waitcnt lgkmcnt(0)
	ds_write_b128 v7, v[18:21] offset:48
.LBB189_69:
	s_or_b64 exec, exec, s[4:5]
	s_waitcnt lgkmcnt(0)
	s_barrier
	ds_read_b128 v[18:21], v17 offset:512
	ds_read_b128 v[22:25], v13
	v_cmp_eq_u32_e64 s[4:5], 1, v11
	s_waitcnt lgkmcnt(0)
	v_mul_f64 v[7:8], v[20:21], v[24:25]
	v_mul_f64 v[36:37], v[18:19], v[24:25]
	ds_read_b128 v[24:27], v14
	ds_read_b128 v[28:31], v17 offset:528
	ds_read_b128 v[32:35], v17 offset:544
	ds_read_b128 v[47:50], v16
	s_waitcnt lgkmcnt(2)
	v_mul_f64 v[42:43], v[30:31], v[26:27]
	v_mul_f64 v[26:27], v[28:29], v[26:27]
	v_fma_f64 v[7:8], v[18:19], v[22:23], -v[7:8]
	v_fma_f64 v[22:23], v[20:21], v[22:23], v[36:37]
	s_waitcnt lgkmcnt(0)
	v_mul_f64 v[36:37], v[34:35], v[49:50]
	v_mul_f64 v[49:50], v[32:33], v[49:50]
	ds_read_b128 v[18:21], v17 offset:560
	ds_read_b128 v[51:54], v15
	v_fma_f64 v[28:29], v[28:29], v[24:25], -v[42:43]
	v_fma_f64 v[24:25], v[30:31], v[24:25], v[26:27]
	s_waitcnt lgkmcnt(0)
	v_add_f64 v[7:8], v[7:8], 0
	v_add_f64 v[22:23], v[22:23], 0
	v_mul_f64 v[26:27], v[20:21], v[53:54]
	v_mul_f64 v[30:31], v[18:19], v[53:54]
	v_fma_f64 v[32:33], v[32:33], v[47:48], -v[36:37]
	v_fma_f64 v[34:35], v[34:35], v[47:48], v[49:50]
	s_barrier
	v_add_f64 v[7:8], v[7:8], v[28:29]
	v_add_f64 v[22:23], v[22:23], v[24:25]
	v_fma_f64 v[18:19], v[18:19], v[51:52], -v[26:27]
	v_fma_f64 v[20:21], v[20:21], v[51:52], v[30:31]
	v_add_f64 v[7:8], v[7:8], v[32:33]
	v_add_f64 v[22:23], v[22:23], v[34:35]
	;; [unrolled: 1-line block ×4, first 2 shown]
	ds_write_b128 v46, v[18:21]
	s_waitcnt lgkmcnt(0)
	s_barrier
	s_and_saveexec_b64 s[8:9], s[4:5]
	s_cbranch_execz .LBB189_71
; %bb.70:
	ds_read_b128 v[2:5], v45
	ds_read_b128 v[18:21], v45 offset:16
	s_waitcnt lgkmcnt(0)
	v_add_f64 v[7:8], v[18:19], v[2:3]
	v_add_f64 v[22:23], v[20:21], v[4:5]
	ds_read_b128 v[2:5], v45 offset:32
	ds_read_b128 v[18:21], v45 offset:48
	s_waitcnt lgkmcnt(1)
	v_add_f64 v[2:3], v[7:8], v[2:3]
	v_add_f64 v[4:5], v[22:23], v[4:5]
	s_waitcnt lgkmcnt(0)
	v_add_f64 v[7:8], v[2:3], v[18:19]
	v_add_f64 v[22:23], v[4:5], v[20:21]
	ds_read_b128 v[2:5], v45 offset:64
	ds_read_b128 v[18:21], v45 offset:80
	s_waitcnt lgkmcnt(1)
	v_add_f64 v[2:3], v[7:8], v[2:3]
	v_add_f64 v[4:5], v[22:23], v[4:5]
	;; [unrolled: 8-line block ×3, first 2 shown]
	s_waitcnt lgkmcnt(0)
	v_add_f64 v[2:3], v[2:3], v[18:19]
	v_add_f64 v[4:5], v[4:5], v[20:21]
.LBB189_71:
	s_or_b64 exec, exec, s[8:9]
	v_add_co_u32_e32 v7, vcc, 0xfffffe00, v9
	v_addc_co_u32_e32 v8, vcc, -1, v10, vcc
	s_and_b64 vcc, exec, s[34:35]
	s_barrier
	s_cbranch_vccz .LBB189_89
; %bb.72:
	v_sub_co_u32_e32 v9, vcc, v7, v12
	s_ashr_i32 s17, s16, 31
	v_subbrev_co_u32_e32 v10, vcc, 0, v8, vcc
	s_lshl_b64 s[10:11], s[16:17], 4
	v_mov_b32_e32 v18, s11
	v_add_co_u32_e32 v9, vcc, s10, v9
	v_addc_co_u32_e32 v10, vcc, v10, v18, vcc
	v_add_co_u32_e32 v9, vcc, -16, v9
	v_addc_co_u32_e32 v10, vcc, -1, v10, vcc
	v_cmp_gt_i32_e32 vcc, s16, v6
	s_sub_i32 s14, s16, 32
	s_movk_i32 s12, 0x210
	v_cndmask_b32_e32 v10, v10, v8, vcc
	v_cndmask_b32_e32 v9, v9, v7, vcc
	v_cmp_le_i32_e64 s[8:9], s14, v11
	v_mad_u32_u24 v6, v11, s12, v12
	s_and_saveexec_b64 s[12:13], s[8:9]
	s_xor_b64 s[8:9], exec, s[12:13]
; %bb.73:
	v_mov_b32_e32 v18, 0
	v_mov_b32_e32 v19, v18
	;; [unrolled: 1-line block ×4, first 2 shown]
	ds_write_b128 v6, v[18:21]
                                        ; implicit-def: $vgpr6
; %bb.74:
	s_or_saveexec_b64 s[8:9], s[8:9]
	v_mul_u32_u24_e32 v20, 0x210, v11
	s_xor_b64 exec, exec, s[8:9]
	s_cbranch_execz .LBB189_76
; %bb.75:
	flat_load_dwordx4 v[21:24], v[9:10]
	s_waitcnt vmcnt(0) lgkmcnt(0)
	ds_write2_b64 v6, v[21:22], v[23:24] offset1:1
.LBB189_76:
	s_or_b64 exec, exec, s[8:9]
	v_add_u32_e32 v6, 8, v11
	v_cmp_le_i32_e64 s[8:9], s14, v6
	v_add_u32_e32 v21, v20, v12
	s_and_saveexec_b64 s[12:13], s[8:9]
	s_xor_b64 s[8:9], exec, s[12:13]
; %bb.77:
	v_mov_b32_e32 v22, 0
	v_mov_b32_e32 v23, v22
	;; [unrolled: 1-line block ×4, first 2 shown]
	ds_write_b128 v21, v[22:25] offset:4224
; %bb.78:
	s_andn2_saveexec_b64 s[12:13], s[8:9]
	s_cbranch_execz .LBB189_80
; %bb.79:
	s_lshl_b32 s8, s24, 3
	s_ashr_i32 s9, s8, 31
	s_lshl_b64 s[8:9], s[8:9], 4
	v_mov_b32_e32 v19, s9
	v_add_co_u32_e64 v18, s[8:9], s8, v9
	v_addc_co_u32_e64 v19, s[8:9], v10, v19, s[8:9]
	flat_load_dwordx4 v[22:25], v[18:19]
	s_movk_i32 s8, 0x1080
	v_add3_u32 v18, v20, v12, s8
	s_waitcnt vmcnt(0) lgkmcnt(0)
	ds_write2_b64 v18, v[22:23], v[24:25] offset1:1
.LBB189_80:
	s_or_b64 exec, exec, s[12:13]
	v_add_u32_e32 v19, 16, v11
	v_cmp_le_i32_e64 s[8:9], s14, v19
	s_and_saveexec_b64 s[12:13], s[8:9]
	s_xor_b64 s[8:9], exec, s[12:13]
; %bb.81:
	v_mov_b32_e32 v22, 0
	v_mov_b32_e32 v23, v22
	;; [unrolled: 1-line block ×4, first 2 shown]
	ds_write_b128 v21, v[22:25] offset:8448
; %bb.82:
	s_andn2_saveexec_b64 s[12:13], s[8:9]
	s_cbranch_execz .LBB189_84
; %bb.83:
	s_lshl_b32 s8, s24, 4
	s_ashr_i32 s9, s8, 31
	s_lshl_b64 s[8:9], s[8:9], 4
	v_mov_b32_e32 v18, s9
	v_add_co_u32_e64 v22, s[8:9], s8, v9
	v_addc_co_u32_e64 v23, s[8:9], v10, v18, s[8:9]
	flat_load_dwordx4 v[22:25], v[22:23]
	s_movk_i32 s8, 0x2100
	v_add3_u32 v18, v20, v12, s8
	s_waitcnt vmcnt(0) lgkmcnt(0)
	ds_write2_b64 v18, v[22:23], v[24:25] offset1:1
.LBB189_84:
	s_or_b64 exec, exec, s[12:13]
	v_add_u32_e32 v18, 24, v11
	v_cmp_le_i32_e64 s[8:9], s14, v18
	s_and_saveexec_b64 s[12:13], s[8:9]
	s_xor_b64 s[8:9], exec, s[12:13]
; %bb.85:
	v_mov_b32_e32 v22, 0
	v_mov_b32_e32 v23, v22
	;; [unrolled: 1-line block ×4, first 2 shown]
	ds_write_b128 v21, v[22:25] offset:12672
                                        ; implicit-def: $vgpr20
; %bb.86:
	s_andn2_saveexec_b64 s[12:13], s[8:9]
	s_cbranch_execz .LBB189_88
; %bb.87:
	s_mul_i32 s8, s24, 24
	s_ashr_i32 s9, s8, 31
	s_lshl_b64 s[8:9], s[8:9], 4
	v_mov_b32_e32 v22, s9
	v_add_co_u32_e64 v21, s[8:9], s8, v9
	v_addc_co_u32_e64 v22, s[8:9], v10, v22, s[8:9]
	flat_load_dwordx4 v[21:24], v[21:22]
	s_movk_i32 s8, 0x3180
	v_add3_u32 v20, v20, v12, s8
	s_waitcnt vmcnt(0) lgkmcnt(0)
	ds_write2_b64 v20, v[21:22], v[23:24] offset1:1
.LBB189_88:
	s_or_b64 exec, exec, s[12:13]
	v_add_co_u32_e64 v9, s[8:9], v9, v12
	v_addc_co_u32_e64 v10, s[8:9], 0, v10, s[8:9]
	v_mov_b32_e32 v20, s11
	v_subrev_co_u32_e64 v9, s[8:9], s10, v9
	v_subb_co_u32_e64 v10, s[8:9], v10, v20, s[8:9]
	v_add_co_u32_e64 v9, s[8:9], 16, v9
	v_addc_co_u32_e64 v10, s[8:9], 0, v10, s[8:9]
	v_cndmask_b32_e32 v43, v10, v8, vcc
	v_cndmask_b32_e32 v42, v9, v7, vcc
	s_branch .LBB189_91
.LBB189_89:
                                        ; implicit-def: $vgpr42_vgpr43
                                        ; implicit-def: $vgpr6
                                        ; implicit-def: $vgpr19
                                        ; implicit-def: $vgpr18
	s_cbranch_execz .LBB189_91
; %bb.90:
	flat_load_dwordx4 v[18:21], v[7:8]
	s_movk_i32 s9, 0x210
	s_lshl_b32 s8, s24, 3
	v_mad_u32_u24 v12, v11, s9, v12
	s_ashr_i32 s9, s8, 31
	s_lshl_b64 s[8:9], s[8:9], 4
	v_mov_b32_e32 v6, s9
	v_add_co_u32_e32 v9, vcc, s8, v7
	v_addc_co_u32_e32 v10, vcc, v8, v6, vcc
	s_ashr_i32 s25, s24, 31
	s_lshl_b64 s[8:9], s[24:25], 7
	v_add_u32_e32 v6, 0x1080, v12
	v_mov_b32_e32 v22, s9
	v_mov_b32_e32 v43, v8
	;; [unrolled: 1-line block ×3, first 2 shown]
	s_waitcnt vmcnt(0) lgkmcnt(0)
	ds_write2_b64 v12, v[18:19], v[20:21] offset1:1
	flat_load_dwordx4 v[18:21], v[9:10]
	v_add_co_u32_e32 v9, vcc, s8, v9
	v_addc_co_u32_e32 v10, vcc, v10, v22, vcc
	s_waitcnt vmcnt(0) lgkmcnt(0)
	ds_write2_b64 v6, v[18:19], v[20:21] offset1:1
	flat_load_dwordx4 v[18:21], v[9:10]
	v_add_u32_e32 v6, 0x2100, v12
	v_add_co_u32_e32 v9, vcc, s8, v9
	v_addc_co_u32_e32 v10, vcc, v10, v22, vcc
	s_waitcnt vmcnt(0) lgkmcnt(0)
	ds_write2_b64 v6, v[18:19], v[20:21] offset1:1
	flat_load_dwordx4 v[20:23], v[9:10]
	v_add_u32_e32 v6, 8, v11
	v_add_u32_e32 v19, 16, v11
	;; [unrolled: 1-line block ×4, first 2 shown]
	s_waitcnt vmcnt(0) lgkmcnt(0)
	ds_write2_b64 v9, v[20:21], v[22:23] offset1:1
.LBB189_91:
	v_lshlrev_b32_e32 v11, 4, v11
	v_add_u32_e32 v7, v45, v11
	s_waitcnt lgkmcnt(0)
	s_barrier
	ds_read_b128 v[7:10], v7
	ds_read_b128 v[20:23], v11 offset:18176
	v_lshlrev_b32_e32 v6, 4, v6
	v_add_u32_e32 v11, v45, v6
	ds_read_b128 v[24:27], v11
	ds_read_b128 v[28:31], v6 offset:18176
	v_lshlrev_b32_e32 v6, 4, v19
	s_waitcnt lgkmcnt(2)
	v_mul_f64 v[11:12], v[9:10], v[22:23]
	v_mul_f64 v[22:23], v[7:8], v[22:23]
	v_add_u32_e32 v19, v45, v6
	s_waitcnt lgkmcnt(0)
	v_mul_f64 v[36:37], v[26:27], v[30:31]
	ds_read_b128 v[32:35], v19
	ds_read_b128 v[47:50], v6 offset:18176
	v_fma_f64 v[6:7], v[7:8], v[20:21], -v[11:12]
	v_mul_f64 v[11:12], v[24:25], v[30:31]
	v_fma_f64 v[22:23], v[9:10], v[20:21], v[22:23]
	v_lshlrev_b32_e32 v10, 4, v18
	v_fma_f64 v[24:25], v[24:25], v[28:29], -v[36:37]
	s_waitcnt lgkmcnt(0)
	v_mul_f64 v[30:31], v[34:35], v[49:50]
	v_mul_f64 v[49:50], v[32:33], v[49:50]
	v_add_f64 v[36:37], v[6:7], 0
	v_add_u32_e32 v6, v45, v10
	ds_read_b128 v[6:9], v6
	ds_read_b128 v[18:21], v10 offset:18176
	v_fma_f64 v[10:11], v[26:27], v[28:29], v[11:12]
	v_add_f64 v[22:23], v[22:23], 0
	v_fma_f64 v[26:27], v[32:33], v[47:48], -v[30:31]
	v_fma_f64 v[30:31], v[34:35], v[47:48], v[49:50]
	s_waitcnt lgkmcnt(0)
	v_mul_f64 v[28:29], v[8:9], v[20:21]
	v_add_f64 v[24:25], v[36:37], v[24:25]
	v_mul_f64 v[20:21], v[6:7], v[20:21]
	v_add_f64 v[10:11], v[22:23], v[10:11]
	v_fma_f64 v[28:29], v[6:7], v[18:19], -v[28:29]
	v_fma_f64 v[18:19], v[8:9], v[18:19], v[20:21]
	v_add_f64 v[20:21], v[24:25], v[26:27]
	v_add_f64 v[10:11], v[10:11], v[30:31]
	ds_read_b128 v[22:25], v17 offset:528
	ds_read_b128 v[6:9], v17 offset:544
	;; [unrolled: 1-line block ×3, first 2 shown]
	ds_read_b128 v[34:37], v13
	v_add_f64 v[47:48], v[20:21], v[28:29]
	v_add_f64 v[49:50], v[10:11], v[18:19]
	ds_read_b128 v[10:13], v17 offset:560
	ds_read_b128 v[26:29], v14
	ds_read_b128 v[18:21], v16
	;; [unrolled: 1-line block ×3, first 2 shown]
	s_waitcnt lgkmcnt(0)
	s_barrier
	ds_write_b128 v46, v[47:50]
	s_waitcnt lgkmcnt(0)
	s_barrier
	s_and_saveexec_b64 s[8:9], s[4:5]
	s_cbranch_execz .LBB189_93
; %bb.92:
	ds_read_b128 v[47:50], v45
	ds_read_b128 v[51:54], v45 offset:16
	s_waitcnt lgkmcnt(1)
	v_add_f64 v[2:3], v[2:3], v[47:48]
	v_add_f64 v[4:5], v[4:5], v[49:50]
	s_waitcnt lgkmcnt(0)
	v_add_f64 v[51:52], v[2:3], v[51:52]
	v_add_f64 v[53:54], v[4:5], v[53:54]
	ds_read_b128 v[2:5], v45 offset:32
	ds_read_b128 v[47:50], v45 offset:48
	s_waitcnt lgkmcnt(1)
	v_add_f64 v[2:3], v[51:52], v[2:3]
	v_add_f64 v[4:5], v[53:54], v[4:5]
	s_waitcnt lgkmcnt(0)
	v_add_f64 v[51:52], v[2:3], v[47:48]
	v_add_f64 v[53:54], v[4:5], v[49:50]
	ds_read_b128 v[2:5], v45 offset:64
	;; [unrolled: 8-line block ×3, first 2 shown]
	ds_read_b128 v[47:50], v45 offset:112
	s_waitcnt lgkmcnt(1)
	v_add_f64 v[2:3], v[51:52], v[2:3]
	v_add_f64 v[4:5], v[53:54], v[4:5]
	s_waitcnt lgkmcnt(0)
	v_add_f64 v[2:3], v[2:3], v[47:48]
	v_add_f64 v[4:5], v[4:5], v[49:50]
.LBB189_93:
	s_or_b64 exec, exec, s[8:9]
	v_mul_f64 v[47:48], v[32:33], v[36:37]
	v_mul_f64 v[36:37], v[30:31], v[36:37]
	;; [unrolled: 1-line block ×4, first 2 shown]
	s_barrier
	v_fma_f64 v[30:31], v[30:31], v[34:35], -v[47:48]
	v_fma_f64 v[32:33], v[32:33], v[34:35], v[36:37]
	v_mul_f64 v[34:35], v[8:9], v[20:21]
	v_mul_f64 v[20:21], v[6:7], v[20:21]
	v_fma_f64 v[22:23], v[22:23], v[26:27], -v[49:50]
	v_fma_f64 v[24:25], v[24:25], v[26:27], v[28:29]
	v_add_f64 v[26:27], v[30:31], 0
	v_add_f64 v[28:29], v[32:33], 0
	v_mul_f64 v[30:31], v[12:13], v[16:17]
	v_mul_f64 v[16:17], v[10:11], v[16:17]
	v_fma_f64 v[6:7], v[6:7], v[18:19], -v[34:35]
	v_fma_f64 v[8:9], v[8:9], v[18:19], v[20:21]
	v_add_f64 v[18:19], v[26:27], v[22:23]
	v_add_f64 v[20:21], v[28:29], v[24:25]
	v_fma_f64 v[10:11], v[10:11], v[14:15], -v[30:31]
	v_fma_f64 v[12:13], v[12:13], v[14:15], v[16:17]
	v_add_f64 v[6:7], v[18:19], v[6:7]
	v_add_f64 v[8:9], v[20:21], v[8:9]
	;; [unrolled: 1-line block ×4, first 2 shown]
	ds_write_b128 v46, v[6:9]
	s_waitcnt lgkmcnt(0)
	s_barrier
	s_and_saveexec_b64 s[4:5], s[2:3]
	s_cbranch_execz .LBB189_95
; %bb.94:
	ds_read_b128 v[6:9], v45
	ds_read_b128 v[10:13], v45 offset:16
	s_waitcnt lgkmcnt(1)
	v_add_f64 v[2:3], v[2:3], v[6:7]
	v_add_f64 v[4:5], v[4:5], v[8:9]
	s_waitcnt lgkmcnt(0)
	v_add_f64 v[10:11], v[2:3], v[10:11]
	v_add_f64 v[12:13], v[4:5], v[12:13]
	ds_read_b128 v[2:5], v45 offset:32
	ds_read_b128 v[6:9], v45 offset:48
	s_waitcnt lgkmcnt(1)
	v_add_f64 v[2:3], v[10:11], v[2:3]
	v_add_f64 v[4:5], v[12:13], v[4:5]
	s_waitcnt lgkmcnt(0)
	v_add_f64 v[10:11], v[2:3], v[6:7]
	v_add_f64 v[12:13], v[4:5], v[8:9]
	ds_read_b128 v[2:5], v45 offset:64
	;; [unrolled: 8-line block ×3, first 2 shown]
	ds_read_b128 v[6:9], v45 offset:112
	s_waitcnt lgkmcnt(1)
	v_add_f64 v[2:3], v[10:11], v[2:3]
	v_add_f64 v[4:5], v[12:13], v[4:5]
	s_waitcnt lgkmcnt(0)
	v_add_f64 v[2:3], v[2:3], v[6:7]
	v_add_f64 v[4:5], v[4:5], v[8:9]
.LBB189_95:
	s_or_b64 exec, exec, s[4:5]
	s_mul_hi_u32 s2, s21, s20
	s_mul_i32 s41, s41, s20
	s_add_i32 s2, s2, s41
	s_mul_i32 s4, s21, s20
	s_mul_i32 s2, s2, s7
	s_mul_hi_u32 s3, s4, s7
	s_add_i32 s3, s3, s2
	s_mul_i32 s2, s4, s7
	s_lshl_b64 s[2:3], s[2:3], 4
	s_add_u32 s4, s22, s2
	s_addc_u32 s5, s23, s3
	s_mul_hi_i32 s3, s21, s6
	s_mul_i32 s2, s21, s6
	s_lshl_b64 s[2:3], s[2:3], 4
	s_add_u32 s17, s4, s2
	s_addc_u32 s27, s5, s3
	s_add_i32 s8, s6, 1
	s_cmp_ge_u32 s8, s7
	v_lshlrev_b32_e32 v170, 4, v0
	s_barrier
	s_cbranch_scc1 .LBB189_153
; %bb.96:
	s_mul_i32 s2, s40, s26
	s_ashr_i32 s3, s2, 31
	s_lshl_b64 s[2:3], s[2:3], 4
	v_lshlrev_b32_e32 v171, 2, v1
	v_mov_b32_e32 v8, s3
	v_subrev_co_u32_e32 v172, vcc, s2, v38
	v_mad_u64_u32 v[6:7], s[4:5], s24, v171, v[0:1]
	v_subb_co_u32_e32 v173, vcc, v39, v8, vcc
	v_lshrrev_b32_e32 v8, 4, v44
	v_mov_b32_e32 v10, 0x4300
	v_lshl_add_u32 v175, v1, 6, v10
	v_lshlrev_b32_e32 v10, 6, v8
	v_mul_i32_i24_e32 v12, 0xffffffd0, v8
	v_and_b32_e32 v8, 48, v0
	v_and_b32_e32 v9, 15, v0
	s_movk_i32 s4, 0x430
	v_lshlrev_b32_e32 v8, 4, v8
	s_lshl_b32 s34, s40, 6
	s_lshl_b32 s14, s24, 4
	v_mad_u32_u24 v179, v9, s4, v8
	v_or_b32_e32 v8, 0xf0, v170
	s_ashr_i32 s25, s24, 31
	s_lshl_b32 s20, s24, 1
	s_mul_i32 s36, s24, 3
	s_mul_i32 s40, s40, s8
	v_ashrrev_i32_e32 v7, 31, v6
	s_add_i32 s26, s7, -2
	v_mad_u32_u24 v178, v9, s4, v10
	s_ashr_i32 s15, s14, 31
	v_mad_u32_u24 v180, v9, s4, v8
	s_ashr_i32 s21, s20, 31
	s_ashr_i32 s37, s36, 31
	s_lshl_b64 s[4:5], s[24:25], 4
	s_lshl_b32 s10, s40, 6
	s_lshl_b64 s[22:23], s[24:25], 5
	v_sub_co_u32_e32 v196, vcc, 0, v40
	s_add_u32 s11, s22, s28
	v_lshlrev_b64 v[8:9], 4, v[6:7]
	v_subb_co_u32_e32 v197, vcc, 0, v41, vcc
	s_addc_u32 s35, s23, s29
	v_mov_b32_e32 v10, s35
	v_add_co_u32_e32 v11, vcc, s11, v8
	v_addc_co_u32_e32 v10, vcc, v10, v9, vcc
	v_add_co_u32_e32 v198, vcc, v42, v11
	v_addc_co_u32_e32 v199, vcc, v43, v10, vcc
	v_mov_b32_e32 v10, s31
	v_add_co_u32_e32 v6, vcc, s30, v6
	v_addc_co_u32_e32 v7, vcc, v10, v7, vcc
	v_lshlrev_b64 v[6:7], 4, v[6:7]
	s_lshl_b64 s[12:13], s[14:15], 6
	v_mad_i64_i32 v[10:11], s[8:9], s14, 48, v[6:7]
	s_lshl_b64 s[8:9], s[36:37], 4
	v_mov_b32_e32 v13, s9
	v_add_co_u32_e32 v14, vcc, s8, v10
	v_addc_co_u32_e32 v13, vcc, v11, v13, vcc
	v_add_co_u32_e32 v200, vcc, v42, v14
	s_add_u32 s30, s4, s28
	v_addc_co_u32_e32 v201, vcc, v43, v13, vcc
	s_addc_u32 s31, s5, s29
	v_mov_b32_e32 v13, s31
	v_add_co_u32_e32 v14, vcc, s30, v8
	v_addc_co_u32_e32 v13, vcc, v13, v9, vcc
	v_add_co_u32_e32 v202, vcc, v42, v14
	v_addc_co_u32_e32 v203, vcc, v43, v13, vcc
	s_lshl_b64 s[20:21], s[20:21], 4
	v_mov_b32_e32 v13, s21
	v_add_co_u32_e32 v14, vcc, s20, v10
	v_addc_co_u32_e32 v13, vcc, v11, v13, vcc
	v_add_co_u32_e32 v204, vcc, v42, v14
	v_addc_co_u32_e32 v205, vcc, v43, v13, vcc
	v_mov_b32_e32 v13, s29
	v_add_co_u32_e32 v14, vcc, s28, v8
	v_addc_co_u32_e32 v13, vcc, v13, v9, vcc
	v_add_co_u32_e32 v206, vcc, v42, v14
	v_addc_co_u32_e32 v207, vcc, v43, v13, vcc
	s_mul_i32 s38, s24, 0x300
	v_add_co_u32_e32 v208, vcc, v42, v10
	s_add_u32 s24, s28, s20
	v_addc_co_u32_e32 v209, vcc, v43, v11, vcc
	s_addc_u32 s25, s29, s21
	v_mov_b32_e32 v13, s25
	v_add_co_u32_e32 v14, vcc, s24, v8
	v_addc_co_u32_e32 v13, vcc, v13, v9, vcc
	v_add_co_u32_e32 v210, vcc, v42, v14
	v_addc_co_u32_e32 v211, vcc, v43, v13, vcc
	v_mov_b32_e32 v13, s5
	v_add_co_u32_e32 v10, vcc, s4, v10
	v_addc_co_u32_e32 v11, vcc, v11, v13, vcc
	v_add_co_u32_e32 v212, vcc, v42, v10
	s_add_u32 s24, s28, s8
	v_addc_co_u32_e32 v213, vcc, v43, v11, vcc
	s_addc_u32 s25, s29, s9
	v_mov_b32_e32 v10, s25
	v_add_co_u32_e32 v11, vcc, s24, v8
	v_addc_co_u32_e32 v10, vcc, v10, v9, vcc
	s_lshl_b64 s[24:25], s[14:15], 4
	v_add_co_u32_e32 v214, vcc, v42, v11
	s_add_u32 s36, s11, s24
	v_addc_co_u32_e32 v215, vcc, v43, v10, vcc
	s_addc_u32 s37, s35, s25
	v_mov_b32_e32 v10, s37
	v_add_co_u32_e32 v11, vcc, s36, v8
	v_addc_co_u32_e32 v10, vcc, v10, v9, vcc
	s_mul_hi_i32 s39, s14, 48
	v_add_co_u32_e32 v216, vcc, v42, v11
	s_add_u32 s22, s38, s22
	v_addc_co_u32_e32 v217, vcc, v43, v10, vcc
	s_addc_u32 s23, s39, s23
	s_lshl_b64 s[14:15], s[14:15], 5
	v_mov_b32_e32 v10, s23
	v_add_co_u32_e32 v6, vcc, s22, v6
	s_add_u32 s22, s14, s28
	v_addc_co_u32_e32 v7, vcc, v10, v7, vcc
	s_addc_u32 s23, s15, s29
	v_add_co_u32_e32 v218, vcc, v42, v6
	s_add_u32 s36, s22, s8
	v_addc_co_u32_e32 v219, vcc, v43, v7, vcc
	s_addc_u32 s37, s23, s9
	v_mov_b32_e32 v6, s37
	v_add_co_u32_e32 v7, vcc, s36, v8
	v_addc_co_u32_e32 v6, vcc, v6, v9, vcc
	v_add_co_u32_e32 v220, vcc, v42, v7
	s_add_u32 s30, s30, s24
	v_addc_co_u32_e32 v221, vcc, v43, v6, vcc
	s_addc_u32 s31, s31, s25
	v_mov_b32_e32 v6, s31
	v_add_co_u32_e32 v7, vcc, s30, v8
	v_addc_co_u32_e32 v6, vcc, v6, v9, vcc
	v_add_co_u32_e32 v222, vcc, v42, v7
	s_add_u32 s30, s22, s20
	v_addc_co_u32_e32 v223, vcc, v43, v6, vcc
	s_addc_u32 s31, s23, s21
	v_mov_b32_e32 v6, s31
	v_add_co_u32_e32 v7, vcc, s30, v8
	v_addc_co_u32_e32 v6, vcc, v6, v9, vcc
	v_add_co_u32_e32 v224, vcc, v42, v7
	s_add_u32 s24, s28, s24
	v_addc_co_u32_e32 v225, vcc, v43, v6, vcc
	s_addc_u32 s25, s29, s25
	v_mov_b32_e32 v6, s25
	v_add_co_u32_e32 v7, vcc, s24, v8
	v_addc_co_u32_e32 v6, vcc, v6, v9, vcc
	v_add_co_u32_e32 v226, vcc, v42, v7
	v_addc_co_u32_e32 v227, vcc, v43, v6, vcc
	v_mov_b32_e32 v6, s23
	v_add_co_u32_e32 v7, vcc, s22, v8
	v_addc_co_u32_e32 v6, vcc, v6, v9, vcc
	v_add_co_u32_e32 v228, vcc, v42, v7
	s_add_u32 s20, s24, s20
	v_addc_co_u32_e32 v229, vcc, v43, v6, vcc
	s_addc_u32 s21, s25, s21
	v_mov_b32_e32 v6, s21
	v_add_co_u32_e32 v7, vcc, s20, v8
	v_addc_co_u32_e32 v6, vcc, v6, v9, vcc
	v_add_co_u32_e32 v230, vcc, v42, v7
	s_add_u32 s4, s22, s4
	v_addc_co_u32_e32 v231, vcc, v43, v6, vcc
	s_addc_u32 s5, s23, s5
	;; [unrolled: 7-line block ×4, first 2 shown]
	v_mov_b32_e32 v6, s5
	v_add_co_u32_e32 v7, vcc, s4, v8
	v_addc_co_u32_e32 v6, vcc, v6, v9, vcc
	s_movk_i32 s2, 0x10c0
	v_add_co_u32_e32 v236, vcc, v42, v7
	v_add_u32_e32 v174, 0x4300, v170
	v_add_u32_e32 v176, 0x4700, v170
	v_mad_u32_u24 v177, v1, s2, v170
	v_cmp_gt_u32_e64 s[2:3], 64, v44
	v_or_b32_e32 v181, 1, v171
	v_or_b32_e32 v182, 2, v171
	;; [unrolled: 1-line block ×3, first 2 shown]
	v_add_u32_e32 v184, 16, v171
	v_add_u32_e32 v185, 17, v171
	;; [unrolled: 1-line block ×13, first 2 shown]
	v_addc_co_u32_e32 v237, vcc, v43, v6, vcc
	v_add_u32_e32 v238, v178, v12
	v_mov_b32_e32 v6, 0
	s_cmp_eq_u32 s26, s6
	s_cselect_b32 s22, s33, 0
	s_and_saveexec_b64 s[4:5], s[0:1]
	s_cbranch_execz .LBB189_102
	s_branch .LBB189_98
.LBB189_97:                             ;   in Loop: Header=BB189_102 Depth=1
	s_mov_b32 s6, s4
	s_cmp_eq_u32 s26, s6
	s_cselect_b32 s22, s33, 0
	s_and_saveexec_b64 s[4:5], s[0:1]
	s_cbranch_execz .LBB189_102
.LBB189_98:
	s_cmp_lg_u32 s22, 0
	s_cselect_b64 s[8:9], -1, 0
	v_cmp_le_i32_e32 vcc, s22, v0
	s_and_b64 s[8:9], s[8:9], vcc
	s_and_saveexec_b64 s[14:15], s[8:9]
	s_xor_b64 s[8:9], exec, s[14:15]
; %bb.99:
	v_mov_b32_e32 v7, v6
	v_mov_b32_e32 v8, v6
	;; [unrolled: 1-line block ×3, first 2 shown]
	ds_write_b128 v174, v[6:9]
; %bb.100:
	s_andn2_saveexec_b64 s[8:9], s[8:9]
	s_cbranch_execz .LBB189_102
; %bb.101:
	s_ashr_i32 s11, s10, 31
	s_lshl_b64 s[8:9], s[10:11], 4
	v_mov_b32_e32 v8, s9
	v_add_co_u32_e32 v7, vcc, s8, v172
	v_addc_co_u32_e32 v8, vcc, v173, v8, vcc
	flat_load_dwordx4 v[7:10], v[7:8]
	s_waitcnt vmcnt(0) lgkmcnt(0)
	ds_write2_b64 v174, v[7:8], v[9:10] offset1:1
.LBB189_102:                            ; =>This Inner Loop Header: Depth=1
	s_or_b64 exec, exec, s[4:5]
	s_cmp_eq_u32 s22, 0
	v_add_co_u32_e32 v19, vcc, v206, v196
	s_cselect_b64 s[14:15], -1, 0
	s_cmp_lg_u32 s22, 0
	v_addc_co_u32_e32 v20, vcc, v207, v197, vcc
	s_cselect_b64 s[8:9], -1, 0
	s_and_b64 vcc, exec, s[8:9]
	s_waitcnt lgkmcnt(0)
	s_barrier
	s_cbranch_vccz .LBB189_110
; %bb.103:                              ;   in Loop: Header=BB189_102 Depth=1
	v_mov_b32_e32 v11, 0
	v_mov_b32_e32 v7, 0
	;; [unrolled: 1-line block ×6, first 2 shown]
	v_cmp_gt_i32_e32 vcc, s22, v171
	s_and_saveexec_b64 s[4:5], vcc
	s_cbranch_execz .LBB189_105
; %bb.104:                              ;   in Loop: Header=BB189_102 Depth=1
	flat_load_dwordx4 v[7:10], v[19:20]
.LBB189_105:                            ;   in Loop: Header=BB189_102 Depth=1
	s_or_b64 exec, exec, s[4:5]
	v_mov_b32_e32 v13, 0
	v_mov_b32_e32 v14, 0
	v_cmp_gt_i32_e32 vcc, s22, v181
	s_and_saveexec_b64 s[4:5], vcc
	s_cbranch_execz .LBB189_107
; %bb.106:                              ;   in Loop: Header=BB189_102 Depth=1
	v_add_co_u32_e32 v11, vcc, v202, v196
	v_addc_co_u32_e32 v12, vcc, v203, v197, vcc
	flat_load_dwordx4 v[11:14], v[11:12]
.LBB189_107:                            ;   in Loop: Header=BB189_102 Depth=1
	s_or_b64 exec, exec, s[4:5]
	v_mov_b32_e32 v15, 0
	v_mov_b32_e32 v17, 0
	;; [unrolled: 1-line block ×4, first 2 shown]
	v_cmp_gt_i32_e32 vcc, s22, v182
	s_and_saveexec_b64 s[4:5], vcc
	s_cbranch_execz .LBB189_109
; %bb.108:                              ;   in Loop: Header=BB189_102 Depth=1
	v_add_co_u32_e32 v15, vcc, v210, v196
	v_addc_co_u32_e32 v16, vcc, v211, v197, vcc
	flat_load_dwordx4 v[15:18], v[15:16]
.LBB189_109:                            ;   in Loop: Header=BB189_102 Depth=1
	s_or_b64 exec, exec, s[4:5]
	v_cmp_gt_i32_e64 s[4:5], s22, v183
	s_branch .LBB189_112
.LBB189_110:                            ;   in Loop: Header=BB189_102 Depth=1
	s_mov_b64 s[4:5], 0
                                        ; implicit-def: $vgpr17_vgpr18
                                        ; implicit-def: $vgpr13_vgpr14
                                        ; implicit-def: $vgpr9_vgpr10
	s_cbranch_execz .LBB189_112
; %bb.111:                              ;   in Loop: Header=BB189_102 Depth=1
	s_waitcnt vmcnt(0) lgkmcnt(0)
	v_add_co_u32_e32 v11, vcc, v202, v196
	v_addc_co_u32_e32 v12, vcc, v203, v197, vcc
	v_add_co_u32_e32 v15, vcc, v198, v196
	v_addc_co_u32_e32 v16, vcc, v199, v197, vcc
	flat_load_dwordx4 v[7:10], v[19:20]
	s_or_b64 s[4:5], s[4:5], exec
	flat_load_dwordx4 v[11:14], v[11:12]
	s_nop 0
	flat_load_dwordx4 v[15:18], v[15:16]
.LBB189_112:                            ;   in Loop: Header=BB189_102 Depth=1
	v_mov_b32_e32 v19, 0
	v_mov_b32_e32 v21, 0
	;; [unrolled: 1-line block ×4, first 2 shown]
	s_and_saveexec_b64 s[20:21], s[4:5]
	s_cbranch_execz .LBB189_114
; %bb.113:                              ;   in Loop: Header=BB189_102 Depth=1
	v_add_co_u32_e32 v19, vcc, v214, v196
	v_addc_co_u32_e32 v20, vcc, v215, v197, vcc
	flat_load_dwordx4 v[19:22], v[19:20]
.LBB189_114:                            ;   in Loop: Header=BB189_102 Depth=1
	s_or_b64 exec, exec, s[20:21]
	ds_read_b128 v[23:26], v176
	s_andn2_b64 vcc, exec, s[8:9]
	s_waitcnt vmcnt(0) lgkmcnt(0)
	v_mul_f64 v[27:28], v[9:10], v[25:26]
	v_mul_f64 v[29:30], v[7:8], v[25:26]
	v_mul_f64 v[31:32], v[13:14], v[25:26]
	v_mul_f64 v[33:34], v[11:12], v[25:26]
	v_mul_f64 v[35:36], v[17:18], v[25:26]
	v_mul_f64 v[37:38], v[15:16], v[25:26]
	v_mul_f64 v[43:44], v[21:22], v[25:26]
	v_mul_f64 v[25:26], v[19:20], v[25:26]
	v_fma_f64 v[27:28], v[7:8], v[23:24], -v[27:28]
	v_fma_f64 v[29:30], v[9:10], v[23:24], v[29:30]
	v_fma_f64 v[31:32], v[11:12], v[23:24], -v[31:32]
	v_fma_f64 v[33:34], v[13:14], v[23:24], v[33:34]
	;; [unrolled: 2-line block ×4, first 2 shown]
	ds_read_b128 v[47:50], v175
	ds_read_b128 v[43:46], v175 offset:16
	ds_read_b128 v[35:38], v175 offset:32
	;; [unrolled: 1-line block ×3, first 2 shown]
	ds_write_b128 v177, v[27:30]
	ds_write_b128 v177, v[31:34] offset:1072
	ds_write_b128 v177, v[39:42] offset:2144
	;; [unrolled: 1-line block ×3, first 2 shown]
	s_waitcnt lgkmcnt(0)
	s_barrier
	ds_read_b128 v[131:134], v178
	ds_read_b128 v[127:130], v178 offset:16
	ds_read_b128 v[123:126], v178 offset:32
	ds_read_b128 v[119:122], v178 offset:48
	v_cndmask_b32_e64 v27, 0, 1, s[8:9]
	v_add_co_u32_e64 v51, s[8:9], v226, v196
	v_cmp_ne_u32_e64 s[4:5], 1, v27
	v_addc_co_u32_e64 v52, s[8:9], v227, v197, s[8:9]
	s_waitcnt lgkmcnt(0)
	s_barrier
	s_cbranch_vccnz .LBB189_122
; %bb.115:                              ;   in Loop: Header=BB189_102 Depth=1
	v_mov_b32_e32 v27, 0
	v_mov_b32_e32 v31, 0
	;; [unrolled: 1-line block ×6, first 2 shown]
	v_cmp_gt_i32_e32 vcc, s22, v184
	s_and_saveexec_b64 s[8:9], vcc
	s_cbranch_execz .LBB189_117
; %bb.116:                              ;   in Loop: Header=BB189_102 Depth=1
	flat_load_dwordx4 v[31:34], v[51:52]
.LBB189_117:                            ;   in Loop: Header=BB189_102 Depth=1
	s_or_b64 exec, exec, s[8:9]
	v_mov_b32_e32 v29, 0
	v_mov_b32_e32 v30, 0
	v_cmp_gt_i32_e32 vcc, s22, v185
	s_and_saveexec_b64 s[8:9], vcc
	s_cbranch_execz .LBB189_119
; %bb.118:                              ;   in Loop: Header=BB189_102 Depth=1
	v_add_co_u32_e32 v27, vcc, v222, v196
	v_addc_co_u32_e32 v28, vcc, v223, v197, vcc
	flat_load_dwordx4 v[27:30], v[27:28]
.LBB189_119:                            ;   in Loop: Header=BB189_102 Depth=1
	s_or_b64 exec, exec, s[8:9]
	v_mov_b32_e32 v39, 0
	v_mov_b32_e32 v41, 0
	v_mov_b32_e32 v40, 0
	v_mov_b32_e32 v42, 0
	v_cmp_gt_i32_e32 vcc, s22, v186
	s_and_saveexec_b64 s[8:9], vcc
	s_cbranch_execz .LBB189_121
; %bb.120:                              ;   in Loop: Header=BB189_102 Depth=1
	v_add_co_u32_e32 v39, vcc, v230, v196
	v_addc_co_u32_e32 v40, vcc, v231, v197, vcc
	flat_load_dwordx4 v[39:42], v[39:40]
.LBB189_121:                            ;   in Loop: Header=BB189_102 Depth=1
	s_or_b64 exec, exec, s[8:9]
	v_cmp_gt_i32_e64 s[8:9], s22, v187
	s_branch .LBB189_124
.LBB189_122:                            ;   in Loop: Header=BB189_102 Depth=1
	s_mov_b64 s[8:9], 0
                                        ; implicit-def: $vgpr41_vgpr42
                                        ; implicit-def: $vgpr29_vgpr30
                                        ; implicit-def: $vgpr33_vgpr34
	s_cbranch_execz .LBB189_124
; %bb.123:                              ;   in Loop: Header=BB189_102 Depth=1
	s_waitcnt vmcnt(0) lgkmcnt(0)
	v_add_co_u32_e32 v27, vcc, v222, v196
	v_addc_co_u32_e32 v28, vcc, v223, v197, vcc
	v_add_co_u32_e32 v39, vcc, v216, v196
	v_addc_co_u32_e32 v40, vcc, v217, v197, vcc
	flat_load_dwordx4 v[31:34], v[51:52]
	s_or_b64 s[8:9], s[8:9], exec
	flat_load_dwordx4 v[27:30], v[27:28]
	s_nop 0
	flat_load_dwordx4 v[39:42], v[39:40]
.LBB189_124:                            ;   in Loop: Header=BB189_102 Depth=1
	v_mov_b32_e32 v51, 0
	v_mov_b32_e32 v53, 0
	;; [unrolled: 1-line block ×4, first 2 shown]
	s_and_saveexec_b64 s[20:21], s[8:9]
	s_cbranch_execz .LBB189_126
; %bb.125:                              ;   in Loop: Header=BB189_102 Depth=1
	v_add_co_u32_e32 v51, vcc, v234, v196
	v_addc_co_u32_e32 v52, vcc, v235, v197, vcc
	flat_load_dwordx4 v[51:54], v[51:52]
.LBB189_126:                            ;   in Loop: Header=BB189_102 Depth=1
	s_or_b64 exec, exec, s[20:21]
	ds_read_b128 v[55:58], v176
	s_and_b64 vcc, exec, s[4:5]
	s_waitcnt vmcnt(0) lgkmcnt(0)
	v_mul_f64 v[59:60], v[33:34], v[57:58]
	v_mul_f64 v[61:62], v[31:32], v[57:58]
	;; [unrolled: 1-line block ×8, first 2 shown]
	v_fma_f64 v[63:64], v[31:32], v[55:56], -v[59:60]
	v_fma_f64 v[65:66], v[33:34], v[55:56], v[61:62]
	v_fma_f64 v[67:68], v[27:28], v[55:56], -v[67:68]
	v_fma_f64 v[69:70], v[29:30], v[55:56], v[69:70]
	;; [unrolled: 2-line block ×4, first 2 shown]
	ds_read_b128 v[75:78], v175 offset:256
	ds_read_b128 v[71:74], v175 offset:272
	;; [unrolled: 1-line block ×4, first 2 shown]
	ds_write_b128 v177, v[63:66]
	ds_write_b128 v177, v[67:70] offset:1072
	ds_write_b128 v177, v[79:82] offset:2144
	;; [unrolled: 1-line block ×3, first 2 shown]
	s_waitcnt lgkmcnt(0)
	s_barrier
	ds_read_b128 v[147:150], v178
	ds_read_b128 v[143:146], v178 offset:16
	ds_read_b128 v[139:142], v178 offset:32
	ds_read_b128 v[135:138], v178 offset:48
	v_add_co_u32_e64 v83, s[8:9], v228, v196
	v_addc_co_u32_e64 v84, s[8:9], v229, v197, s[8:9]
	s_waitcnt lgkmcnt(0)
	s_barrier
	s_cbranch_vccnz .LBB189_134
; %bb.127:                              ;   in Loop: Header=BB189_102 Depth=1
	v_mov_b32_e32 v67, 0
	v_mov_b32_e32 v63, 0
	v_mov_b32_e32 v65, 0
	v_mov_b32_e32 v68, 0
	v_mov_b32_e32 v64, 0
	v_mov_b32_e32 v66, 0
	v_cmp_gt_i32_e32 vcc, s22, v188
	s_and_saveexec_b64 s[8:9], vcc
	s_cbranch_execz .LBB189_129
; %bb.128:                              ;   in Loop: Header=BB189_102 Depth=1
	flat_load_dwordx4 v[63:66], v[83:84]
.LBB189_129:                            ;   in Loop: Header=BB189_102 Depth=1
	s_or_b64 exec, exec, s[8:9]
	v_mov_b32_e32 v69, 0
	v_mov_b32_e32 v70, 0
	v_cmp_gt_i32_e32 vcc, s22, v189
	s_and_saveexec_b64 s[8:9], vcc
	s_cbranch_execz .LBB189_131
; %bb.130:                              ;   in Loop: Header=BB189_102 Depth=1
	v_add_co_u32_e32 v67, vcc, v232, v196
	v_addc_co_u32_e32 v68, vcc, v233, v197, vcc
	flat_load_dwordx4 v[67:70], v[67:68]
.LBB189_131:                            ;   in Loop: Header=BB189_102 Depth=1
	s_or_b64 exec, exec, s[8:9]
	v_mov_b32_e32 v79, 0
	v_mov_b32_e32 v81, 0
	;; [unrolled: 1-line block ×4, first 2 shown]
	v_cmp_gt_i32_e32 vcc, s22, v190
	s_and_saveexec_b64 s[8:9], vcc
	s_cbranch_execz .LBB189_133
; %bb.132:                              ;   in Loop: Header=BB189_102 Depth=1
	v_add_co_u32_e32 v79, vcc, v224, v196
	v_addc_co_u32_e32 v80, vcc, v225, v197, vcc
	flat_load_dwordx4 v[79:82], v[79:80]
.LBB189_133:                            ;   in Loop: Header=BB189_102 Depth=1
	s_or_b64 exec, exec, s[8:9]
	v_cmp_gt_i32_e64 s[8:9], s22, v191
	s_branch .LBB189_136
.LBB189_134:                            ;   in Loop: Header=BB189_102 Depth=1
	s_mov_b64 s[8:9], 0
                                        ; implicit-def: $vgpr81_vgpr82
                                        ; implicit-def: $vgpr69_vgpr70
                                        ; implicit-def: $vgpr65_vgpr66
	s_cbranch_execz .LBB189_136
; %bb.135:                              ;   in Loop: Header=BB189_102 Depth=1
	s_waitcnt vmcnt(0) lgkmcnt(0)
	v_add_co_u32_e32 v67, vcc, v232, v196
	v_addc_co_u32_e32 v68, vcc, v233, v197, vcc
	v_add_co_u32_e32 v79, vcc, v236, v196
	v_addc_co_u32_e32 v80, vcc, v237, v197, vcc
	flat_load_dwordx4 v[63:66], v[83:84]
	s_or_b64 s[8:9], s[8:9], exec
	flat_load_dwordx4 v[67:70], v[67:68]
	s_nop 0
	flat_load_dwordx4 v[79:82], v[79:80]
.LBB189_136:                            ;   in Loop: Header=BB189_102 Depth=1
	v_mov_b32_e32 v83, 0
	v_mov_b32_e32 v85, 0
	;; [unrolled: 1-line block ×4, first 2 shown]
	s_and_saveexec_b64 s[20:21], s[8:9]
	s_cbranch_execz .LBB189_138
; %bb.137:                              ;   in Loop: Header=BB189_102 Depth=1
	v_add_co_u32_e32 v83, vcc, v220, v196
	v_addc_co_u32_e32 v84, vcc, v221, v197, vcc
	flat_load_dwordx4 v[83:86], v[83:84]
.LBB189_138:                            ;   in Loop: Header=BB189_102 Depth=1
	s_or_b64 exec, exec, s[20:21]
	ds_read_b128 v[87:90], v176
	s_and_b64 vcc, exec, s[4:5]
	s_waitcnt vmcnt(0) lgkmcnt(0)
	v_mul_f64 v[91:92], v[65:66], v[89:90]
	v_mul_f64 v[93:94], v[63:64], v[89:90]
	;; [unrolled: 1-line block ×8, first 2 shown]
	v_fma_f64 v[103:104], v[63:64], v[87:88], -v[91:92]
	v_fma_f64 v[105:106], v[65:66], v[87:88], v[93:94]
	v_fma_f64 v[107:108], v[67:68], v[87:88], -v[95:96]
	v_fma_f64 v[109:110], v[69:70], v[87:88], v[97:98]
	;; [unrolled: 2-line block ×4, first 2 shown]
	ds_read_b128 v[99:102], v175 offset:512
	ds_read_b128 v[95:98], v175 offset:528
	;; [unrolled: 1-line block ×4, first 2 shown]
	ds_write_b128 v177, v[103:106]
	ds_write_b128 v177, v[107:110] offset:1072
	ds_write_b128 v177, v[111:114] offset:2144
	;; [unrolled: 1-line block ×3, first 2 shown]
	s_waitcnt lgkmcnt(0)
	s_barrier
	ds_read_b128 v[163:166], v178
	ds_read_b128 v[159:162], v178 offset:16
	ds_read_b128 v[155:158], v178 offset:32
	;; [unrolled: 1-line block ×3, first 2 shown]
	v_add_co_u32_e64 v115, s[4:5], v208, v196
	v_addc_co_u32_e64 v116, s[4:5], v209, v197, s[4:5]
	s_waitcnt lgkmcnt(0)
	s_barrier
	s_cbranch_vccnz .LBB189_146
; %bb.139:                              ;   in Loop: Header=BB189_102 Depth=1
	v_mov_b32_e32 v107, 0
	v_mov_b32_e32 v103, 0
	;; [unrolled: 1-line block ×6, first 2 shown]
	v_cmp_gt_i32_e32 vcc, s22, v192
	s_and_saveexec_b64 s[4:5], vcc
	s_cbranch_execz .LBB189_141
; %bb.140:                              ;   in Loop: Header=BB189_102 Depth=1
	flat_load_dwordx4 v[103:106], v[115:116]
.LBB189_141:                            ;   in Loop: Header=BB189_102 Depth=1
	s_or_b64 exec, exec, s[4:5]
	v_mov_b32_e32 v109, 0
	v_mov_b32_e32 v110, 0
	v_cmp_gt_i32_e32 vcc, s22, v193
	s_and_saveexec_b64 s[4:5], vcc
	s_cbranch_execz .LBB189_143
; %bb.142:                              ;   in Loop: Header=BB189_102 Depth=1
	v_add_co_u32_e32 v107, vcc, v212, v196
	v_addc_co_u32_e32 v108, vcc, v213, v197, vcc
	flat_load_dwordx4 v[107:110], v[107:108]
.LBB189_143:                            ;   in Loop: Header=BB189_102 Depth=1
	s_or_b64 exec, exec, s[4:5]
	v_mov_b32_e32 v111, 0
	v_mov_b32_e32 v113, 0
	;; [unrolled: 1-line block ×4, first 2 shown]
	v_cmp_gt_i32_e32 vcc, s22, v194
	s_and_saveexec_b64 s[4:5], vcc
	s_cbranch_execz .LBB189_145
; %bb.144:                              ;   in Loop: Header=BB189_102 Depth=1
	v_add_co_u32_e32 v111, vcc, v204, v196
	v_addc_co_u32_e32 v112, vcc, v205, v197, vcc
	flat_load_dwordx4 v[111:114], v[111:112]
.LBB189_145:                            ;   in Loop: Header=BB189_102 Depth=1
	s_or_b64 exec, exec, s[4:5]
	v_cmp_gt_i32_e64 s[4:5], s22, v195
	s_branch .LBB189_148
.LBB189_146:                            ;   in Loop: Header=BB189_102 Depth=1
	s_mov_b64 s[4:5], 0
                                        ; implicit-def: $vgpr113_vgpr114
                                        ; implicit-def: $vgpr109_vgpr110
                                        ; implicit-def: $vgpr105_vgpr106
	s_cbranch_execz .LBB189_148
; %bb.147:                              ;   in Loop: Header=BB189_102 Depth=1
	s_waitcnt vmcnt(0) lgkmcnt(0)
	v_add_co_u32_e32 v107, vcc, v212, v196
	v_addc_co_u32_e32 v108, vcc, v213, v197, vcc
	v_add_co_u32_e32 v111, vcc, v218, v196
	v_addc_co_u32_e32 v112, vcc, v219, v197, vcc
	flat_load_dwordx4 v[103:106], v[115:116]
	s_or_b64 s[4:5], s[4:5], exec
	flat_load_dwordx4 v[107:110], v[107:108]
	s_nop 0
	flat_load_dwordx4 v[111:114], v[111:112]
.LBB189_148:                            ;   in Loop: Header=BB189_102 Depth=1
	v_mov_b32_e32 v115, 0
	v_mov_b32_e32 v117, 0
	;; [unrolled: 1-line block ×4, first 2 shown]
	s_and_saveexec_b64 s[8:9], s[4:5]
	s_cbranch_execz .LBB189_150
; %bb.149:                              ;   in Loop: Header=BB189_102 Depth=1
	v_add_co_u32_e32 v115, vcc, v200, v196
	v_addc_co_u32_e32 v116, vcc, v201, v197, vcc
	flat_load_dwordx4 v[115:118], v[115:116]
.LBB189_150:                            ;   in Loop: Header=BB189_102 Depth=1
	s_or_b64 exec, exec, s[8:9]
	v_add_f64 v[147:148], v[147:148], 0
	v_add_f64 v[149:150], v[149:150], 0
	;; [unrolled: 1-line block ×6, first 2 shown]
	v_cmp_gt_i32_e32 vcc, s22, v0
	s_or_b64 s[4:5], s[14:15], vcc
	v_add_f64 v[143:144], v[147:148], v[143:144]
	v_add_f64 v[145:146], v[149:150], v[145:146]
	;; [unrolled: 1-line block ×6, first 2 shown]
	s_and_b64 s[8:9], s[2:3], s[4:5]
	v_add_f64 v[139:140], v[143:144], v[139:140]
	v_add_f64 v[141:142], v[145:146], v[141:142]
	;; [unrolled: 1-line block ×10, first 2 shown]
	ds_read_b128 v[143:146], v176
	ds_read_b128 v[131:134], v175 offset:768
	ds_read_b128 v[127:130], v175 offset:784
	;; [unrolled: 1-line block ×4, first 2 shown]
	s_waitcnt vmcnt(0) lgkmcnt(0)
	v_mul_f64 v[147:148], v[105:106], v[145:146]
	v_mul_f64 v[149:150], v[103:104], v[145:146]
	v_add_f64 v[151:152], v[155:156], v[151:152]
	v_add_f64 v[153:154], v[157:158], v[153:154]
	v_fma_f64 v[147:148], v[103:104], v[143:144], -v[147:148]
	v_fma_f64 v[149:150], v[105:106], v[143:144], v[149:150]
	ds_write_b128 v177, v[147:150]
	v_mul_f64 v[147:148], v[109:110], v[145:146]
	v_mul_f64 v[149:150], v[107:108], v[145:146]
	v_fma_f64 v[147:148], v[107:108], v[143:144], -v[147:148]
	v_fma_f64 v[149:150], v[109:110], v[143:144], v[149:150]
	ds_write_b128 v177, v[147:150] offset:1072
	v_mul_f64 v[147:148], v[113:114], v[145:146]
	v_mul_f64 v[149:150], v[111:112], v[145:146]
	v_fma_f64 v[147:148], v[111:112], v[143:144], -v[147:148]
	v_fma_f64 v[149:150], v[113:114], v[143:144], v[149:150]
	ds_write_b128 v177, v[147:150] offset:2144
	;; [unrolled: 5-line block ×3, first 2 shown]
	s_waitcnt lgkmcnt(0)
	s_barrier
	ds_read_b128 v[143:146], v178
	ds_read_b128 v[147:150], v178 offset:16
	ds_read_b128 v[155:158], v178 offset:32
	;; [unrolled: 1-line block ×3, first 2 shown]
	s_waitcnt lgkmcnt(0)
	v_add_f64 v[143:144], v[143:144], 0
	v_add_f64 v[145:146], v[145:146], 0
	s_barrier
	v_add_f64 v[143:144], v[143:144], v[147:148]
	v_add_f64 v[145:146], v[145:146], v[149:150]
	;; [unrolled: 1-line block ×6, first 2 shown]
	ds_write_b128 v238, v[139:142]
	ds_write_b128 v238, v[135:138] offset:256
	ds_write_b128 v238, v[151:154] offset:512
	;; [unrolled: 1-line block ×3, first 2 shown]
	s_waitcnt lgkmcnt(0)
	s_barrier
	s_and_saveexec_b64 s[4:5], s[8:9]
	s_cbranch_execz .LBB189_152
; %bb.151:                              ;   in Loop: Header=BB189_102 Depth=1
	ds_read_b128 v[135:138], v179
	ds_read_b128 v[139:142], v179 offset:16
	v_ashrrev_i32_e32 v169, 31, v168
	s_waitcnt lgkmcnt(0)
	v_add_f64 v[143:144], v[139:140], v[135:136]
	v_add_f64 v[145:146], v[141:142], v[137:138]
	ds_read_b128 v[135:138], v179 offset:32
	ds_read_b128 v[139:142], v179 offset:48
	s_waitcnt lgkmcnt(1)
	v_add_f64 v[135:136], v[143:144], v[135:136]
	v_add_f64 v[137:138], v[145:146], v[137:138]
	s_waitcnt lgkmcnt(0)
	v_add_f64 v[143:144], v[135:136], v[139:140]
	v_add_f64 v[145:146], v[137:138], v[141:142]
	ds_read_b128 v[135:138], v179 offset:64
	ds_read_b128 v[139:142], v179 offset:80
	s_waitcnt lgkmcnt(1)
	v_add_f64 v[135:136], v[143:144], v[135:136]
	v_add_f64 v[137:138], v[145:146], v[137:138]
	;; [unrolled: 8-line block ×6, first 2 shown]
	s_waitcnt lgkmcnt(0)
	v_add_f64 v[143:144], v[135:136], v[139:140]
	v_add_f64 v[145:146], v[137:138], v[141:142]
	ds_read_b128 v[135:138], v179 offset:224
	ds_read_b128 v[139:142], v180
	s_waitcnt lgkmcnt(1)
	v_add_f64 v[135:136], v[143:144], v[135:136]
	v_add_f64 v[137:138], v[145:146], v[137:138]
	s_waitcnt lgkmcnt(0)
	v_add_f64 v[135:136], v[135:136], v[139:140]
	v_add_f64 v[137:138], v[137:138], v[141:142]
	v_lshlrev_b64 v[139:140], 4, v[168:169]
	v_mov_b32_e32 v141, s27
	v_add_co_u32_e32 v139, vcc, s17, v139
	v_addc_co_u32_e32 v140, vcc, v141, v140, vcc
	global_store_dwordx4 v[139:140], v[135:138], off
.LBB189_152:                            ;   in Loop: Header=BB189_102 Depth=1
	s_or_b64 exec, exec, s[4:5]
	v_mul_f64 v[135:136], v[9:10], v[49:50]
	v_mul_f64 v[49:50], v[7:8], v[49:50]
	;; [unrolled: 1-line block ×4, first 2 shown]
	v_add_co_u32_e32 v198, vcc, s12, v198
	s_add_i32 s4, s6, 1
	s_add_i32 s10, s10, s34
	v_fma_f64 v[7:8], v[7:8], v[47:48], -v[135:136]
	v_fma_f64 v[9:10], v[9:10], v[47:48], v[49:50]
	v_mul_f64 v[47:48], v[17:18], v[37:38]
	v_mul_f64 v[37:38], v[15:16], v[37:38]
	v_fma_f64 v[11:12], v[11:12], v[43:44], -v[137:138]
	v_fma_f64 v[13:14], v[13:14], v[43:44], v[45:46]
	v_mul_f64 v[49:50], v[21:22], v[25:26]
	v_mul_f64 v[25:26], v[19:20], v[25:26]
	v_add_f64 v[2:3], v[2:3], v[7:8]
	v_add_f64 v[4:5], v[4:5], v[9:10]
	v_fma_f64 v[15:16], v[15:16], v[35:36], -v[47:48]
	v_fma_f64 v[17:18], v[17:18], v[35:36], v[37:38]
	v_mul_f64 v[7:8], v[33:34], v[77:78]
	v_mul_f64 v[9:10], v[31:32], v[77:78]
	v_fma_f64 v[19:20], v[19:20], v[23:24], -v[49:50]
	v_fma_f64 v[21:22], v[21:22], v[23:24], v[25:26]
	v_add_f64 v[2:3], v[2:3], v[11:12]
	v_add_f64 v[4:5], v[4:5], v[13:14]
	v_mul_f64 v[43:44], v[29:30], v[73:74]
	v_mul_f64 v[45:46], v[27:28], v[73:74]
	v_fma_f64 v[7:8], v[31:32], v[75:76], -v[7:8]
	v_fma_f64 v[9:10], v[33:34], v[75:76], v[9:10]
	v_mul_f64 v[11:12], v[41:42], v[61:62]
	v_mul_f64 v[13:14], v[39:40], v[61:62]
	v_add_f64 v[2:3], v[2:3], v[15:16]
	v_add_f64 v[4:5], v[4:5], v[17:18]
	v_fma_f64 v[27:28], v[27:28], v[71:72], -v[43:44]
	v_fma_f64 v[29:30], v[29:30], v[71:72], v[45:46]
	v_mul_f64 v[35:36], v[53:54], v[57:58]
	v_mul_f64 v[37:38], v[51:52], v[57:58]
	v_fma_f64 v[11:12], v[39:40], v[59:60], -v[11:12]
	v_fma_f64 v[13:14], v[41:42], v[59:60], v[13:14]
	v_add_f64 v[2:3], v[2:3], v[19:20]
	v_add_f64 v[4:5], v[4:5], v[21:22]
	v_mul_f64 v[15:16], v[65:66], v[101:102]
	v_mul_f64 v[17:18], v[63:64], v[101:102]
	v_fma_f64 v[35:36], v[51:52], v[55:56], -v[35:36]
	v_fma_f64 v[37:38], v[53:54], v[55:56], v[37:38]
	v_mul_f64 v[23:24], v[69:70], v[97:98]
	v_mul_f64 v[25:26], v[67:68], v[97:98]
	v_add_f64 v[2:3], v[2:3], v[7:8]
	v_add_f64 v[4:5], v[4:5], v[9:10]
	v_mul_f64 v[19:20], v[81:82], v[93:94]
	v_mul_f64 v[21:22], v[79:80], v[93:94]
	;; [unrolled: 1-line block ×6, first 2 shown]
	v_add_f64 v[2:3], v[2:3], v[27:28]
	v_add_f64 v[4:5], v[4:5], v[29:30]
	v_mul_f64 v[43:44], v[109:110], v[129:130]
	v_mul_f64 v[45:46], v[107:108], v[129:130]
	;; [unrolled: 1-line block ×4, first 2 shown]
	v_fma_f64 v[7:8], v[103:104], v[131:132], -v[7:8]
	v_fma_f64 v[9:10], v[105:106], v[131:132], v[9:10]
	v_add_f64 v[2:3], v[2:3], v[11:12]
	v_add_f64 v[4:5], v[4:5], v[13:14]
	v_fma_f64 v[11:12], v[63:64], v[99:100], -v[15:16]
	v_fma_f64 v[13:14], v[65:66], v[99:100], v[17:18]
	v_fma_f64 v[15:16], v[67:68], v[95:96], -v[23:24]
	v_fma_f64 v[17:18], v[69:70], v[95:96], v[25:26]
	v_mul_f64 v[39:40], v[117:118], v[121:122]
	v_mul_f64 v[41:42], v[115:116], v[121:122]
	v_add_f64 v[2:3], v[2:3], v[35:36]
	v_add_f64 v[4:5], v[4:5], v[37:38]
	v_mov_b32_e32 v35, s13
	v_addc_co_u32_e32 v199, vcc, v199, v35, vcc
	v_add_co_u32_e32 v200, vcc, s12, v200
	v_addc_co_u32_e32 v201, vcc, v201, v35, vcc
	v_add_f64 v[2:3], v[2:3], v[11:12]
	v_add_f64 v[4:5], v[4:5], v[13:14]
	v_fma_f64 v[11:12], v[79:80], v[91:92], -v[19:20]
	v_fma_f64 v[13:14], v[81:82], v[91:92], v[21:22]
	v_add_co_u32_e32 v202, vcc, s12, v202
	v_addc_co_u32_e32 v203, vcc, v203, v35, vcc
	v_add_f64 v[2:3], v[2:3], v[15:16]
	v_add_f64 v[4:5], v[4:5], v[17:18]
	v_fma_f64 v[15:16], v[83:84], v[87:88], -v[31:32]
	v_fma_f64 v[17:18], v[85:86], v[87:88], v[33:34]
	;; [unrolled: 6-line block ×3, first 2 shown]
	v_add_co_u32_e32 v206, vcc, s12, v206
	v_addc_co_u32_e32 v207, vcc, v207, v35, vcc
	v_add_f64 v[2:3], v[2:3], v[15:16]
	v_add_f64 v[4:5], v[4:5], v[17:18]
	v_add_co_u32_e32 v208, vcc, s12, v208
	v_addc_co_u32_e32 v209, vcc, v209, v35, vcc
	v_add_co_u32_e32 v210, vcc, s12, v210
	v_add_f64 v[2:3], v[2:3], v[7:8]
	v_add_f64 v[4:5], v[4:5], v[9:10]
	v_addc_co_u32_e32 v211, vcc, v211, v35, vcc
	v_add_co_u32_e32 v212, vcc, s12, v212
	v_addc_co_u32_e32 v213, vcc, v213, v35, vcc
	v_fma_f64 v[7:8], v[111:112], v[123:124], -v[27:28]
	v_fma_f64 v[9:10], v[113:114], v[123:124], v[29:30]
	v_add_f64 v[2:3], v[2:3], v[11:12]
	v_add_f64 v[4:5], v[4:5], v[13:14]
	v_add_co_u32_e32 v214, vcc, s12, v214
	v_addc_co_u32_e32 v215, vcc, v215, v35, vcc
	v_add_co_u32_e32 v216, vcc, s12, v216
	v_addc_co_u32_e32 v217, vcc, v217, v35, vcc
	;; [unrolled: 2-line block ×4, first 2 shown]
	v_fma_f64 v[11:12], v[115:116], v[119:120], -v[39:40]
	v_fma_f64 v[13:14], v[117:118], v[119:120], v[41:42]
	v_add_f64 v[2:3], v[2:3], v[7:8]
	v_add_f64 v[4:5], v[4:5], v[9:10]
	v_add_co_u32_e32 v222, vcc, s12, v222
	v_addc_co_u32_e32 v223, vcc, v223, v35, vcc
	v_add_co_u32_e32 v224, vcc, s12, v224
	v_addc_co_u32_e32 v225, vcc, v225, v35, vcc
	;; [unrolled: 2-line block ×4, first 2 shown]
	v_add_f64 v[2:3], v[2:3], v[11:12]
	v_add_f64 v[4:5], v[4:5], v[13:14]
	v_add_co_u32_e32 v230, vcc, s12, v230
	v_addc_co_u32_e32 v231, vcc, v231, v35, vcc
	v_add_co_u32_e32 v232, vcc, s12, v232
	v_addc_co_u32_e32 v233, vcc, v233, v35, vcc
	;; [unrolled: 2-line block ×3, first 2 shown]
	s_add_i32 s5, s6, 2
	v_add_co_u32_e32 v236, vcc, s12, v236
	v_add_u32_e32 v168, 64, v168
	s_cmp_ge_u32 s5, s7
	v_addc_co_u32_e32 v237, vcc, v237, v35, vcc
	s_waitcnt vmcnt(0)
	s_barrier
	s_cbranch_scc0 .LBB189_97
.LBB189_153:
	s_movk_i32 s2, 0x430
	v_cmp_gt_i32_e32 vcc, s16, v0
	v_mad_u32_u24 v1, v1, s2, v170
	s_or_b64 s[2:3], s[18:19], vcc
	s_and_b64 s[0:1], s[0:1], s[2:3]
	ds_write_b128 v1, v[2:5]
	s_waitcnt lgkmcnt(0)
	s_barrier
	s_and_saveexec_b64 s[2:3], s[0:1]
	s_cbranch_execz .LBB189_155
; %bb.154:
	ds_read_b128 v[0:3], v170 offset:1072
	ds_read_b128 v[4:7], v170
	v_ashrrev_i32_e32 v168, 31, v167
	s_waitcnt lgkmcnt(0)
	v_add_f64 v[8:9], v[0:1], v[4:5]
	v_add_f64 v[10:11], v[2:3], v[6:7]
	ds_read_b128 v[0:3], v170 offset:2144
	ds_read_b128 v[4:7], v170 offset:3216
	s_waitcnt lgkmcnt(1)
	v_add_f64 v[0:1], v[8:9], v[0:1]
	v_add_f64 v[2:3], v[10:11], v[2:3]
	s_waitcnt lgkmcnt(0)
	v_add_f64 v[0:1], v[0:1], v[4:5]
	v_add_f64 v[2:3], v[2:3], v[6:7]
	v_lshlrev_b64 v[4:5], 4, v[167:168]
	v_mov_b32_e32 v6, s27
	v_add_co_u32_e32 v4, vcc, s17, v4
	v_addc_co_u32_e32 v5, vcc, v6, v5, vcc
	global_store_dwordx4 v[4:5], v[0:3], off
.LBB189_155:
	s_endpgm
	.section	.rodata,"a",@progbits
	.p2align	6, 0x0
	.amdhsa_kernel _ZL26rocblas_hemvn_kernel_upperILb0ELi64ELi4ELi33ELi32ELi16EiPK19rocblas_complex_numIdEPKS3_PS1_EviT6_lT7_lT5_lS8_lS9_lS7_lT8_i
		.amdhsa_group_segment_fixed_size 19200
		.amdhsa_private_segment_fixed_size 0
		.amdhsa_kernarg_size 376
		.amdhsa_user_sgpr_count 6
		.amdhsa_user_sgpr_private_segment_buffer 1
		.amdhsa_user_sgpr_dispatch_ptr 0
		.amdhsa_user_sgpr_queue_ptr 0
		.amdhsa_user_sgpr_kernarg_segment_ptr 1
		.amdhsa_user_sgpr_dispatch_id 0
		.amdhsa_user_sgpr_flat_scratch_init 0
		.amdhsa_user_sgpr_private_segment_size 0
		.amdhsa_uses_dynamic_stack 0
		.amdhsa_system_sgpr_private_segment_wavefront_offset 0
		.amdhsa_system_sgpr_workgroup_id_x 1
		.amdhsa_system_sgpr_workgroup_id_y 0
		.amdhsa_system_sgpr_workgroup_id_z 1
		.amdhsa_system_sgpr_workgroup_info 0
		.amdhsa_system_vgpr_workitem_id 1
		.amdhsa_next_free_vgpr 239
		.amdhsa_next_free_sgpr 98
		.amdhsa_reserve_vcc 1
		.amdhsa_reserve_flat_scratch 0
		.amdhsa_float_round_mode_32 0
		.amdhsa_float_round_mode_16_64 0
		.amdhsa_float_denorm_mode_32 3
		.amdhsa_float_denorm_mode_16_64 3
		.amdhsa_dx10_clamp 1
		.amdhsa_ieee_mode 1
		.amdhsa_fp16_overflow 0
		.amdhsa_exception_fp_ieee_invalid_op 0
		.amdhsa_exception_fp_denorm_src 0
		.amdhsa_exception_fp_ieee_div_zero 0
		.amdhsa_exception_fp_ieee_overflow 0
		.amdhsa_exception_fp_ieee_underflow 0
		.amdhsa_exception_fp_ieee_inexact 0
		.amdhsa_exception_int_div_zero 0
	.end_amdhsa_kernel
	.section	.text._ZL26rocblas_hemvn_kernel_upperILb0ELi64ELi4ELi33ELi32ELi16EiPK19rocblas_complex_numIdEPKS3_PS1_EviT6_lT7_lT5_lS8_lS9_lS7_lT8_i,"axG",@progbits,_ZL26rocblas_hemvn_kernel_upperILb0ELi64ELi4ELi33ELi32ELi16EiPK19rocblas_complex_numIdEPKS3_PS1_EviT6_lT7_lT5_lS8_lS9_lS7_lT8_i,comdat
.Lfunc_end189:
	.size	_ZL26rocblas_hemvn_kernel_upperILb0ELi64ELi4ELi33ELi32ELi16EiPK19rocblas_complex_numIdEPKS3_PS1_EviT6_lT7_lT5_lS8_lS9_lS7_lT8_i, .Lfunc_end189-_ZL26rocblas_hemvn_kernel_upperILb0ELi64ELi4ELi33ELi32ELi16EiPK19rocblas_complex_numIdEPKS3_PS1_EviT6_lT7_lT5_lS8_lS9_lS7_lT8_i
                                        ; -- End function
	.set _ZL26rocblas_hemvn_kernel_upperILb0ELi64ELi4ELi33ELi32ELi16EiPK19rocblas_complex_numIdEPKS3_PS1_EviT6_lT7_lT5_lS8_lS9_lS7_lT8_i.num_vgpr, 239
	.set _ZL26rocblas_hemvn_kernel_upperILb0ELi64ELi4ELi33ELi32ELi16EiPK19rocblas_complex_numIdEPKS3_PS1_EviT6_lT7_lT5_lS8_lS9_lS7_lT8_i.num_agpr, 0
	.set _ZL26rocblas_hemvn_kernel_upperILb0ELi64ELi4ELi33ELi32ELi16EiPK19rocblas_complex_numIdEPKS3_PS1_EviT6_lT7_lT5_lS8_lS9_lS7_lT8_i.numbered_sgpr, 44
	.set _ZL26rocblas_hemvn_kernel_upperILb0ELi64ELi4ELi33ELi32ELi16EiPK19rocblas_complex_numIdEPKS3_PS1_EviT6_lT7_lT5_lS8_lS9_lS7_lT8_i.num_named_barrier, 0
	.set _ZL26rocblas_hemvn_kernel_upperILb0ELi64ELi4ELi33ELi32ELi16EiPK19rocblas_complex_numIdEPKS3_PS1_EviT6_lT7_lT5_lS8_lS9_lS7_lT8_i.private_seg_size, 0
	.set _ZL26rocblas_hemvn_kernel_upperILb0ELi64ELi4ELi33ELi32ELi16EiPK19rocblas_complex_numIdEPKS3_PS1_EviT6_lT7_lT5_lS8_lS9_lS7_lT8_i.uses_vcc, 1
	.set _ZL26rocblas_hemvn_kernel_upperILb0ELi64ELi4ELi33ELi32ELi16EiPK19rocblas_complex_numIdEPKS3_PS1_EviT6_lT7_lT5_lS8_lS9_lS7_lT8_i.uses_flat_scratch, 0
	.set _ZL26rocblas_hemvn_kernel_upperILb0ELi64ELi4ELi33ELi32ELi16EiPK19rocblas_complex_numIdEPKS3_PS1_EviT6_lT7_lT5_lS8_lS9_lS7_lT8_i.has_dyn_sized_stack, 0
	.set _ZL26rocblas_hemvn_kernel_upperILb0ELi64ELi4ELi33ELi32ELi16EiPK19rocblas_complex_numIdEPKS3_PS1_EviT6_lT7_lT5_lS8_lS9_lS7_lT8_i.has_recursion, 0
	.set _ZL26rocblas_hemvn_kernel_upperILb0ELi64ELi4ELi33ELi32ELi16EiPK19rocblas_complex_numIdEPKS3_PS1_EviT6_lT7_lT5_lS8_lS9_lS7_lT8_i.has_indirect_call, 0
	.section	.AMDGPU.csdata,"",@progbits
; Kernel info:
; codeLenInByte = 10764
; TotalNumSgprs: 48
; NumVgprs: 239
; ScratchSize: 0
; MemoryBound: 1
; FloatMode: 240
; IeeeMode: 1
; LDSByteSize: 19200 bytes/workgroup (compile time only)
; SGPRBlocks: 12
; VGPRBlocks: 59
; NumSGPRsForWavesPerEU: 102
; NumVGPRsForWavesPerEU: 239
; Occupancy: 1
; WaveLimiterHint : 1
; COMPUTE_PGM_RSRC2:SCRATCH_EN: 0
; COMPUTE_PGM_RSRC2:USER_SGPR: 6
; COMPUTE_PGM_RSRC2:TRAP_HANDLER: 0
; COMPUTE_PGM_RSRC2:TGID_X_EN: 1
; COMPUTE_PGM_RSRC2:TGID_Y_EN: 0
; COMPUTE_PGM_RSRC2:TGID_Z_EN: 1
; COMPUTE_PGM_RSRC2:TIDIG_COMP_CNT: 1
	.section	.text._ZL26rocblas_hemvn_kernel_upperILb0ELi64ELi4ELi33ELi32ELi16El19rocblas_complex_numIdEPKPKS1_PS1_EviT6_lT7_lT5_lS8_lS9_lS7_lT8_i,"axG",@progbits,_ZL26rocblas_hemvn_kernel_upperILb0ELi64ELi4ELi33ELi32ELi16El19rocblas_complex_numIdEPKPKS1_PS1_EviT6_lT7_lT5_lS8_lS9_lS7_lT8_i,comdat
	.globl	_ZL26rocblas_hemvn_kernel_upperILb0ELi64ELi4ELi33ELi32ELi16El19rocblas_complex_numIdEPKPKS1_PS1_EviT6_lT7_lT5_lS8_lS9_lS7_lT8_i ; -- Begin function _ZL26rocblas_hemvn_kernel_upperILb0ELi64ELi4ELi33ELi32ELi16El19rocblas_complex_numIdEPKPKS1_PS1_EviT6_lT7_lT5_lS8_lS9_lS7_lT8_i
	.p2align	8
	.type	_ZL26rocblas_hemvn_kernel_upperILb0ELi64ELi4ELi33ELi32ELi16El19rocblas_complex_numIdEPKPKS1_PS1_EviT6_lT7_lT5_lS8_lS9_lS7_lT8_i,@function
_ZL26rocblas_hemvn_kernel_upperILb0ELi64ELi4ELi33ELi32ELi16El19rocblas_complex_numIdEPKPKS1_PS1_EviT6_lT7_lT5_lS8_lS9_lS7_lT8_i: ; @_ZL26rocblas_hemvn_kernel_upperILb0ELi64ELi4ELi33ELi32ELi16El19rocblas_complex_numIdEPKPKS1_PS1_EviT6_lT7_lT5_lS8_lS9_lS7_lT8_i
; %bb.0:
	s_load_dwordx2 s[0:1], s[4:5], 0x94
	s_add_u32 s10, s4, 0x88
	s_addc_u32 s11, s5, 0
	s_waitcnt lgkmcnt(0)
	s_lshr_b32 s2, s0, 16
	s_and_b32 s0, s0, 0xffff
	s_and_b32 s1, s1, 0xffff
	s_mul_i32 s0, s2, s0
	s_mul_i32 s0, s0, s1
	s_cmpk_lg_i32 s0, 0x100
	s_cbranch_scc1 .LBB190_155
; %bb.1:
	s_load_dwordx4 s[0:3], s[4:5], 0x8
	s_mov_b32 s26, s7
	s_waitcnt lgkmcnt(0)
	v_cmp_neq_f64_e64 s[0:1], s[0:1], 0
	v_cmp_neq_f64_e64 s[2:3], s[2:3], 0
	s_or_b64 s[2:3], s[0:1], s[2:3]
	s_mov_b64 s[0:1], -1
	s_and_b64 vcc, exec, s[2:3]
	s_cbranch_vccnz .LBB190_3
; %bb.2:
	s_load_dwordx4 s[0:3], s[4:5], 0x60
	s_waitcnt lgkmcnt(0)
	v_cmp_eq_f64_e64 s[0:1], s[0:1], 1.0
	v_cmp_eq_f64_e64 s[2:3], s[2:3], 0
	s_and_b64 s[0:1], s[0:1], s[2:3]
	s_andn2_b64 vcc, exec, s[0:1]
	s_mov_b64 s[0:1], 0
.LBB190_3:
	s_andn2_b64 vcc, exec, s[0:1]
	s_cbranch_vccnz .LBB190_155
; %bb.4:
	s_load_dword s33, s[4:5], 0x0
	s_load_dwordx4 s[0:3], s[4:5], 0x20
	s_load_dwordx2 s[24:25], s[4:5], 0x30
	s_load_dwordx4 s[12:15], s[4:5], 0x40
	s_mov_b32 s27, 0
	s_lshl_b64 s[8:9], s[26:27], 3
	s_waitcnt lgkmcnt(0)
	s_add_u32 s0, s0, s8
	s_addc_u32 s1, s1, s9
	s_add_u32 s12, s12, s8
	s_addc_u32 s13, s13, s9
	s_load_dwordx2 s[16:17], s[12:13], 0x0
	s_load_dword s7, s[10:11], 0x0
	s_load_dwordx2 s[18:19], s[4:5], 0x50
	s_load_dwordx2 s[8:9], s[0:1], 0x0
	s_lshl_b64 s[0:1], s[14:15], 4
	s_waitcnt lgkmcnt(0)
	s_add_u32 s10, s16, s0
	s_addc_u32 s11, s17, s1
	s_lshl_b32 s28, s6, 6
	s_ashr_i32 s38, s33, 31
	s_lshr_b32 s0, s38, 26
	v_add_u32_e32 v175, s28, v0
	s_add_i32 s0, s33, s0
	v_ashrrev_i32_e32 v176, 31, v175
	s_and_b32 s13, s0, 0xffffffc0
	v_mul_lo_u32 v4, s18, v176
	v_mul_lo_u32 v5, s19, v175
	v_mad_u64_u32 v[2:3], s[0:1], s18, v175, 0
	s_add_i32 s12, s7, -1
	s_sub_i32 s27, s33, s13
	v_add3_u32 v3, v3, v4, v5
	v_lshlrev_b64 v[2:3], 4, v[2:3]
	s_cmp_eq_u32 s6, s12
	v_mov_b32_e32 v4, s11
	v_add_co_u32_e32 v40, vcc, s10, v2
	s_cselect_b32 s20, s27, 0
	v_addc_co_u32_e32 v41, vcc, v4, v3, vcc
	v_cmp_eq_u32_e64 s[0:1], 0, v1
	s_and_saveexec_b64 s[10:11], s[0:1]
	s_cbranch_execz .LBB190_9
; %bb.5:
	s_cmp_lg_u32 s20, 0
	s_cselect_b64 s[12:13], -1, 0
	v_cmp_le_i32_e32 vcc, s20, v0
	v_mov_b32_e32 v2, 0x4700
	s_and_b64 s[12:13], s[12:13], vcc
	v_lshl_add_u32 v2, v0, 4, v2
	s_and_saveexec_b64 s[14:15], s[12:13]
	s_xor_b64 s[12:13], exec, s[14:15]
; %bb.6:
	v_mov_b32_e32 v3, 0
	v_mov_b32_e32 v4, v3
	v_mov_b32_e32 v5, v3
	v_mov_b32_e32 v6, v3
	ds_write_b128 v2, v[3:6]
                                        ; implicit-def: $vgpr2
; %bb.7:
	s_andn2_saveexec_b64 s[12:13], s[12:13]
	s_cbranch_execz .LBB190_9
; %bb.8:
	flat_load_dwordx4 v[3:6], v[40:41]
	s_waitcnt vmcnt(0) lgkmcnt(0)
	ds_write2_b64 v2, v[3:4], v[5:6] offset1:1
.LBB190_9:
	s_or_b64 exec, exec, s[10:11]
	v_lshl_add_u32 v44, v1, 6, v0
	v_and_b32_e32 v6, 31, v0
	v_lshrrev_b32_e32 v11, 5, v44
	v_mov_b32_e32 v7, 0
	v_mad_u64_u32 v[2:3], s[10:11], s24, v11, v[6:7]
	s_lshl_b64 s[2:3], s[2:3], 4
	s_add_u32 s8, s8, s2
	s_addc_u32 s9, s9, s3
	v_mad_u64_u32 v[3:4], s[2:3], s25, v11, v[3:4]
	s_ashr_i32 s29, s28, 31
	s_lshl_b64 s[2:3], s[28:29], 4
	s_add_u32 s2, s8, s2
	v_lshlrev_b64 v[38:39], 4, v[2:3]
	s_addc_u32 s3, s9, s3
	v_mov_b32_e32 v2, s3
	v_add_co_u32_e32 v3, vcc, s2, v38
	s_mul_hi_u32 s2, s24, s28
	s_mul_i32 s3, s24, s29
	s_add_i32 s2, s2, s3
	s_mul_i32 s3, s25, s28
	s_add_i32 s3, s2, s3
	s_mul_i32 s2, s24, s28
	s_lshl_b64 s[2:3], s[2:3], 4
	v_addc_co_u32_e32 v4, vcc, v2, v39, vcc
	s_cmp_eq_u32 s20, 0
	v_mov_b32_e32 v5, s3
	v_add_co_u32_e32 v2, vcc, s2, v3
	s_cselect_b64 s[22:23], -1, 0
	s_cmp_lg_u32 s20, 0
	v_addc_co_u32_e32 v3, vcc, v4, v5, vcc
	s_cselect_b64 s[30:31], -1, 0
	s_and_b64 vcc, exec, s[30:31]
	v_cmp_gt_i32_e64 s[2:3], s20, v6
	v_lshlrev_b32_e32 v13, 4, v6
	v_lshlrev_b32_e32 v12, 4, v6
	s_cbranch_vccz .LBB190_27
; %bb.10:
	v_sub_co_u32_e32 v4, vcc, v2, v13
	s_ashr_i32 s21, s20, 31
	v_subbrev_co_u32_e32 v5, vcc, 0, v3, vcc
	s_lshl_b64 s[8:9], s[20:21], 4
	v_mov_b32_e32 v7, s9
	v_add_co_u32_e32 v4, vcc, s8, v4
	v_addc_co_u32_e32 v5, vcc, v5, v7, vcc
	v_add_co_u32_e32 v4, vcc, -16, v4
	v_addc_co_u32_e32 v5, vcc, -1, v5, vcc
	s_movk_i32 s10, 0x210
	v_cndmask_b32_e64 v5, v5, v3, s[2:3]
	v_cndmask_b32_e64 v4, v4, v2, s[2:3]
	v_cmp_le_i32_e32 vcc, s20, v11
	v_mad_u32_u24 v8, v11, s10, v12
	s_and_saveexec_b64 s[10:11], vcc
	s_xor_b64 s[10:11], exec, s[10:11]
; %bb.11:
	v_mov_b32_e32 v14, 0
	v_mov_b32_e32 v15, v14
	;; [unrolled: 1-line block ×4, first 2 shown]
	ds_write_b128 v8, v[14:17]
                                        ; implicit-def: $vgpr8
; %bb.12:
	s_or_saveexec_b64 s[10:11], s[10:11]
	v_mul_u32_u24_e32 v7, 0x210, v11
	s_xor_b64 exec, exec, s[10:11]
	s_cbranch_execz .LBB190_14
; %bb.13:
	flat_load_dwordx4 v[14:17], v[4:5]
	s_waitcnt vmcnt(0) lgkmcnt(0)
	ds_write2_b64 v8, v[14:15], v[16:17] offset1:1
.LBB190_14:
	s_or_b64 exec, exec, s[10:11]
	v_add_u32_e32 v8, 8, v11
	v_cmp_le_i32_e32 vcc, s20, v8
	v_add_u32_e32 v8, v7, v12
	s_and_saveexec_b64 s[10:11], vcc
	s_xor_b64 s[10:11], exec, s[10:11]
; %bb.15:
	v_mov_b32_e32 v14, 0
	v_mov_b32_e32 v15, v14
	;; [unrolled: 1-line block ×4, first 2 shown]
	ds_write_b128 v8, v[14:17] offset:4224
; %bb.16:
	s_andn2_saveexec_b64 s[10:11], s[10:11]
	s_cbranch_execz .LBB190_18
; %bb.17:
	s_lshl_b64 s[12:13], s[24:25], 7
	v_mov_b32_e32 v10, s13
	v_add_co_u32_e32 v9, vcc, s12, v4
	v_addc_co_u32_e32 v10, vcc, v5, v10, vcc
	flat_load_dwordx4 v[14:17], v[9:10]
	s_movk_i32 s12, 0x1080
	v_add3_u32 v9, v7, v12, s12
	s_waitcnt vmcnt(0) lgkmcnt(0)
	ds_write2_b64 v9, v[14:15], v[16:17] offset1:1
.LBB190_18:
	s_or_b64 exec, exec, s[10:11]
	v_add_u32_e32 v9, 16, v11
	v_cmp_le_i32_e32 vcc, s20, v9
	s_and_saveexec_b64 s[10:11], vcc
	s_xor_b64 s[10:11], exec, s[10:11]
; %bb.19:
	v_mov_b32_e32 v14, 0
	v_mov_b32_e32 v15, v14
	;; [unrolled: 1-line block ×4, first 2 shown]
	ds_write_b128 v8, v[14:17] offset:8448
; %bb.20:
	s_andn2_saveexec_b64 s[10:11], s[10:11]
	s_cbranch_execz .LBB190_22
; %bb.21:
	s_lshl_b64 s[12:13], s[24:25], 8
	v_mov_b32_e32 v10, s13
	v_add_co_u32_e32 v9, vcc, s12, v4
	v_addc_co_u32_e32 v10, vcc, v5, v10, vcc
	flat_load_dwordx4 v[14:17], v[9:10]
	s_movk_i32 s12, 0x2100
	v_add3_u32 v9, v7, v12, s12
	s_waitcnt vmcnt(0) lgkmcnt(0)
	ds_write2_b64 v9, v[14:15], v[16:17] offset1:1
.LBB190_22:
	s_or_b64 exec, exec, s[10:11]
	v_add_u32_e32 v9, 24, v11
	v_cmp_le_i32_e32 vcc, s20, v9
	s_and_saveexec_b64 s[10:11], vcc
	s_xor_b64 s[10:11], exec, s[10:11]
; %bb.23:
	v_mov_b32_e32 v14, 0
	v_mov_b32_e32 v15, v14
	;; [unrolled: 1-line block ×4, first 2 shown]
	ds_write_b128 v8, v[14:17] offset:12672
                                        ; implicit-def: $vgpr7
; %bb.24:
	s_andn2_saveexec_b64 s[10:11], s[10:11]
	s_cbranch_execz .LBB190_26
; %bb.25:
	v_mov_b32_e32 v8, 0x180
	v_mad_u64_u32 v[8:9], s[12:13], s24, v8, v[4:5]
	s_mul_i32 s12, s25, 0x180
	v_add_u32_e32 v9, s12, v9
	flat_load_dwordx4 v[14:17], v[8:9]
	s_movk_i32 s12, 0x3180
	v_add3_u32 v7, v7, v12, s12
	s_waitcnt vmcnt(0) lgkmcnt(0)
	ds_write2_b64 v7, v[14:15], v[16:17] offset1:1
.LBB190_26:
	s_or_b64 exec, exec, s[10:11]
	v_add_co_u32_e32 v4, vcc, v4, v13
	v_addc_co_u32_e32 v5, vcc, 0, v5, vcc
	v_mov_b32_e32 v7, s9
	v_subrev_co_u32_e32 v4, vcc, s8, v4
	v_subb_co_u32_e32 v5, vcc, v5, v7, vcc
	v_add_co_u32_e32 v4, vcc, 16, v4
	v_addc_co_u32_e32 v5, vcc, 0, v5, vcc
	v_cndmask_b32_e64 v8, v5, v3, s[2:3]
	v_cndmask_b32_e64 v7, v4, v2, s[2:3]
	s_branch .LBB190_29
.LBB190_27:
                                        ; implicit-def: $vgpr7_vgpr8
	s_cbranch_execz .LBB190_29
; %bb.28:
	flat_load_dwordx4 v[7:10], v[2:3]
	v_mul_u32_u24_e32 v4, 0x210, v11
	s_lshl_b64 s[2:3], s[24:25], 7
	v_lshl_add_u32 v14, v6, 4, v4
	v_mov_b32_e32 v15, s3
	v_add_co_u32_e32 v4, vcc, s2, v2
	v_addc_co_u32_e32 v5, vcc, v3, v15, vcc
	v_add_u32_e32 v16, 0x1080, v14
	s_waitcnt vmcnt(0) lgkmcnt(0)
	ds_write2_b64 v14, v[7:8], v[9:10] offset1:1
	flat_load_dwordx4 v[7:10], v[4:5]
	v_add_co_u32_e32 v4, vcc, s2, v4
	v_addc_co_u32_e32 v5, vcc, v5, v15, vcc
	s_waitcnt vmcnt(0) lgkmcnt(0)
	ds_write2_b64 v16, v[7:8], v[9:10] offset1:1
	flat_load_dwordx4 v[7:10], v[4:5]
	v_add_u32_e32 v16, 0x2100, v14
	v_add_co_u32_e32 v4, vcc, s2, v4
	v_addc_co_u32_e32 v5, vcc, v5, v15, vcc
	s_waitcnt vmcnt(0) lgkmcnt(0)
	ds_write2_b64 v16, v[7:8], v[9:10] offset1:1
	flat_load_dwordx4 v[7:10], v[4:5]
	v_add_u32_e32 v4, 0x3180, v14
	s_waitcnt vmcnt(0) lgkmcnt(0)
	ds_write2_b64 v4, v[7:8], v[9:10] offset1:1
	v_mov_b32_e32 v8, v3
	v_mov_b32_e32 v7, v2
.LBB190_29:
	v_lshlrev_b32_e32 v18, 2, v11
	v_lshl_or_b32 v2, v6, 9, v12
	v_cmp_gt_u32_e64 s[16:17], v18, v6
	v_lshl_add_u32 v4, v18, 4, v2
	s_waitcnt lgkmcnt(0)
	s_barrier
	s_and_saveexec_b64 s[2:3], s[16:17]
	s_cbranch_execz .LBB190_31
; %bb.30:
	s_movk_i32 s8, 0x840
	v_mad_u32_u24 v2, v11, s8, v12
	ds_read_b128 v[14:17], v2
	s_waitcnt lgkmcnt(0)
	ds_write_b128 v4, v[14:17]
.LBB190_31:
	s_or_b64 exec, exec, s[2:3]
	v_or_b32_e32 v2, 1, v18
	v_cmp_ge_u32_e64 s[8:9], v18, v6
	s_and_saveexec_b64 s[2:3], s[8:9]
	s_cbranch_execz .LBB190_33
; %bb.32:
	s_movk_i32 s10, 0x210
	v_mad_u32_u24 v3, v2, s10, v12
	ds_read_b128 v[14:17], v3
	s_waitcnt lgkmcnt(0)
	ds_write_b128 v4, v[14:17] offset:16
.LBB190_33:
	s_or_b64 exec, exec, s[2:3]
	v_or_b32_e32 v3, 2, v18
	v_cmp_gt_u32_e64 s[10:11], v3, v6
	s_and_saveexec_b64 s[2:3], s[10:11]
	s_cbranch_execz .LBB190_35
; %bb.34:
	s_movk_i32 s12, 0x210
	v_mad_u32_u24 v3, v3, s12, v12
	ds_read_b128 v[14:17], v3
	s_waitcnt lgkmcnt(0)
	ds_write_b128 v4, v[14:17] offset:32
.LBB190_35:
	s_or_b64 exec, exec, s[2:3]
	v_or_b32_e32 v5, 3, v18
	v_cmp_gt_u32_e64 s[12:13], v5, v6
	v_cmp_le_u32_e32 vcc, v5, v6
                                        ; implicit-def: $vgpr3
	s_and_saveexec_b64 s[2:3], vcc
	s_xor_b64 s[2:3], exec, s[2:3]
; %bb.36:
	v_mul_u32_u24_e32 v3, 0x210, v5
                                        ; implicit-def: $vgpr5
                                        ; implicit-def: $vgpr4
; %bb.37:
	s_andn2_saveexec_b64 s[2:3], s[2:3]
	s_cbranch_execz .LBB190_39
; %bb.38:
	s_movk_i32 s14, 0x210
	v_mad_u32_u24 v3, v5, s14, v12
	ds_read_b128 v[14:17], v3
	v_mul_u32_u24_e32 v3, 0x210, v5
	s_waitcnt lgkmcnt(0)
	ds_write_b128 v4, v[14:17] offset:48
.LBB190_39:
	s_or_b64 exec, exec, s[2:3]
	s_movk_i32 s2, 0x840
	v_mad_u32_u24 v14, v11, s2, v12
	s_waitcnt lgkmcnt(0)
	s_barrier
	v_lshlrev_b32_e32 v19, 4, v18
	ds_read_b128 v[20:23], v14
	ds_read_b128 v[24:27], v19 offset:18176
	ds_read_b128 v[28:31], v19 offset:18192
	s_movk_i32 s21, 0x210
	v_mad_u32_u24 v15, v2, s21, v12
	ds_read_b128 v[32:35], v15
	s_waitcnt lgkmcnt(2)
	v_mul_f64 v[4:5], v[26:27], v[22:23]
	v_mul_f64 v[9:10], v[24:25], v[22:23]
	v_add_u32_e32 v16, v12, v3
	v_cmp_gt_u32_e64 s[2:3], 32, v44
	v_fma_f64 v[42:43], v[24:25], v[20:21], -v[4:5]
	ds_read_b128 v[22:25], v15 offset:528
	s_waitcnt lgkmcnt(1)
	v_mul_f64 v[49:50], v[30:31], v[34:35]
	v_mul_f64 v[51:52], v[28:29], v[34:35]
	v_fma_f64 v[9:10], v[26:27], v[20:21], v[9:10]
	ds_read_b128 v[2:5], v19 offset:18208
	ds_read_b128 v[34:37], v19 offset:18224
	ds_read_b128 v[45:48], v16
	s_waitcnt lgkmcnt(0)
	v_add_f64 v[20:21], v[42:43], 0
	s_barrier
	v_mul_f64 v[26:27], v[4:5], v[24:25]
	v_fma_f64 v[28:29], v[28:29], v[32:33], -v[49:50]
	v_fma_f64 v[30:31], v[30:31], v[32:33], v[51:52]
	v_mul_f64 v[24:25], v[2:3], v[24:25]
	v_add_f64 v[9:10], v[9:10], 0
	v_mul_f64 v[32:33], v[36:37], v[47:48]
	v_fma_f64 v[2:3], v[2:3], v[22:23], -v[26:27]
	v_add_f64 v[20:21], v[20:21], v[28:29]
	v_mul_f64 v[26:27], v[34:35], v[47:48]
	v_fma_f64 v[4:5], v[4:5], v[22:23], v[24:25]
	v_add_f64 v[9:10], v[9:10], v[30:31]
	v_fma_f64 v[22:23], v[34:35], v[45:46], -v[32:33]
	v_add_f64 v[20:21], v[20:21], v[2:3]
	v_fma_f64 v[24:25], v[36:37], v[45:46], v[26:27]
	v_mov_b32_e32 v2, 0
	v_add_f64 v[4:5], v[9:10], v[4:5]
	v_mul_u32_u24_e32 v9, 33, v6
	v_lshlrev_b32_e32 v45, 4, v9
	v_mov_b32_e32 v3, 0
	v_lshl_add_u32 v46, v11, 4, v45
	v_add_f64 v[20:21], v[20:21], v[22:23]
	v_add_f64 v[22:23], v[4:5], v[24:25]
	v_mov_b32_e32 v4, 0
	v_mov_b32_e32 v5, 0
	ds_write_b128 v46, v[20:23]
	s_waitcnt lgkmcnt(0)
	s_barrier
	s_and_saveexec_b64 s[14:15], s[2:3]
	s_cbranch_execz .LBB190_41
; %bb.40:
	ds_read_b128 v[2:5], v45
	ds_read_b128 v[20:23], v45 offset:16
	s_waitcnt lgkmcnt(0)
	v_add_f64 v[9:10], v[20:21], v[2:3]
	v_add_f64 v[24:25], v[22:23], v[4:5]
	ds_read_b128 v[2:5], v45 offset:32
	ds_read_b128 v[20:23], v45 offset:48
	s_waitcnt lgkmcnt(1)
	v_add_f64 v[2:3], v[9:10], v[2:3]
	v_add_f64 v[4:5], v[24:25], v[4:5]
	s_waitcnt lgkmcnt(0)
	v_add_f64 v[9:10], v[2:3], v[20:21]
	v_add_f64 v[24:25], v[4:5], v[22:23]
	ds_read_b128 v[2:5], v45 offset:64
	ds_read_b128 v[20:23], v45 offset:80
	s_waitcnt lgkmcnt(1)
	v_add_f64 v[2:3], v[9:10], v[2:3]
	v_add_f64 v[4:5], v[24:25], v[4:5]
	;; [unrolled: 8-line block ×3, first 2 shown]
	s_waitcnt lgkmcnt(0)
	v_add_f64 v[2:3], v[2:3], v[20:21]
	v_add_f64 v[4:5], v[4:5], v[22:23]
.LBB190_41:
	s_or_b64 exec, exec, s[14:15]
	s_lshl_b64 s[14:15], s[24:25], 9
	v_mov_b32_e32 v9, s15
	v_add_co_u32_e32 v20, vcc, s14, v7
	v_addc_co_u32_e32 v21, vcc, v8, v9, vcc
	v_add_co_u32_e32 v9, vcc, 0x200, v20
	v_addc_co_u32_e32 v10, vcc, 0, v21, vcc
	v_mad_u32_u24 v17, v11, s21, v12
	s_and_b64 vcc, exec, s[30:31]
	s_barrier
	s_cbranch_vccz .LBB190_59
; %bb.42:
	v_sub_co_u32_e32 v8, vcc, v20, v13
	s_ashr_i32 s21, s20, 31
	v_subbrev_co_u32_e32 v22, vcc, 0, v21, vcc
	s_lshl_b64 s[34:35], s[20:21], 4
	v_mov_b32_e32 v23, s35
	v_add_co_u32_e32 v8, vcc, s34, v8
	v_addc_co_u32_e32 v22, vcc, v22, v23, vcc
	v_or_b32_e32 v7, 32, v6
	v_add_co_u32_e32 v23, vcc, -16, v8
	v_addc_co_u32_e32 v8, vcc, -1, v22, vcc
	v_cmp_gt_i32_e64 s[14:15], s20, v7
	s_sub_i32 s21, s20, 32
	v_cndmask_b32_e64 v8, v8, v10, s[14:15]
	v_cndmask_b32_e64 v7, v23, v9, s[14:15]
	v_cmp_le_i32_e32 vcc, s21, v11
	s_and_saveexec_b64 s[36:37], vcc
	s_xor_b64 s[36:37], exec, s[36:37]
; %bb.43:
	v_mov_b32_e32 v22, 0
	v_mov_b32_e32 v23, v22
	;; [unrolled: 1-line block ×4, first 2 shown]
	ds_write_b128 v17, v[22:25]
; %bb.44:
	s_andn2_saveexec_b64 s[36:37], s[36:37]
	s_cbranch_execz .LBB190_46
; %bb.45:
	flat_load_dwordx4 v[22:25], v[7:8]
	s_waitcnt vmcnt(0) lgkmcnt(0)
	ds_write2_b64 v17, v[22:23], v[24:25] offset1:1
.LBB190_46:
	s_or_b64 exec, exec, s[36:37]
	v_add_u32_e32 v22, 8, v11
	v_cmp_le_i32_e32 vcc, s21, v22
	s_and_saveexec_b64 s[36:37], vcc
	s_xor_b64 s[36:37], exec, s[36:37]
	s_cbranch_execz .LBB190_48
; %bb.47:
	s_movk_i32 s39, 0x210
	v_mad_u32_u24 v26, v22, s39, v12
	v_mov_b32_e32 v22, 0
	v_mov_b32_e32 v23, v22
	;; [unrolled: 1-line block ×4, first 2 shown]
	ds_write_b128 v26, v[22:25]
                                        ; implicit-def: $vgpr22
.LBB190_48:
	s_andn2_saveexec_b64 s[36:37], s[36:37]
	s_cbranch_execz .LBB190_50
; %bb.49:
	s_lshl_b64 s[40:41], s[24:25], 7
	v_mov_b32_e32 v24, s41
	v_add_co_u32_e32 v23, vcc, s40, v7
	v_addc_co_u32_e32 v24, vcc, v8, v24, vcc
	flat_load_dwordx4 v[23:26], v[23:24]
	s_movk_i32 s39, 0x210
	v_mad_u32_u24 v22, v22, s39, v12
	s_waitcnt vmcnt(0) lgkmcnt(0)
	ds_write2_b64 v22, v[23:24], v[25:26] offset1:1
.LBB190_50:
	s_or_b64 exec, exec, s[36:37]
	v_add_u32_e32 v22, 16, v11
	v_cmp_le_i32_e32 vcc, s21, v22
	s_and_saveexec_b64 s[36:37], vcc
	s_xor_b64 s[36:37], exec, s[36:37]
	s_cbranch_execz .LBB190_52
; %bb.51:
	s_movk_i32 s39, 0x210
	v_mad_u32_u24 v26, v22, s39, v12
	v_mov_b32_e32 v22, 0
	v_mov_b32_e32 v23, v22
	;; [unrolled: 1-line block ×4, first 2 shown]
	ds_write_b128 v26, v[22:25]
                                        ; implicit-def: $vgpr22
.LBB190_52:
	s_andn2_saveexec_b64 s[36:37], s[36:37]
	s_cbranch_execz .LBB190_54
; %bb.53:
	s_lshl_b64 s[40:41], s[24:25], 8
	v_mov_b32_e32 v24, s41
	v_add_co_u32_e32 v23, vcc, s40, v7
	v_addc_co_u32_e32 v24, vcc, v8, v24, vcc
	flat_load_dwordx4 v[23:26], v[23:24]
	s_movk_i32 s39, 0x210
	v_mad_u32_u24 v22, v22, s39, v12
	s_waitcnt vmcnt(0) lgkmcnt(0)
	ds_write2_b64 v22, v[23:24], v[25:26] offset1:1
.LBB190_54:
	s_or_b64 exec, exec, s[36:37]
	v_add_u32_e32 v22, 24, v11
	v_cmp_le_i32_e32 vcc, s21, v22
	s_and_saveexec_b64 s[36:37], vcc
	s_xor_b64 s[36:37], exec, s[36:37]
	s_cbranch_execz .LBB190_56
; %bb.55:
	s_movk_i32 s21, 0x210
	v_mad_u32_u24 v26, v22, s21, v12
	v_mov_b32_e32 v22, 0
	v_mov_b32_e32 v23, v22
	;; [unrolled: 1-line block ×4, first 2 shown]
	ds_write_b128 v26, v[22:25]
                                        ; implicit-def: $vgpr22
.LBB190_56:
	s_andn2_saveexec_b64 s[36:37], s[36:37]
	s_cbranch_execz .LBB190_58
; %bb.57:
	v_mov_b32_e32 v23, 0x180
	v_mad_u64_u32 v[23:24], s[40:41], s24, v23, v[7:8]
	s_mul_i32 s21, s25, 0x180
	v_add_u32_e32 v24, s21, v24
	flat_load_dwordx4 v[23:26], v[23:24]
	s_movk_i32 s21, 0x210
	v_mad_u32_u24 v22, v22, s21, v12
	s_waitcnt vmcnt(0) lgkmcnt(0)
	ds_write2_b64 v22, v[23:24], v[25:26] offset1:1
.LBB190_58:
	s_or_b64 exec, exec, s[36:37]
	v_add_co_u32_e32 v7, vcc, v7, v13
	v_addc_co_u32_e32 v8, vcc, 0, v8, vcc
	v_mov_b32_e32 v22, s35
	v_subrev_co_u32_e32 v7, vcc, s34, v7
	v_subb_co_u32_e32 v8, vcc, v8, v22, vcc
	v_add_co_u32_e32 v7, vcc, 0x210, v7
	v_addc_co_u32_e32 v8, vcc, 0, v8, vcc
	v_cndmask_b32_e64 v8, v8, v10, s[14:15]
	v_cndmask_b32_e64 v7, v7, v9, s[14:15]
	s_branch .LBB190_61
.LBB190_59:
                                        ; implicit-def: $vgpr7_vgpr8
	s_cbranch_execz .LBB190_61
; %bb.60:
	flat_load_dwordx4 v[22:25], v[9:10]
	s_lshl_b64 s[14:15], s[24:25], 7
	v_mov_b32_e32 v26, s15
	v_add_co_u32_e32 v7, vcc, s14, v20
	v_addc_co_u32_e32 v8, vcc, v21, v26, vcc
	s_waitcnt vmcnt(0) lgkmcnt(0)
	ds_write2_b64 v17, v[22:23], v[24:25] offset1:1
	flat_load_dwordx4 v[20:23], v[7:8] offset:512
	v_add_u32_e32 v24, 0x1080, v17
	v_add_co_u32_e32 v7, vcc, s14, v7
	v_addc_co_u32_e32 v8, vcc, v8, v26, vcc
	s_waitcnt vmcnt(0) lgkmcnt(0)
	ds_write2_b64 v24, v[20:21], v[22:23] offset1:1
	flat_load_dwordx4 v[20:23], v[7:8] offset:512
	v_add_u32_e32 v24, 0x2100, v17
	;; [unrolled: 6-line block ×3, first 2 shown]
	s_waitcnt vmcnt(0) lgkmcnt(0)
	ds_write2_b64 v7, v[20:21], v[22:23] offset1:1
	v_mov_b32_e32 v7, v9
	v_mov_b32_e32 v8, v10
.LBB190_61:
	v_lshl_add_u32 v9, v18, 4, v45
	s_waitcnt lgkmcnt(0)
	s_barrier
	s_and_saveexec_b64 s[14:15], s[16:17]
	s_cbranch_execz .LBB190_65
; %bb.62:
	ds_read_b128 v[20:23], v14
	s_waitcnt lgkmcnt(0)
	ds_write_b128 v9, v[20:23]
	s_or_b64 exec, exec, s[14:15]
	s_and_saveexec_b64 s[14:15], s[8:9]
	s_cbranch_execnz .LBB190_66
.LBB190_63:
	s_or_b64 exec, exec, s[14:15]
	v_add_u32_e32 v18, 0x210, v15
	s_and_saveexec_b64 s[8:9], s[10:11]
	s_cbranch_execz .LBB190_67
.LBB190_64:
	ds_read_b128 v[20:23], v18
	s_waitcnt lgkmcnt(0)
	ds_write_b128 v9, v[20:23] offset:32
	s_or_b64 exec, exec, s[8:9]
	v_add_u32_e32 v19, 0x4700, v19
	s_and_saveexec_b64 s[8:9], s[12:13]
	s_cbranch_execnz .LBB190_68
	s_branch .LBB190_69
.LBB190_65:
	s_or_b64 exec, exec, s[14:15]
	s_and_saveexec_b64 s[14:15], s[8:9]
	s_cbranch_execz .LBB190_63
.LBB190_66:
	ds_read_b128 v[20:23], v15
	s_waitcnt lgkmcnt(0)
	ds_write_b128 v9, v[20:23] offset:16
	s_or_b64 exec, exec, s[14:15]
	v_add_u32_e32 v18, 0x210, v15
	s_and_saveexec_b64 s[8:9], s[10:11]
	s_cbranch_execnz .LBB190_64
.LBB190_67:
	s_or_b64 exec, exec, s[8:9]
	v_add_u32_e32 v19, 0x4700, v19
	s_and_saveexec_b64 s[8:9], s[12:13]
	s_cbranch_execz .LBB190_69
.LBB190_68:
	ds_read_b128 v[20:23], v16
	s_waitcnt lgkmcnt(0)
	ds_write_b128 v9, v[20:23] offset:48
.LBB190_69:
	s_or_b64 exec, exec, s[8:9]
	s_waitcnt lgkmcnt(0)
	s_barrier
	ds_read_b128 v[20:23], v19 offset:512
	ds_read_b128 v[24:27], v14
	v_cmp_eq_u32_e64 s[8:9], 1, v11
	s_waitcnt lgkmcnt(0)
	v_mul_f64 v[9:10], v[22:23], v[26:27]
	v_mul_f64 v[42:43], v[20:21], v[26:27]
	ds_read_b128 v[26:29], v15
	ds_read_b128 v[30:33], v19 offset:528
	ds_read_b128 v[34:37], v19 offset:544
	ds_read_b128 v[47:50], v18
	s_waitcnt lgkmcnt(2)
	v_mul_f64 v[55:56], v[32:33], v[28:29]
	v_mul_f64 v[28:29], v[30:31], v[28:29]
	v_fma_f64 v[9:10], v[20:21], v[24:25], -v[9:10]
	v_fma_f64 v[24:25], v[22:23], v[24:25], v[42:43]
	s_waitcnt lgkmcnt(0)
	v_mul_f64 v[42:43], v[36:37], v[49:50]
	v_mul_f64 v[49:50], v[34:35], v[49:50]
	ds_read_b128 v[20:23], v19 offset:560
	ds_read_b128 v[51:54], v16
	v_fma_f64 v[30:31], v[30:31], v[26:27], -v[55:56]
	v_fma_f64 v[26:27], v[32:33], v[26:27], v[28:29]
	s_waitcnt lgkmcnt(0)
	v_add_f64 v[9:10], v[9:10], 0
	v_add_f64 v[24:25], v[24:25], 0
	v_mul_f64 v[28:29], v[22:23], v[53:54]
	v_mul_f64 v[32:33], v[20:21], v[53:54]
	v_fma_f64 v[34:35], v[34:35], v[47:48], -v[42:43]
	v_fma_f64 v[36:37], v[36:37], v[47:48], v[49:50]
	s_barrier
	v_add_f64 v[9:10], v[9:10], v[30:31]
	v_add_f64 v[24:25], v[24:25], v[26:27]
	v_fma_f64 v[20:21], v[20:21], v[51:52], -v[28:29]
	v_fma_f64 v[22:23], v[22:23], v[51:52], v[32:33]
	v_add_f64 v[9:10], v[9:10], v[34:35]
	v_add_f64 v[24:25], v[24:25], v[36:37]
	;; [unrolled: 1-line block ×4, first 2 shown]
	ds_write_b128 v46, v[20:23]
	s_waitcnt lgkmcnt(0)
	s_barrier
	s_and_saveexec_b64 s[10:11], s[8:9]
	s_cbranch_execz .LBB190_71
; %bb.70:
	ds_read_b128 v[2:5], v45
	ds_read_b128 v[20:23], v45 offset:16
	s_waitcnt lgkmcnt(0)
	v_add_f64 v[9:10], v[20:21], v[2:3]
	v_add_f64 v[24:25], v[22:23], v[4:5]
	ds_read_b128 v[2:5], v45 offset:32
	ds_read_b128 v[20:23], v45 offset:48
	s_waitcnt lgkmcnt(1)
	v_add_f64 v[2:3], v[9:10], v[2:3]
	v_add_f64 v[4:5], v[24:25], v[4:5]
	s_waitcnt lgkmcnt(0)
	v_add_f64 v[9:10], v[2:3], v[20:21]
	v_add_f64 v[24:25], v[4:5], v[22:23]
	ds_read_b128 v[2:5], v45 offset:64
	ds_read_b128 v[20:23], v45 offset:80
	s_waitcnt lgkmcnt(1)
	v_add_f64 v[2:3], v[9:10], v[2:3]
	v_add_f64 v[4:5], v[24:25], v[4:5]
	;; [unrolled: 8-line block ×3, first 2 shown]
	s_waitcnt lgkmcnt(0)
	v_add_f64 v[2:3], v[2:3], v[20:21]
	v_add_f64 v[4:5], v[4:5], v[22:23]
.LBB190_71:
	s_or_b64 exec, exec, s[10:11]
	v_add_co_u32_e32 v7, vcc, 0xfffffe00, v7
	v_addc_co_u32_e32 v8, vcc, -1, v8, vcc
	s_and_b64 vcc, exec, s[30:31]
	s_barrier
	s_cbranch_vccz .LBB190_89
; %bb.72:
	v_sub_co_u32_e32 v9, vcc, v7, v13
	s_ashr_i32 s21, s20, 31
	v_subbrev_co_u32_e32 v10, vcc, 0, v8, vcc
	s_lshl_b64 s[12:13], s[20:21], 4
	v_mov_b32_e32 v20, s13
	v_add_co_u32_e32 v9, vcc, s12, v9
	v_addc_co_u32_e32 v10, vcc, v10, v20, vcc
	v_add_co_u32_e32 v9, vcc, -16, v9
	v_addc_co_u32_e32 v10, vcc, -1, v10, vcc
	v_cmp_gt_i32_e32 vcc, s20, v6
	s_sub_i32 s16, s20, 32
	v_cndmask_b32_e32 v10, v10, v8, vcc
	v_cndmask_b32_e32 v9, v9, v7, vcc
	v_cmp_le_i32_e64 s[10:11], s16, v11
	s_and_saveexec_b64 s[14:15], s[10:11]
	s_xor_b64 s[10:11], exec, s[14:15]
; %bb.73:
	v_mov_b32_e32 v20, 0
	v_mov_b32_e32 v21, v20
	;; [unrolled: 1-line block ×4, first 2 shown]
	ds_write_b128 v17, v[20:23]
; %bb.74:
	s_andn2_saveexec_b64 s[10:11], s[10:11]
	s_cbranch_execz .LBB190_76
; %bb.75:
	flat_load_dwordx4 v[20:23], v[9:10]
	s_waitcnt vmcnt(0) lgkmcnt(0)
	ds_write2_b64 v17, v[20:21], v[22:23] offset1:1
.LBB190_76:
	s_or_b64 exec, exec, s[10:11]
	v_add_u32_e32 v6, 8, v11
	v_cmp_le_i32_e64 s[10:11], s16, v6
	s_and_saveexec_b64 s[14:15], s[10:11]
	s_xor_b64 s[10:11], exec, s[14:15]
	s_cbranch_execz .LBB190_78
; %bb.77:
	s_movk_i32 s14, 0x210
	v_mov_b32_e32 v20, 0
	v_mad_u32_u24 v24, v6, s14, v12
	v_mov_b32_e32 v21, v20
	v_mov_b32_e32 v22, v20
	;; [unrolled: 1-line block ×3, first 2 shown]
	ds_write_b128 v24, v[20:23]
.LBB190_78:
	s_andn2_saveexec_b64 s[14:15], s[10:11]
	s_cbranch_execz .LBB190_80
; %bb.79:
	s_lshl_b64 s[10:11], s[24:25], 7
	v_mov_b32_e32 v21, s11
	v_add_co_u32_e64 v20, s[10:11], s10, v9
	v_addc_co_u32_e64 v21, s[10:11], v10, v21, s[10:11]
	flat_load_dwordx4 v[20:23], v[20:21]
	s_movk_i32 s10, 0x210
	v_mad_u32_u24 v24, v6, s10, v12
	s_waitcnt vmcnt(0) lgkmcnt(0)
	ds_write2_b64 v24, v[20:21], v[22:23] offset1:1
.LBB190_80:
	s_or_b64 exec, exec, s[14:15]
	v_add_u32_e32 v21, 16, v11
	v_cmp_le_i32_e64 s[10:11], s16, v21
	s_and_saveexec_b64 s[14:15], s[10:11]
	s_xor_b64 s[10:11], exec, s[14:15]
	s_cbranch_execz .LBB190_82
; %bb.81:
	s_movk_i32 s14, 0x210
	v_mov_b32_e32 v22, 0
	v_mad_u32_u24 v20, v21, s14, v12
	v_mov_b32_e32 v23, v22
	v_mov_b32_e32 v24, v22
	;; [unrolled: 1-line block ×3, first 2 shown]
	ds_write_b128 v20, v[22:25]
.LBB190_82:
	s_andn2_saveexec_b64 s[14:15], s[10:11]
	s_cbranch_execz .LBB190_84
; %bb.83:
	s_lshl_b64 s[10:11], s[24:25], 8
	v_mov_b32_e32 v20, s11
	v_add_co_u32_e64 v22, s[10:11], s10, v9
	v_addc_co_u32_e64 v23, s[10:11], v10, v20, s[10:11]
	flat_load_dwordx4 v[22:25], v[22:23]
	s_movk_i32 s10, 0x210
	v_mad_u32_u24 v20, v21, s10, v12
	s_waitcnt vmcnt(0) lgkmcnt(0)
	ds_write2_b64 v20, v[22:23], v[24:25] offset1:1
.LBB190_84:
	s_or_b64 exec, exec, s[14:15]
	v_add_u32_e32 v20, 24, v11
	v_cmp_le_i32_e64 s[10:11], s16, v20
	s_and_saveexec_b64 s[14:15], s[10:11]
	s_xor_b64 s[10:11], exec, s[14:15]
	s_cbranch_execz .LBB190_86
; %bb.85:
	s_movk_i32 s14, 0x210
	v_mov_b32_e32 v22, 0
	v_mad_u32_u24 v26, v20, s14, v12
	v_mov_b32_e32 v23, v22
	v_mov_b32_e32 v24, v22
	;; [unrolled: 1-line block ×3, first 2 shown]
	ds_write_b128 v26, v[22:25]
.LBB190_86:
	s_andn2_saveexec_b64 s[10:11], s[10:11]
	s_cbranch_execz .LBB190_88
; %bb.87:
	v_mov_b32_e32 v22, 0x180
	v_mad_u64_u32 v[22:23], s[14:15], s24, v22, v[9:10]
	s_mul_i32 s14, s25, 0x180
	v_add_u32_e32 v23, s14, v23
	flat_load_dwordx4 v[22:25], v[22:23]
	s_movk_i32 s14, 0x210
	v_mad_u32_u24 v26, v20, s14, v12
	s_waitcnt vmcnt(0) lgkmcnt(0)
	ds_write2_b64 v26, v[22:23], v[24:25] offset1:1
.LBB190_88:
	s_or_b64 exec, exec, s[10:11]
	v_add_co_u32_e64 v9, s[10:11], v9, v13
	v_addc_co_u32_e64 v10, s[10:11], 0, v10, s[10:11]
	v_mov_b32_e32 v13, s13
	v_subrev_co_u32_e64 v9, s[10:11], s12, v9
	v_subb_co_u32_e64 v10, s[10:11], v10, v13, s[10:11]
	v_add_co_u32_e64 v9, s[10:11], 16, v9
	v_addc_co_u32_e64 v10, s[10:11], 0, v10, s[10:11]
	v_cndmask_b32_e32 v43, v10, v8, vcc
	v_cndmask_b32_e32 v42, v9, v7, vcc
	s_branch .LBB190_91
.LBB190_89:
                                        ; implicit-def: $vgpr42_vgpr43
                                        ; implicit-def: $vgpr6
                                        ; implicit-def: $vgpr21
                                        ; implicit-def: $vgpr20
	s_cbranch_execz .LBB190_91
; %bb.90:
	flat_load_dwordx4 v[20:23], v[7:8]
	s_lshl_b64 s[10:11], s[24:25], 7
	v_mov_b32_e32 v13, s11
	v_add_co_u32_e32 v9, vcc, s10, v7
	v_addc_co_u32_e32 v10, vcc, v8, v13, vcc
	v_add_u32_e32 v6, 8, v11
	s_movk_i32 s11, 0x210
	v_mad_u32_u24 v12, v6, s11, v12
	v_mov_b32_e32 v43, v8
	v_mov_b32_e32 v42, v7
	s_waitcnt vmcnt(0) lgkmcnt(0)
	ds_write2_b64 v17, v[20:21], v[22:23] offset1:1
	flat_load_dwordx4 v[20:23], v[9:10]
	v_add_co_u32_e32 v9, vcc, s10, v9
	v_addc_co_u32_e32 v10, vcc, v10, v13, vcc
	v_add_u32_e32 v17, 0x1080, v12
	s_waitcnt vmcnt(0) lgkmcnt(0)
	ds_write2_b64 v12, v[20:21], v[22:23] offset1:1
	flat_load_dwordx4 v[20:23], v[9:10]
	v_add_co_u32_e32 v9, vcc, s10, v9
	v_addc_co_u32_e32 v10, vcc, v10, v13, vcc
	s_waitcnt vmcnt(0) lgkmcnt(0)
	ds_write2_b64 v17, v[20:21], v[22:23] offset1:1
	flat_load_dwordx4 v[22:25], v[9:10]
	v_add_u32_e32 v21, 16, v11
	v_add_u32_e32 v20, 24, v11
	;; [unrolled: 1-line block ×3, first 2 shown]
	s_waitcnt vmcnt(0) lgkmcnt(0)
	ds_write2_b64 v9, v[22:23], v[24:25] offset1:1
.LBB190_91:
	v_lshlrev_b32_e32 v11, 4, v11
	v_add_u32_e32 v7, v45, v11
	s_waitcnt lgkmcnt(0)
	s_barrier
	ds_read_b128 v[7:10], v7
	ds_read_b128 v[22:25], v11 offset:18176
	v_lshlrev_b32_e32 v6, 4, v6
	v_add_u32_e32 v11, v45, v6
	ds_read_b128 v[26:29], v11
	ds_read_b128 v[30:33], v6 offset:18176
	v_lshlrev_b32_e32 v6, 4, v21
	s_waitcnt lgkmcnt(2)
	v_mul_f64 v[11:12], v[9:10], v[24:25]
	v_mul_f64 v[24:25], v[7:8], v[24:25]
	v_add_u32_e32 v13, v45, v6
	s_waitcnt lgkmcnt(0)
	v_mul_f64 v[51:52], v[28:29], v[32:33]
	ds_read_b128 v[34:37], v13
	ds_read_b128 v[47:50], v6 offset:18176
	v_mul_f64 v[32:33], v[26:27], v[32:33]
	v_fma_f64 v[6:7], v[7:8], v[22:23], -v[11:12]
	v_fma_f64 v[21:22], v[9:10], v[22:23], v[24:25]
	s_waitcnt lgkmcnt(0)
	v_mul_f64 v[53:54], v[36:37], v[49:50]
	v_fma_f64 v[26:27], v[26:27], v[30:31], -v[51:52]
	v_mul_f64 v[49:50], v[34:35], v[49:50]
	v_lshlrev_b32_e32 v10, 4, v20
	v_fma_f64 v[28:29], v[28:29], v[30:31], v[32:33]
	v_add_f64 v[23:24], v[6:7], 0
	v_add_f64 v[20:21], v[21:22], 0
	v_add_u32_e32 v6, v45, v10
	ds_read_b128 v[6:9], v6
	ds_read_b128 v[10:13], v10 offset:18176
	v_fma_f64 v[30:31], v[36:37], v[47:48], v[49:50]
	v_add_f64 v[22:23], v[23:24], v[26:27]
	v_fma_f64 v[24:25], v[34:35], v[47:48], -v[53:54]
	s_waitcnt lgkmcnt(0)
	v_mul_f64 v[26:27], v[8:9], v[12:13]
	v_mul_f64 v[12:13], v[6:7], v[12:13]
	v_add_f64 v[20:21], v[20:21], v[28:29]
	v_fma_f64 v[26:27], v[6:7], v[10:11], -v[26:27]
	v_fma_f64 v[10:11], v[8:9], v[10:11], v[12:13]
	v_add_f64 v[12:13], v[22:23], v[24:25]
	v_add_f64 v[20:21], v[20:21], v[30:31]
	ds_read_b128 v[22:25], v19 offset:528
	ds_read_b128 v[6:9], v19 offset:544
	;; [unrolled: 1-line block ×3, first 2 shown]
	ds_read_b128 v[34:37], v14
	v_add_f64 v[47:48], v[12:13], v[26:27]
	v_add_f64 v[49:50], v[20:21], v[10:11]
	ds_read_b128 v[10:13], v19 offset:560
	ds_read_b128 v[26:29], v15
	ds_read_b128 v[18:21], v18
	;; [unrolled: 1-line block ×3, first 2 shown]
	s_waitcnt lgkmcnt(0)
	s_barrier
	ds_write_b128 v46, v[47:50]
	s_waitcnt lgkmcnt(0)
	s_barrier
	s_and_saveexec_b64 s[10:11], s[8:9]
	s_cbranch_execz .LBB190_93
; %bb.92:
	ds_read_b128 v[47:50], v45
	ds_read_b128 v[51:54], v45 offset:16
	s_waitcnt lgkmcnt(1)
	v_add_f64 v[2:3], v[2:3], v[47:48]
	v_add_f64 v[4:5], v[4:5], v[49:50]
	s_waitcnt lgkmcnt(0)
	v_add_f64 v[51:52], v[2:3], v[51:52]
	v_add_f64 v[53:54], v[4:5], v[53:54]
	ds_read_b128 v[2:5], v45 offset:32
	ds_read_b128 v[47:50], v45 offset:48
	s_waitcnt lgkmcnt(1)
	v_add_f64 v[2:3], v[51:52], v[2:3]
	v_add_f64 v[4:5], v[53:54], v[4:5]
	s_waitcnt lgkmcnt(0)
	v_add_f64 v[51:52], v[2:3], v[47:48]
	v_add_f64 v[53:54], v[4:5], v[49:50]
	ds_read_b128 v[2:5], v45 offset:64
	;; [unrolled: 8-line block ×3, first 2 shown]
	ds_read_b128 v[47:50], v45 offset:112
	s_waitcnt lgkmcnt(1)
	v_add_f64 v[2:3], v[51:52], v[2:3]
	v_add_f64 v[4:5], v[53:54], v[4:5]
	s_waitcnt lgkmcnt(0)
	v_add_f64 v[2:3], v[2:3], v[47:48]
	v_add_f64 v[4:5], v[4:5], v[49:50]
.LBB190_93:
	s_or_b64 exec, exec, s[10:11]
	v_mul_f64 v[47:48], v[32:33], v[36:37]
	v_mul_f64 v[36:37], v[30:31], v[36:37]
	;; [unrolled: 1-line block ×4, first 2 shown]
	s_barrier
	v_fma_f64 v[30:31], v[30:31], v[34:35], -v[47:48]
	v_fma_f64 v[32:33], v[32:33], v[34:35], v[36:37]
	v_mul_f64 v[34:35], v[8:9], v[20:21]
	v_mul_f64 v[20:21], v[6:7], v[20:21]
	v_fma_f64 v[22:23], v[22:23], v[26:27], -v[49:50]
	v_fma_f64 v[24:25], v[24:25], v[26:27], v[28:29]
	v_add_f64 v[26:27], v[30:31], 0
	v_add_f64 v[28:29], v[32:33], 0
	v_mul_f64 v[30:31], v[12:13], v[16:17]
	v_mul_f64 v[16:17], v[10:11], v[16:17]
	v_fma_f64 v[6:7], v[6:7], v[18:19], -v[34:35]
	v_fma_f64 v[8:9], v[8:9], v[18:19], v[20:21]
	v_add_f64 v[18:19], v[26:27], v[22:23]
	v_add_f64 v[20:21], v[28:29], v[24:25]
	v_fma_f64 v[10:11], v[10:11], v[14:15], -v[30:31]
	v_fma_f64 v[12:13], v[12:13], v[14:15], v[16:17]
	v_add_f64 v[6:7], v[18:19], v[6:7]
	v_add_f64 v[8:9], v[20:21], v[8:9]
	;; [unrolled: 1-line block ×4, first 2 shown]
	ds_write_b128 v46, v[6:9]
	s_waitcnt lgkmcnt(0)
	s_barrier
	s_and_saveexec_b64 s[8:9], s[2:3]
	s_cbranch_execz .LBB190_95
; %bb.94:
	ds_read_b128 v[6:9], v45
	ds_read_b128 v[10:13], v45 offset:16
	s_waitcnt lgkmcnt(1)
	v_add_f64 v[2:3], v[2:3], v[6:7]
	v_add_f64 v[4:5], v[4:5], v[8:9]
	s_waitcnt lgkmcnt(0)
	v_add_f64 v[10:11], v[2:3], v[10:11]
	v_add_f64 v[12:13], v[4:5], v[12:13]
	ds_read_b128 v[2:5], v45 offset:32
	ds_read_b128 v[6:9], v45 offset:48
	s_waitcnt lgkmcnt(1)
	v_add_f64 v[2:3], v[10:11], v[2:3]
	v_add_f64 v[4:5], v[12:13], v[4:5]
	s_waitcnt lgkmcnt(0)
	v_add_f64 v[10:11], v[2:3], v[6:7]
	v_add_f64 v[12:13], v[4:5], v[8:9]
	ds_read_b128 v[2:5], v45 offset:64
	;; [unrolled: 8-line block ×3, first 2 shown]
	ds_read_b128 v[6:9], v45 offset:112
	s_waitcnt lgkmcnt(1)
	v_add_f64 v[2:3], v[10:11], v[2:3]
	v_add_f64 v[4:5], v[12:13], v[4:5]
	s_waitcnt lgkmcnt(0)
	v_add_f64 v[2:3], v[2:3], v[6:7]
	v_add_f64 v[4:5], v[4:5], v[8:9]
.LBB190_95:
	s_or_b64 exec, exec, s[8:9]
	s_load_dwordx2 s[2:3], s[4:5], 0x78
	s_mul_hi_u32 s4, s33, s26
	s_mul_i32 s38, s38, s26
	s_add_i32 s4, s4, s38
	s_mul_i32 s8, s33, s26
	s_mul_i32 s4, s4, s7
	s_mul_hi_u32 s5, s8, s7
	s_add_i32 s5, s5, s4
	s_mul_i32 s4, s8, s7
	s_lshl_b64 s[4:5], s[4:5], 4
	s_waitcnt lgkmcnt(0)
	s_add_u32 s4, s2, s4
	s_addc_u32 s5, s3, s5
	s_mul_hi_i32 s3, s33, s6
	s_mul_i32 s2, s33, s6
	s_lshl_b64 s[2:3], s[2:3], 4
	s_add_u32 s16, s4, s2
	s_addc_u32 s17, s5, s3
	s_add_i32 s2, s6, 1
	s_cmp_ge_u32 s2, s7
	v_lshlrev_b32_e32 v177, 4, v0
	s_barrier
	s_cbranch_scc1 .LBB190_153
; %bb.96:
	s_mul_i32 s2, s18, s29
	s_mul_hi_u32 s3, s18, s28
	s_add_i32 s2, s3, s2
	s_mul_i32 s3, s19, s28
	s_add_i32 s3, s2, s3
	s_mul_i32 s2, s18, s28
	s_lshl_b64 s[2:3], s[2:3], 4
	v_mov_b32_e32 v6, s3
	v_subrev_co_u32_e32 v179, vcc, s2, v40
	v_subb_co_u32_e32 v180, vcc, v41, v6, vcc
	v_lshrrev_b32_e32 v6, 4, v44
	v_lshlrev_b32_e32 v8, 6, v6
	v_mul_i32_i24_e32 v11, 0xffffffd0, v6
	v_and_b32_e32 v6, 48, v0
	v_and_b32_e32 v7, 15, v0
	v_lshlrev_b32_e32 v10, 6, v1
	s_movk_i32 s4, 0x430
	v_lshlrev_b32_e32 v6, 4, v6
	v_mad_u32_u24 v186, v7, s4, v6
	v_or_b32_e32 v6, 0xf0, v177
	v_add_u32_e32 v9, 0x220, v10
	v_mad_u32_u24 v185, v7, s4, v8
	v_mad_u32_u24 v187, v7, s4, v6
	v_mad_u64_u32 v[7:8], s[4:5], s24, v9, 0
	v_add_u32_e32 v13, 0x530, v10
	v_add_u32_e32 v182, 0x4300, v10
	v_mad_u64_u32 v[8:9], s[4:5], s25, v9, v[8:9]
	v_sub_co_u32_e32 v9, vcc, v7, v38
	v_subb_co_u32_e32 v12, vcc, v8, v39, vcc
	v_mad_u64_u32 v[7:8], s[4:5], s24, v13, 0
	v_add_co_u32_e32 v203, vcc, v42, v9
	v_mad_u64_u32 v[8:9], s[4:5], s25, v13, v[8:9]
	v_addc_co_u32_e32 v204, vcc, v43, v12, vcc
	v_sub_co_u32_e32 v9, vcc, v7, v38
	v_add_u32_e32 v13, 0x210, v10
	v_subb_co_u32_e32 v12, vcc, v8, v39, vcc
	v_mad_u64_u32 v[7:8], s[4:5], s24, v13, 0
	v_add_co_u32_e32 v205, vcc, v42, v9
	v_mad_u64_u32 v[8:9], s[4:5], s25, v13, v[8:9]
	v_addc_co_u32_e32 v206, vcc, v43, v12, vcc
	v_sub_co_u32_e32 v9, vcc, v7, v38
	v_add_u32_e32 v13, 0x500, v10
	;; [unrolled: 7-line block ×14, first 2 shown]
	v_subb_co_u32_e32 v12, vcc, v8, v39, vcc
	v_mad_u64_u32 v[7:8], s[4:5], s24, v10, 0
	v_add_co_u32_e32 v231, vcc, v42, v9
	v_mad_u64_u32 v[8:9], s[4:5], s25, v10, v[8:9]
	v_addc_co_u32_e32 v232, vcc, v43, v12, vcc
	v_sub_co_u32_e32 v7, vcc, v7, v38
	v_subb_co_u32_e32 v8, vcc, v8, v39, vcc
	v_lshlrev_b32_e32 v178, 2, v1
	s_movk_i32 s2, 0x10c0
	v_add_co_u32_e32 v233, vcc, v42, v7
	s_add_i32 s21, s7, -2
	v_add_u32_e32 v181, 0x4300, v177
	v_add_u32_e32 v183, 0x4700, v177
	v_mad_u32_u24 v184, v1, s2, v177
	v_cmp_gt_u32_e64 s[2:3], 64, v44
	v_or_b32_e32 v188, 1, v178
	v_or_b32_e32 v189, 2, v178
	;; [unrolled: 1-line block ×3, first 2 shown]
	v_add_u32_e32 v191, 16, v178
	v_add_u32_e32 v192, 17, v178
	;; [unrolled: 1-line block ×12, first 2 shown]
	s_add_i32 s26, s28, 64
	v_mov_b32_e32 v6, 0
	s_lshl_b64 s[10:11], s[24:25], 10
	v_addc_co_u32_e32 v234, vcc, v43, v8, vcc
	v_add_u32_e32 v235, v185, v11
	s_cmp_eq_u32 s21, s6
	s_cselect_b32 s24, s27, 0
	s_and_saveexec_b64 s[4:5], s[0:1]
	s_cbranch_execz .LBB190_102
	s_branch .LBB190_98
.LBB190_97:                             ;   in Loop: Header=BB190_102 Depth=1
	s_mov_b32 s6, s4
	s_cmp_eq_u32 s21, s6
	s_cselect_b32 s24, s27, 0
	s_and_saveexec_b64 s[4:5], s[0:1]
	s_cbranch_execz .LBB190_102
.LBB190_98:
	s_cmp_lg_u32 s24, 0
	s_cselect_b64 s[8:9], -1, 0
	v_cmp_le_i32_e32 vcc, s24, v0
	s_and_b64 s[8:9], s[8:9], vcc
	s_and_saveexec_b64 s[12:13], s[8:9]
	s_xor_b64 s[8:9], exec, s[12:13]
; %bb.99:
	v_mov_b32_e32 v7, v6
	v_mov_b32_e32 v8, v6
	v_mov_b32_e32 v9, v6
	ds_write_b128 v181, v[6:9]
; %bb.100:
	s_andn2_saveexec_b64 s[8:9], s[8:9]
	s_cbranch_execz .LBB190_102
; %bb.101:
	s_ashr_i32 s8, s26, 31
	s_mul_hi_u32 s9, s18, s26
	s_mul_i32 s8, s18, s8
	s_add_i32 s8, s9, s8
	s_mul_i32 s9, s19, s26
	s_add_i32 s9, s8, s9
	s_mul_i32 s8, s18, s26
	s_lshl_b64 s[8:9], s[8:9], 4
	v_mov_b32_e32 v8, s9
	v_add_co_u32_e32 v7, vcc, s8, v179
	v_addc_co_u32_e32 v8, vcc, v180, v8, vcc
	flat_load_dwordx4 v[7:10], v[7:8]
	s_waitcnt vmcnt(0) lgkmcnt(0)
	ds_write2_b64 v181, v[7:8], v[9:10] offset1:1
.LBB190_102:                            ; =>This Inner Loop Header: Depth=1
	s_or_b64 exec, exec, s[4:5]
	s_cmp_eq_u32 s24, 0
	v_add_co_u32_e32 v19, vcc, v211, v177
	s_cselect_b64 s[12:13], -1, 0
	s_cmp_lg_u32 s24, 0
	v_addc_co_u32_e32 v20, vcc, 0, v212, vcc
	s_cselect_b64 s[8:9], -1, 0
	s_and_b64 vcc, exec, s[8:9]
	s_waitcnt lgkmcnt(0)
	s_barrier
	s_cbranch_vccz .LBB190_110
; %bb.103:                              ;   in Loop: Header=BB190_102 Depth=1
	v_mov_b32_e32 v11, 0
	v_mov_b32_e32 v7, 0
	;; [unrolled: 1-line block ×6, first 2 shown]
	v_cmp_gt_i32_e32 vcc, s24, v178
	s_and_saveexec_b64 s[4:5], vcc
	s_cbranch_execz .LBB190_105
; %bb.104:                              ;   in Loop: Header=BB190_102 Depth=1
	flat_load_dwordx4 v[7:10], v[19:20]
.LBB190_105:                            ;   in Loop: Header=BB190_102 Depth=1
	s_or_b64 exec, exec, s[4:5]
	v_mov_b32_e32 v13, 0
	v_mov_b32_e32 v14, 0
	v_cmp_gt_i32_e32 vcc, s24, v188
	s_and_saveexec_b64 s[4:5], vcc
	s_cbranch_execz .LBB190_107
; %bb.106:                              ;   in Loop: Header=BB190_102 Depth=1
	v_add_co_u32_e32 v11, vcc, v207, v177
	v_addc_co_u32_e32 v12, vcc, 0, v208, vcc
	flat_load_dwordx4 v[11:14], v[11:12]
.LBB190_107:                            ;   in Loop: Header=BB190_102 Depth=1
	s_or_b64 exec, exec, s[4:5]
	v_mov_b32_e32 v15, 0
	v_mov_b32_e32 v17, 0
	;; [unrolled: 1-line block ×4, first 2 shown]
	v_cmp_gt_i32_e32 vcc, s24, v189
	s_and_saveexec_b64 s[4:5], vcc
	s_cbranch_execz .LBB190_109
; %bb.108:                              ;   in Loop: Header=BB190_102 Depth=1
	v_add_co_u32_e32 v15, vcc, v203, v177
	v_addc_co_u32_e32 v16, vcc, 0, v204, vcc
	flat_load_dwordx4 v[15:18], v[15:16]
.LBB190_109:                            ;   in Loop: Header=BB190_102 Depth=1
	s_or_b64 exec, exec, s[4:5]
	v_cmp_gt_i32_e64 s[4:5], s24, v190
	s_branch .LBB190_112
.LBB190_110:                            ;   in Loop: Header=BB190_102 Depth=1
	s_mov_b64 s[4:5], 0
                                        ; implicit-def: $vgpr17_vgpr18
                                        ; implicit-def: $vgpr13_vgpr14
                                        ; implicit-def: $vgpr9_vgpr10
	s_cbranch_execz .LBB190_112
; %bb.111:                              ;   in Loop: Header=BB190_102 Depth=1
	s_waitcnt vmcnt(0) lgkmcnt(0)
	v_add_co_u32_e32 v11, vcc, v207, v177
	v_addc_co_u32_e32 v12, vcc, 0, v208, vcc
	v_add_co_u32_e32 v15, vcc, v203, v177
	v_addc_co_u32_e32 v16, vcc, 0, v204, vcc
	flat_load_dwordx4 v[7:10], v[19:20]
	s_or_b64 s[4:5], s[4:5], exec
	flat_load_dwordx4 v[11:14], v[11:12]
	s_nop 0
	flat_load_dwordx4 v[15:18], v[15:16]
.LBB190_112:                            ;   in Loop: Header=BB190_102 Depth=1
	v_mov_b32_e32 v19, 0
	v_mov_b32_e32 v21, 0
	;; [unrolled: 1-line block ×4, first 2 shown]
	s_and_saveexec_b64 s[14:15], s[4:5]
	s_cbranch_execz .LBB190_114
; %bb.113:                              ;   in Loop: Header=BB190_102 Depth=1
	v_add_co_u32_e32 v19, vcc, v215, v177
	v_addc_co_u32_e32 v20, vcc, 0, v216, vcc
	flat_load_dwordx4 v[19:22], v[19:20]
.LBB190_114:                            ;   in Loop: Header=BB190_102 Depth=1
	s_or_b64 exec, exec, s[14:15]
	ds_read_b128 v[23:26], v183
	s_andn2_b64 vcc, exec, s[8:9]
	s_waitcnt vmcnt(0) lgkmcnt(0)
	v_mul_f64 v[27:28], v[9:10], v[25:26]
	v_mul_f64 v[29:30], v[7:8], v[25:26]
	;; [unrolled: 1-line block ×8, first 2 shown]
	v_fma_f64 v[27:28], v[7:8], v[23:24], -v[27:28]
	v_fma_f64 v[29:30], v[9:10], v[23:24], v[29:30]
	v_fma_f64 v[31:32], v[11:12], v[23:24], -v[31:32]
	v_fma_f64 v[33:34], v[13:14], v[23:24], v[33:34]
	;; [unrolled: 2-line block ×4, first 2 shown]
	ds_read_b128 v[47:50], v182
	ds_read_b128 v[43:46], v182 offset:16
	ds_read_b128 v[35:38], v182 offset:32
	;; [unrolled: 1-line block ×3, first 2 shown]
	ds_write_b128 v184, v[27:30]
	ds_write_b128 v184, v[31:34] offset:1072
	ds_write_b128 v184, v[39:42] offset:2144
	;; [unrolled: 1-line block ×3, first 2 shown]
	s_waitcnt lgkmcnt(0)
	s_barrier
	ds_read_b128 v[95:98], v185
	ds_read_b128 v[91:94], v185 offset:16
	ds_read_b128 v[87:90], v185 offset:32
	;; [unrolled: 1-line block ×3, first 2 shown]
	v_cndmask_b32_e64 v27, 0, 1, s[8:9]
	v_add_co_u32_e64 v51, s[8:9], v227, v177
	v_cmp_ne_u32_e64 s[4:5], 1, v27
	v_addc_co_u32_e64 v52, s[8:9], 0, v228, s[8:9]
	s_waitcnt lgkmcnt(0)
	s_barrier
	s_cbranch_vccnz .LBB190_122
; %bb.115:                              ;   in Loop: Header=BB190_102 Depth=1
	v_mov_b32_e32 v27, 0
	v_mov_b32_e32 v31, 0
	;; [unrolled: 1-line block ×6, first 2 shown]
	v_cmp_gt_i32_e32 vcc, s24, v191
	s_and_saveexec_b64 s[8:9], vcc
	s_cbranch_execz .LBB190_117
; %bb.116:                              ;   in Loop: Header=BB190_102 Depth=1
	flat_load_dwordx4 v[31:34], v[51:52]
.LBB190_117:                            ;   in Loop: Header=BB190_102 Depth=1
	s_or_b64 exec, exec, s[8:9]
	v_mov_b32_e32 v29, 0
	v_mov_b32_e32 v30, 0
	v_cmp_gt_i32_e32 vcc, s24, v192
	s_and_saveexec_b64 s[8:9], vcc
	s_cbranch_execz .LBB190_119
; %bb.118:                              ;   in Loop: Header=BB190_102 Depth=1
	v_add_co_u32_e32 v27, vcc, v223, v177
	v_addc_co_u32_e32 v28, vcc, 0, v224, vcc
	flat_load_dwordx4 v[27:30], v[27:28]
.LBB190_119:                            ;   in Loop: Header=BB190_102 Depth=1
	s_or_b64 exec, exec, s[8:9]
	v_mov_b32_e32 v39, 0
	v_mov_b32_e32 v41, 0
	;; [unrolled: 1-line block ×4, first 2 shown]
	v_cmp_gt_i32_e32 vcc, s24, v193
	s_and_saveexec_b64 s[8:9], vcc
	s_cbranch_execz .LBB190_121
; %bb.120:                              ;   in Loop: Header=BB190_102 Depth=1
	v_add_co_u32_e32 v39, vcc, v217, v177
	v_addc_co_u32_e32 v40, vcc, 0, v218, vcc
	flat_load_dwordx4 v[39:42], v[39:40]
.LBB190_121:                            ;   in Loop: Header=BB190_102 Depth=1
	s_or_b64 exec, exec, s[8:9]
	v_cmp_gt_i32_e64 s[8:9], s24, v194
	s_branch .LBB190_124
.LBB190_122:                            ;   in Loop: Header=BB190_102 Depth=1
	s_mov_b64 s[8:9], 0
                                        ; implicit-def: $vgpr41_vgpr42
                                        ; implicit-def: $vgpr29_vgpr30
                                        ; implicit-def: $vgpr33_vgpr34
	s_cbranch_execz .LBB190_124
; %bb.123:                              ;   in Loop: Header=BB190_102 Depth=1
	s_waitcnt vmcnt(0) lgkmcnt(0)
	v_add_co_u32_e32 v27, vcc, v223, v177
	v_addc_co_u32_e32 v28, vcc, 0, v224, vcc
	v_add_co_u32_e32 v39, vcc, v217, v177
	v_addc_co_u32_e32 v40, vcc, 0, v218, vcc
	flat_load_dwordx4 v[31:34], v[51:52]
	s_or_b64 s[8:9], s[8:9], exec
	flat_load_dwordx4 v[27:30], v[27:28]
	s_nop 0
	flat_load_dwordx4 v[39:42], v[39:40]
.LBB190_124:                            ;   in Loop: Header=BB190_102 Depth=1
	v_mov_b32_e32 v51, 0
	v_mov_b32_e32 v53, 0
	;; [unrolled: 1-line block ×4, first 2 shown]
	s_and_saveexec_b64 s[14:15], s[8:9]
	s_cbranch_execz .LBB190_126
; %bb.125:                              ;   in Loop: Header=BB190_102 Depth=1
	v_add_co_u32_e32 v51, vcc, v231, v177
	v_addc_co_u32_e32 v52, vcc, 0, v232, vcc
	flat_load_dwordx4 v[51:54], v[51:52]
.LBB190_126:                            ;   in Loop: Header=BB190_102 Depth=1
	s_or_b64 exec, exec, s[14:15]
	ds_read_b128 v[55:58], v183
	s_and_b64 vcc, exec, s[4:5]
	s_waitcnt vmcnt(0) lgkmcnt(0)
	v_mul_f64 v[59:60], v[33:34], v[57:58]
	v_mul_f64 v[61:62], v[31:32], v[57:58]
	;; [unrolled: 1-line block ×8, first 2 shown]
	v_fma_f64 v[63:64], v[31:32], v[55:56], -v[59:60]
	v_fma_f64 v[65:66], v[33:34], v[55:56], v[61:62]
	v_fma_f64 v[67:68], v[27:28], v[55:56], -v[67:68]
	v_fma_f64 v[69:70], v[29:30], v[55:56], v[69:70]
	;; [unrolled: 2-line block ×4, first 2 shown]
	ds_read_b128 v[75:78], v182 offset:256
	ds_read_b128 v[71:74], v182 offset:272
	;; [unrolled: 1-line block ×4, first 2 shown]
	ds_write_b128 v184, v[63:66]
	ds_write_b128 v184, v[67:70] offset:1072
	ds_write_b128 v184, v[79:82] offset:2144
	;; [unrolled: 1-line block ×3, first 2 shown]
	s_waitcnt lgkmcnt(0)
	s_barrier
	ds_read_b128 v[147:150], v185
	ds_read_b128 v[139:142], v185 offset:16
	ds_read_b128 v[135:138], v185 offset:32
	;; [unrolled: 1-line block ×3, first 2 shown]
	v_add_co_u32_e64 v99, s[8:9], v225, v177
	v_addc_co_u32_e64 v100, s[8:9], 0, v226, s[8:9]
	s_waitcnt lgkmcnt(0)
	s_barrier
	s_cbranch_vccnz .LBB190_134
; %bb.127:                              ;   in Loop: Header=BB190_102 Depth=1
	v_mov_b32_e32 v67, 0
	v_mov_b32_e32 v63, 0
	;; [unrolled: 1-line block ×6, first 2 shown]
	v_cmp_gt_i32_e32 vcc, s24, v195
	s_and_saveexec_b64 s[8:9], vcc
	s_cbranch_execz .LBB190_129
; %bb.128:                              ;   in Loop: Header=BB190_102 Depth=1
	flat_load_dwordx4 v[63:66], v[99:100]
.LBB190_129:                            ;   in Loop: Header=BB190_102 Depth=1
	s_or_b64 exec, exec, s[8:9]
	v_mov_b32_e32 v69, 0
	v_mov_b32_e32 v70, 0
	v_cmp_gt_i32_e32 vcc, s24, v196
	s_and_saveexec_b64 s[8:9], vcc
	s_cbranch_execz .LBB190_131
; %bb.130:                              ;   in Loop: Header=BB190_102 Depth=1
	v_add_co_u32_e32 v67, vcc, v229, v177
	v_addc_co_u32_e32 v68, vcc, 0, v230, vcc
	flat_load_dwordx4 v[67:70], v[67:68]
.LBB190_131:                            ;   in Loop: Header=BB190_102 Depth=1
	s_or_b64 exec, exec, s[8:9]
	v_mov_b32_e32 v79, 0
	v_mov_b32_e32 v81, 0
	;; [unrolled: 1-line block ×4, first 2 shown]
	v_cmp_gt_i32_e32 vcc, s24, v197
	s_and_saveexec_b64 s[8:9], vcc
	s_cbranch_execz .LBB190_133
; %bb.132:                              ;   in Loop: Header=BB190_102 Depth=1
	v_add_co_u32_e32 v79, vcc, v233, v177
	v_addc_co_u32_e32 v80, vcc, 0, v234, vcc
	flat_load_dwordx4 v[79:82], v[79:80]
.LBB190_133:                            ;   in Loop: Header=BB190_102 Depth=1
	s_or_b64 exec, exec, s[8:9]
	v_cmp_gt_i32_e64 s[8:9], s24, v198
	s_branch .LBB190_136
.LBB190_134:                            ;   in Loop: Header=BB190_102 Depth=1
	s_mov_b64 s[8:9], 0
                                        ; implicit-def: $vgpr81_vgpr82
                                        ; implicit-def: $vgpr69_vgpr70
                                        ; implicit-def: $vgpr65_vgpr66
	s_cbranch_execz .LBB190_136
; %bb.135:                              ;   in Loop: Header=BB190_102 Depth=1
	s_waitcnt vmcnt(0) lgkmcnt(0)
	v_add_co_u32_e32 v67, vcc, v229, v177
	v_addc_co_u32_e32 v68, vcc, 0, v230, vcc
	v_add_co_u32_e32 v79, vcc, v233, v177
	v_addc_co_u32_e32 v80, vcc, 0, v234, vcc
	flat_load_dwordx4 v[63:66], v[99:100]
	s_or_b64 s[8:9], s[8:9], exec
	flat_load_dwordx4 v[67:70], v[67:68]
	s_nop 0
	flat_load_dwordx4 v[79:82], v[79:80]
.LBB190_136:                            ;   in Loop: Header=BB190_102 Depth=1
	v_mov_b32_e32 v99, 0
	v_mov_b32_e32 v101, 0
	;; [unrolled: 1-line block ×4, first 2 shown]
	s_and_saveexec_b64 s[14:15], s[8:9]
	s_cbranch_execz .LBB190_138
; %bb.137:                              ;   in Loop: Header=BB190_102 Depth=1
	v_add_co_u32_e32 v99, vcc, v221, v177
	v_addc_co_u32_e32 v100, vcc, 0, v222, vcc
	flat_load_dwordx4 v[99:102], v[99:100]
.LBB190_138:                            ;   in Loop: Header=BB190_102 Depth=1
	s_or_b64 exec, exec, s[14:15]
	ds_read_b128 v[103:106], v183
	s_and_b64 vcc, exec, s[4:5]
	s_waitcnt vmcnt(0) lgkmcnt(0)
	v_mul_f64 v[107:108], v[65:66], v[105:106]
	v_mul_f64 v[109:110], v[63:64], v[105:106]
	;; [unrolled: 1-line block ×8, first 2 shown]
	v_fma_f64 v[119:120], v[63:64], v[103:104], -v[107:108]
	v_fma_f64 v[121:122], v[65:66], v[103:104], v[109:110]
	v_fma_f64 v[123:124], v[67:68], v[103:104], -v[111:112]
	v_fma_f64 v[125:126], v[69:70], v[103:104], v[113:114]
	;; [unrolled: 2-line block ×4, first 2 shown]
	ds_read_b128 v[115:118], v182 offset:512
	ds_read_b128 v[111:114], v182 offset:528
	;; [unrolled: 1-line block ×4, first 2 shown]
	ds_write_b128 v184, v[119:122]
	ds_write_b128 v184, v[123:126] offset:1072
	ds_write_b128 v184, v[127:130] offset:2144
	;; [unrolled: 1-line block ×3, first 2 shown]
	s_waitcnt lgkmcnt(0)
	s_barrier
	ds_read_b128 v[155:158], v185
	ds_read_b128 v[151:154], v185 offset:16
	ds_read_b128 v[171:174], v185 offset:32
	;; [unrolled: 1-line block ×3, first 2 shown]
	v_add_co_u32_e64 v143, s[4:5], v209, v177
	v_addc_co_u32_e64 v144, s[4:5], 0, v210, s[4:5]
	s_waitcnt lgkmcnt(0)
	s_barrier
	s_cbranch_vccnz .LBB190_146
; %bb.139:                              ;   in Loop: Header=BB190_102 Depth=1
	v_mov_b32_e32 v123, 0
	v_mov_b32_e32 v119, 0
	;; [unrolled: 1-line block ×6, first 2 shown]
	v_cmp_gt_i32_e32 vcc, s24, v199
	s_and_saveexec_b64 s[4:5], vcc
	s_cbranch_execz .LBB190_141
; %bb.140:                              ;   in Loop: Header=BB190_102 Depth=1
	flat_load_dwordx4 v[119:122], v[143:144]
.LBB190_141:                            ;   in Loop: Header=BB190_102 Depth=1
	s_or_b64 exec, exec, s[4:5]
	v_mov_b32_e32 v125, 0
	v_mov_b32_e32 v126, 0
	v_cmp_gt_i32_e32 vcc, s24, v200
	s_and_saveexec_b64 s[4:5], vcc
	s_cbranch_execz .LBB190_143
; %bb.142:                              ;   in Loop: Header=BB190_102 Depth=1
	v_add_co_u32_e32 v123, vcc, v213, v177
	v_addc_co_u32_e32 v124, vcc, 0, v214, vcc
	flat_load_dwordx4 v[123:126], v[123:124]
.LBB190_143:                            ;   in Loop: Header=BB190_102 Depth=1
	s_or_b64 exec, exec, s[4:5]
	v_mov_b32_e32 v127, 0
	v_mov_b32_e32 v129, 0
	;; [unrolled: 1-line block ×4, first 2 shown]
	v_cmp_gt_i32_e32 vcc, s24, v201
	s_and_saveexec_b64 s[4:5], vcc
	s_cbranch_execz .LBB190_145
; %bb.144:                              ;   in Loop: Header=BB190_102 Depth=1
	v_add_co_u32_e32 v127, vcc, v219, v177
	v_addc_co_u32_e32 v128, vcc, 0, v220, vcc
	flat_load_dwordx4 v[127:130], v[127:128]
.LBB190_145:                            ;   in Loop: Header=BB190_102 Depth=1
	s_or_b64 exec, exec, s[4:5]
	v_cmp_gt_i32_e64 s[4:5], s24, v202
	s_branch .LBB190_148
.LBB190_146:                            ;   in Loop: Header=BB190_102 Depth=1
	s_mov_b64 s[4:5], 0
                                        ; implicit-def: $vgpr129_vgpr130
                                        ; implicit-def: $vgpr125_vgpr126
                                        ; implicit-def: $vgpr121_vgpr122
	s_cbranch_execz .LBB190_148
; %bb.147:                              ;   in Loop: Header=BB190_102 Depth=1
	s_waitcnt vmcnt(0) lgkmcnt(0)
	v_add_co_u32_e32 v123, vcc, v213, v177
	v_addc_co_u32_e32 v124, vcc, 0, v214, vcc
	v_add_co_u32_e32 v127, vcc, v219, v177
	v_addc_co_u32_e32 v128, vcc, 0, v220, vcc
	flat_load_dwordx4 v[119:122], v[143:144]
	s_or_b64 s[4:5], s[4:5], exec
	flat_load_dwordx4 v[123:126], v[123:124]
	s_nop 0
	flat_load_dwordx4 v[127:130], v[127:128]
.LBB190_148:                            ;   in Loop: Header=BB190_102 Depth=1
	v_mov_b32_e32 v143, 0
	v_mov_b32_e32 v145, 0
	;; [unrolled: 1-line block ×4, first 2 shown]
	s_and_saveexec_b64 s[8:9], s[4:5]
	s_cbranch_execz .LBB190_150
; %bb.149:                              ;   in Loop: Header=BB190_102 Depth=1
	v_add_co_u32_e32 v143, vcc, v205, v177
	v_addc_co_u32_e32 v144, vcc, 0, v206, vcc
	flat_load_dwordx4 v[143:146], v[143:144]
.LBB190_150:                            ;   in Loop: Header=BB190_102 Depth=1
	s_or_b64 exec, exec, s[8:9]
	v_add_f64 v[155:156], v[155:156], 0
	v_add_f64 v[157:158], v[157:158], 0
	ds_read_b128 v[159:162], v183
	v_add_f64 v[147:148], v[147:148], 0
	v_add_f64 v[149:150], v[149:150], 0
	v_cmp_gt_i32_e32 vcc, s24, v0
	s_or_b64 s[4:5], s[12:13], vcc
	s_waitcnt vmcnt(0) lgkmcnt(0)
	v_mul_f64 v[163:164], v[121:122], v[161:162]
	v_mul_f64 v[165:166], v[119:120], v[161:162]
	;; [unrolled: 1-line block ×3, first 2 shown]
	v_add_f64 v[252:253], v[155:156], v[151:152]
	v_mul_f64 v[151:152], v[123:124], v[161:162]
	v_add_f64 v[254:255], v[157:158], v[153:154]
	v_mul_f64 v[153:154], v[129:130], v[161:162]
	v_mul_f64 v[155:156], v[127:128], v[161:162]
	;; [unrolled: 1-line block ×4, first 2 shown]
	v_fma_f64 v[236:237], v[119:120], v[159:160], -v[163:164]
	v_fma_f64 v[238:239], v[121:122], v[159:160], v[165:166]
	v_fma_f64 v[240:241], v[123:124], v[159:160], -v[240:241]
	v_fma_f64 v[242:243], v[125:126], v[159:160], v[151:152]
	;; [unrolled: 2-line block ×4, first 2 shown]
	ds_read_b128 v[163:166], v182 offset:768
	ds_read_b128 v[159:162], v182 offset:784
	;; [unrolled: 1-line block ×4, first 2 shown]
	ds_write_b128 v184, v[236:239]
	ds_write_b128 v184, v[240:243] offset:1072
	ds_write_b128 v184, v[244:247] offset:2144
	;; [unrolled: 1-line block ×3, first 2 shown]
	s_waitcnt lgkmcnt(0)
	s_barrier
	ds_read_b128 v[236:239], v185
	v_add_f64 v[240:241], v[95:96], 0
	v_add_f64 v[242:243], v[97:98], 0
	ds_read_b128 v[95:98], v185 offset:16
	v_add_f64 v[139:140], v[147:148], v[139:140]
	s_waitcnt lgkmcnt(1)
	v_add_f64 v[236:237], v[236:237], 0
	v_add_f64 v[238:239], v[238:239], 0
	;; [unrolled: 1-line block ×6, first 2 shown]
	ds_read_b128 v[91:94], v185 offset:32
	v_add_f64 v[135:136], v[139:140], v[135:136]
	s_waitcnt lgkmcnt(1)
	v_add_f64 v[95:96], v[236:237], v[95:96]
	v_add_f64 v[97:98], v[238:239], v[97:98]
	;; [unrolled: 1-line block ×6, first 2 shown]
	ds_read_b128 v[87:90], v185 offset:48
	s_and_b64 s[8:9], s[2:3], s[4:5]
	s_waitcnt lgkmcnt(1)
	v_add_f64 v[149:150], v[95:96], v[91:92]
	v_add_f64 v[171:172], v[97:98], v[93:94]
	;; [unrolled: 1-line block ×8, first 2 shown]
	s_waitcnt lgkmcnt(0)
	v_add_f64 v[87:88], v[149:150], v[87:88]
	v_add_f64 v[89:90], v[171:172], v[89:90]
	s_barrier
	ds_write_b128 v235, v[83:86]
	ds_write_b128 v235, v[95:98] offset:256
	ds_write_b128 v235, v[91:94] offset:512
	;; [unrolled: 1-line block ×3, first 2 shown]
	s_waitcnt lgkmcnt(0)
	s_barrier
	s_and_saveexec_b64 s[4:5], s[8:9]
	s_cbranch_execz .LBB190_152
; %bb.151:                              ;   in Loop: Header=BB190_102 Depth=1
	ds_read_b128 v[83:86], v186
	ds_read_b128 v[87:90], v186 offset:16
	s_waitcnt lgkmcnt(0)
	v_add_f64 v[91:92], v[87:88], v[83:84]
	v_add_f64 v[93:94], v[89:90], v[85:86]
	ds_read_b128 v[83:86], v186 offset:32
	ds_read_b128 v[87:90], v186 offset:48
	s_waitcnt lgkmcnt(1)
	v_add_f64 v[83:84], v[91:92], v[83:84]
	v_add_f64 v[85:86], v[93:94], v[85:86]
	s_waitcnt lgkmcnt(0)
	v_add_f64 v[91:92], v[83:84], v[87:88]
	v_add_f64 v[93:94], v[85:86], v[89:90]
	ds_read_b128 v[83:86], v186 offset:64
	ds_read_b128 v[87:90], v186 offset:80
	s_waitcnt lgkmcnt(1)
	v_add_f64 v[83:84], v[91:92], v[83:84]
	v_add_f64 v[85:86], v[93:94], v[85:86]
	;; [unrolled: 8-line block ×6, first 2 shown]
	s_waitcnt lgkmcnt(0)
	v_add_f64 v[91:92], v[83:84], v[87:88]
	v_add_f64 v[93:94], v[85:86], v[89:90]
	ds_read_b128 v[83:86], v186 offset:224
	ds_read_b128 v[87:90], v187
	s_waitcnt lgkmcnt(1)
	v_add_f64 v[83:84], v[91:92], v[83:84]
	v_add_f64 v[85:86], v[93:94], v[85:86]
	s_waitcnt lgkmcnt(0)
	v_add_f64 v[83:84], v[83:84], v[87:88]
	v_add_f64 v[85:86], v[85:86], v[89:90]
	v_add_u32_e32 v87, s26, v0
	v_ashrrev_i32_e32 v88, 31, v87
	v_lshlrev_b64 v[87:88], 4, v[87:88]
	v_mov_b32_e32 v89, s17
	v_add_co_u32_e32 v87, vcc, s16, v87
	v_addc_co_u32_e32 v88, vcc, v89, v88, vcc
	global_store_dwordx4 v[87:88], v[83:86], off
.LBB190_152:                            ;   in Loop: Header=BB190_102 Depth=1
	s_or_b64 exec, exec, s[4:5]
	v_mul_f64 v[83:84], v[9:10], v[49:50]
	v_mul_f64 v[49:50], v[7:8], v[49:50]
	;; [unrolled: 1-line block ×4, first 2 shown]
	v_add_co_u32_e32 v203, vcc, s10, v203
	s_add_i32 s4, s6, 1
	s_add_i32 s26, s26, 64
	v_fma_f64 v[7:8], v[7:8], v[47:48], -v[83:84]
	v_fma_f64 v[9:10], v[9:10], v[47:48], v[49:50]
	v_mul_f64 v[47:48], v[17:18], v[37:38]
	v_mul_f64 v[37:38], v[15:16], v[37:38]
	v_fma_f64 v[11:12], v[11:12], v[43:44], -v[85:86]
	v_fma_f64 v[13:14], v[13:14], v[43:44], v[45:46]
	v_mul_f64 v[49:50], v[21:22], v[25:26]
	v_mul_f64 v[43:44], v[29:30], v[73:74]
	v_add_f64 v[2:3], v[2:3], v[7:8]
	v_add_f64 v[4:5], v[4:5], v[9:10]
	v_mul_f64 v[7:8], v[19:20], v[25:26]
	v_fma_f64 v[15:16], v[15:16], v[35:36], -v[47:48]
	v_fma_f64 v[17:18], v[17:18], v[35:36], v[37:38]
	v_mul_f64 v[9:10], v[33:34], v[77:78]
	v_mul_f64 v[25:26], v[31:32], v[77:78]
	v_fma_f64 v[19:20], v[19:20], v[23:24], -v[49:50]
	v_add_f64 v[2:3], v[2:3], v[11:12]
	v_add_f64 v[4:5], v[4:5], v[13:14]
	v_fma_f64 v[7:8], v[21:22], v[23:24], v[7:8]
	v_mul_f64 v[11:12], v[27:28], v[73:74]
	v_mul_f64 v[13:14], v[41:42], v[61:62]
	v_fma_f64 v[9:10], v[31:32], v[75:76], -v[9:10]
	v_fma_f64 v[25:26], v[33:34], v[75:76], v[25:26]
	v_mul_f64 v[35:36], v[39:40], v[61:62]
	v_add_f64 v[2:3], v[2:3], v[15:16]
	v_add_f64 v[4:5], v[4:5], v[17:18]
	v_fma_f64 v[27:28], v[27:28], v[71:72], -v[43:44]
	v_fma_f64 v[11:12], v[29:30], v[71:72], v[11:12]
	v_mul_f64 v[37:38], v[53:54], v[57:58]
	v_mul_f64 v[15:16], v[51:52], v[57:58]
	v_fma_f64 v[13:14], v[39:40], v[59:60], -v[13:14]
	v_fma_f64 v[35:36], v[41:42], v[59:60], v[35:36]
	v_add_f64 v[2:3], v[2:3], v[19:20]
	v_add_f64 v[4:5], v[4:5], v[7:8]
	v_mul_f64 v[17:18], v[65:66], v[117:118]
	v_mul_f64 v[21:22], v[63:64], v[117:118]
	v_fma_f64 v[37:38], v[51:52], v[55:56], -v[37:38]
	v_fma_f64 v[15:16], v[53:54], v[55:56], v[15:16]
	v_mul_f64 v[23:24], v[69:70], v[113:114]
	v_mul_f64 v[7:8], v[67:68], v[113:114]
	v_add_f64 v[2:3], v[2:3], v[9:10]
	v_add_f64 v[4:5], v[4:5], v[25:26]
	v_fma_f64 v[17:18], v[63:64], v[115:116], -v[17:18]
	v_fma_f64 v[21:22], v[65:66], v[115:116], v[21:22]
	v_mul_f64 v[19:20], v[81:82], v[109:110]
	v_mul_f64 v[31:32], v[79:80], v[109:110]
	;; [unrolled: 1-line block ×3, first 2 shown]
	v_fma_f64 v[7:8], v[69:70], v[111:112], v[7:8]
	v_add_f64 v[2:3], v[2:3], v[27:28]
	v_add_f64 v[4:5], v[4:5], v[11:12]
	v_mul_f64 v[9:10], v[99:100], v[105:106]
	v_mul_f64 v[25:26], v[121:122], v[165:166]
	;; [unrolled: 1-line block ×6, first 2 shown]
	v_add_f64 v[2:3], v[2:3], v[13:14]
	v_add_f64 v[4:5], v[4:5], v[35:36]
	v_fma_f64 v[9:10], v[101:102], v[103:104], v[9:10]
	v_mul_f64 v[39:40], v[127:128], v[157:158]
	v_mov_b32_e32 v35, s11
	v_addc_co_u32_e32 v204, vcc, v204, v35, vcc
	v_add_co_u32_e32 v205, vcc, s10, v205
	v_add_f64 v[2:3], v[2:3], v[37:38]
	v_add_f64 v[4:5], v[4:5], v[15:16]
	v_fma_f64 v[15:16], v[67:68], v[111:112], -v[23:24]
	v_addc_co_u32_e32 v206, vcc, v206, v35, vcc
	v_add_co_u32_e32 v207, vcc, s10, v207
	v_addc_co_u32_e32 v208, vcc, v208, v35, vcc
	v_add_f64 v[2:3], v[2:3], v[17:18]
	v_add_f64 v[4:5], v[4:5], v[21:22]
	v_fma_f64 v[17:18], v[79:80], v[107:108], -v[19:20]
	v_fma_f64 v[19:20], v[81:82], v[107:108], v[31:32]
	v_add_co_u32_e32 v209, vcc, s10, v209
	v_addc_co_u32_e32 v210, vcc, v210, v35, vcc
	v_add_f64 v[2:3], v[2:3], v[15:16]
	v_add_f64 v[4:5], v[4:5], v[7:8]
	v_fma_f64 v[7:8], v[99:100], v[103:104], -v[33:34]
	v_fma_f64 v[15:16], v[119:120], v[163:164], -v[25:26]
	v_mul_f64 v[41:42], v[145:146], v[153:154]
	v_mul_f64 v[13:14], v[143:144], v[153:154]
	v_add_co_u32_e32 v211, vcc, s10, v211
	v_add_f64 v[2:3], v[2:3], v[17:18]
	v_add_f64 v[4:5], v[4:5], v[19:20]
	v_fma_f64 v[17:18], v[121:122], v[163:164], v[29:30]
	v_addc_co_u32_e32 v212, vcc, v212, v35, vcc
	v_add_co_u32_e32 v213, vcc, s10, v213
	v_addc_co_u32_e32 v214, vcc, v214, v35, vcc
	v_add_f64 v[2:3], v[2:3], v[7:8]
	v_add_f64 v[4:5], v[4:5], v[9:10]
	v_fma_f64 v[7:8], v[123:124], v[159:160], -v[43:44]
	v_fma_f64 v[9:10], v[125:126], v[159:160], v[11:12]
	v_fma_f64 v[11:12], v[127:128], v[155:156], -v[27:28]
	v_add_co_u32_e32 v215, vcc, s10, v215
	v_addc_co_u32_e32 v216, vcc, v216, v35, vcc
	v_add_f64 v[2:3], v[2:3], v[15:16]
	v_add_f64 v[4:5], v[4:5], v[17:18]
	v_fma_f64 v[15:16], v[129:130], v[155:156], v[39:40]
	v_add_co_u32_e32 v217, vcc, s10, v217
	v_addc_co_u32_e32 v218, vcc, v218, v35, vcc
	v_add_co_u32_e32 v219, vcc, s10, v219
	v_add_f64 v[2:3], v[2:3], v[7:8]
	v_add_f64 v[4:5], v[4:5], v[9:10]
	v_fma_f64 v[7:8], v[143:144], v[151:152], -v[41:42]
	v_fma_f64 v[9:10], v[145:146], v[151:152], v[13:14]
	v_addc_co_u32_e32 v220, vcc, v220, v35, vcc
	v_add_co_u32_e32 v221, vcc, s10, v221
	v_add_f64 v[2:3], v[2:3], v[11:12]
	v_add_f64 v[4:5], v[4:5], v[15:16]
	v_addc_co_u32_e32 v222, vcc, v222, v35, vcc
	v_add_co_u32_e32 v223, vcc, s10, v223
	v_addc_co_u32_e32 v224, vcc, v224, v35, vcc
	v_add_co_u32_e32 v225, vcc, s10, v225
	v_addc_co_u32_e32 v226, vcc, v226, v35, vcc
	v_add_f64 v[2:3], v[2:3], v[7:8]
	v_add_f64 v[4:5], v[4:5], v[9:10]
	v_add_co_u32_e32 v227, vcc, s10, v227
	v_addc_co_u32_e32 v228, vcc, v228, v35, vcc
	v_add_co_u32_e32 v229, vcc, s10, v229
	v_addc_co_u32_e32 v230, vcc, v230, v35, vcc
	;; [unrolled: 2-line block ×3, first 2 shown]
	s_add_i32 s5, s6, 2
	v_add_co_u32_e32 v233, vcc, s10, v233
	s_cmp_ge_u32 s5, s7
	v_addc_co_u32_e32 v234, vcc, v234, v35, vcc
	s_waitcnt vmcnt(0)
	s_barrier
	s_cbranch_scc0 .LBB190_97
.LBB190_153:
	s_movk_i32 s2, 0x430
	v_cmp_gt_i32_e32 vcc, s20, v0
	v_mad_u32_u24 v1, v1, s2, v177
	s_or_b64 s[2:3], s[22:23], vcc
	s_and_b64 s[0:1], s[0:1], s[2:3]
	ds_write_b128 v1, v[2:5]
	s_waitcnt lgkmcnt(0)
	s_barrier
	s_and_saveexec_b64 s[2:3], s[0:1]
	s_cbranch_execz .LBB190_155
; %bb.154:
	ds_read_b128 v[0:3], v177 offset:1072
	ds_read_b128 v[4:7], v177
	s_waitcnt lgkmcnt(0)
	v_add_f64 v[8:9], v[0:1], v[4:5]
	v_add_f64 v[10:11], v[2:3], v[6:7]
	ds_read_b128 v[0:3], v177 offset:2144
	ds_read_b128 v[4:7], v177 offset:3216
	s_waitcnt lgkmcnt(1)
	v_add_f64 v[0:1], v[8:9], v[0:1]
	v_add_f64 v[2:3], v[10:11], v[2:3]
	s_waitcnt lgkmcnt(0)
	v_add_f64 v[0:1], v[0:1], v[4:5]
	v_add_f64 v[2:3], v[2:3], v[6:7]
	v_lshlrev_b64 v[4:5], 4, v[175:176]
	v_mov_b32_e32 v6, s17
	v_add_co_u32_e32 v4, vcc, s16, v4
	v_addc_co_u32_e32 v5, vcc, v6, v5, vcc
	global_store_dwordx4 v[4:5], v[0:3], off
.LBB190_155:
	s_endpgm
	.section	.rodata,"a",@progbits
	.p2align	6, 0x0
	.amdhsa_kernel _ZL26rocblas_hemvn_kernel_upperILb0ELi64ELi4ELi33ELi32ELi16El19rocblas_complex_numIdEPKPKS1_PS1_EviT6_lT7_lT5_lS8_lS9_lS7_lT8_i
		.amdhsa_group_segment_fixed_size 19200
		.amdhsa_private_segment_fixed_size 0
		.amdhsa_kernarg_size 392
		.amdhsa_user_sgpr_count 6
		.amdhsa_user_sgpr_private_segment_buffer 1
		.amdhsa_user_sgpr_dispatch_ptr 0
		.amdhsa_user_sgpr_queue_ptr 0
		.amdhsa_user_sgpr_kernarg_segment_ptr 1
		.amdhsa_user_sgpr_dispatch_id 0
		.amdhsa_user_sgpr_flat_scratch_init 0
		.amdhsa_user_sgpr_private_segment_size 0
		.amdhsa_uses_dynamic_stack 0
		.amdhsa_system_sgpr_private_segment_wavefront_offset 0
		.amdhsa_system_sgpr_workgroup_id_x 1
		.amdhsa_system_sgpr_workgroup_id_y 0
		.amdhsa_system_sgpr_workgroup_id_z 1
		.amdhsa_system_sgpr_workgroup_info 0
		.amdhsa_system_vgpr_workitem_id 1
		.amdhsa_next_free_vgpr 256
		.amdhsa_next_free_sgpr 98
		.amdhsa_reserve_vcc 1
		.amdhsa_reserve_flat_scratch 0
		.amdhsa_float_round_mode_32 0
		.amdhsa_float_round_mode_16_64 0
		.amdhsa_float_denorm_mode_32 3
		.amdhsa_float_denorm_mode_16_64 3
		.amdhsa_dx10_clamp 1
		.amdhsa_ieee_mode 1
		.amdhsa_fp16_overflow 0
		.amdhsa_exception_fp_ieee_invalid_op 0
		.amdhsa_exception_fp_denorm_src 0
		.amdhsa_exception_fp_ieee_div_zero 0
		.amdhsa_exception_fp_ieee_overflow 0
		.amdhsa_exception_fp_ieee_underflow 0
		.amdhsa_exception_fp_ieee_inexact 0
		.amdhsa_exception_int_div_zero 0
	.end_amdhsa_kernel
	.section	.text._ZL26rocblas_hemvn_kernel_upperILb0ELi64ELi4ELi33ELi32ELi16El19rocblas_complex_numIdEPKPKS1_PS1_EviT6_lT7_lT5_lS8_lS9_lS7_lT8_i,"axG",@progbits,_ZL26rocblas_hemvn_kernel_upperILb0ELi64ELi4ELi33ELi32ELi16El19rocblas_complex_numIdEPKPKS1_PS1_EviT6_lT7_lT5_lS8_lS9_lS7_lT8_i,comdat
.Lfunc_end190:
	.size	_ZL26rocblas_hemvn_kernel_upperILb0ELi64ELi4ELi33ELi32ELi16El19rocblas_complex_numIdEPKPKS1_PS1_EviT6_lT7_lT5_lS8_lS9_lS7_lT8_i, .Lfunc_end190-_ZL26rocblas_hemvn_kernel_upperILb0ELi64ELi4ELi33ELi32ELi16El19rocblas_complex_numIdEPKPKS1_PS1_EviT6_lT7_lT5_lS8_lS9_lS7_lT8_i
                                        ; -- End function
	.set _ZL26rocblas_hemvn_kernel_upperILb0ELi64ELi4ELi33ELi32ELi16El19rocblas_complex_numIdEPKPKS1_PS1_EviT6_lT7_lT5_lS8_lS9_lS7_lT8_i.num_vgpr, 256
	.set _ZL26rocblas_hemvn_kernel_upperILb0ELi64ELi4ELi33ELi32ELi16El19rocblas_complex_numIdEPKPKS1_PS1_EviT6_lT7_lT5_lS8_lS9_lS7_lT8_i.num_agpr, 0
	.set _ZL26rocblas_hemvn_kernel_upperILb0ELi64ELi4ELi33ELi32ELi16El19rocblas_complex_numIdEPKPKS1_PS1_EviT6_lT7_lT5_lS8_lS9_lS7_lT8_i.numbered_sgpr, 42
	.set _ZL26rocblas_hemvn_kernel_upperILb0ELi64ELi4ELi33ELi32ELi16El19rocblas_complex_numIdEPKPKS1_PS1_EviT6_lT7_lT5_lS8_lS9_lS7_lT8_i.num_named_barrier, 0
	.set _ZL26rocblas_hemvn_kernel_upperILb0ELi64ELi4ELi33ELi32ELi16El19rocblas_complex_numIdEPKPKS1_PS1_EviT6_lT7_lT5_lS8_lS9_lS7_lT8_i.private_seg_size, 0
	.set _ZL26rocblas_hemvn_kernel_upperILb0ELi64ELi4ELi33ELi32ELi16El19rocblas_complex_numIdEPKPKS1_PS1_EviT6_lT7_lT5_lS8_lS9_lS7_lT8_i.uses_vcc, 1
	.set _ZL26rocblas_hemvn_kernel_upperILb0ELi64ELi4ELi33ELi32ELi16El19rocblas_complex_numIdEPKPKS1_PS1_EviT6_lT7_lT5_lS8_lS9_lS7_lT8_i.uses_flat_scratch, 0
	.set _ZL26rocblas_hemvn_kernel_upperILb0ELi64ELi4ELi33ELi32ELi16El19rocblas_complex_numIdEPKPKS1_PS1_EviT6_lT7_lT5_lS8_lS9_lS7_lT8_i.has_dyn_sized_stack, 0
	.set _ZL26rocblas_hemvn_kernel_upperILb0ELi64ELi4ELi33ELi32ELi16El19rocblas_complex_numIdEPKPKS1_PS1_EviT6_lT7_lT5_lS8_lS9_lS7_lT8_i.has_recursion, 0
	.set _ZL26rocblas_hemvn_kernel_upperILb0ELi64ELi4ELi33ELi32ELi16El19rocblas_complex_numIdEPKPKS1_PS1_EviT6_lT7_lT5_lS8_lS9_lS7_lT8_i.has_indirect_call, 0
	.section	.AMDGPU.csdata,"",@progbits
; Kernel info:
; codeLenInByte = 10676
; TotalNumSgprs: 46
; NumVgprs: 256
; ScratchSize: 0
; MemoryBound: 1
; FloatMode: 240
; IeeeMode: 1
; LDSByteSize: 19200 bytes/workgroup (compile time only)
; SGPRBlocks: 12
; VGPRBlocks: 63
; NumSGPRsForWavesPerEU: 102
; NumVGPRsForWavesPerEU: 256
; Occupancy: 1
; WaveLimiterHint : 0
; COMPUTE_PGM_RSRC2:SCRATCH_EN: 0
; COMPUTE_PGM_RSRC2:USER_SGPR: 6
; COMPUTE_PGM_RSRC2:TRAP_HANDLER: 0
; COMPUTE_PGM_RSRC2:TGID_X_EN: 1
; COMPUTE_PGM_RSRC2:TGID_Y_EN: 0
; COMPUTE_PGM_RSRC2:TGID_Z_EN: 1
; COMPUTE_PGM_RSRC2:TIDIG_COMP_CNT: 1
	.section	.text._ZL26rocblas_hemvn_kernel_upperILb0ELi64ELi4ELi33ELi32ELi16Ei19rocblas_complex_numIdEPKPKS1_PS1_EviT6_lT7_lT5_lS8_lS9_lS7_lT8_i,"axG",@progbits,_ZL26rocblas_hemvn_kernel_upperILb0ELi64ELi4ELi33ELi32ELi16Ei19rocblas_complex_numIdEPKPKS1_PS1_EviT6_lT7_lT5_lS8_lS9_lS7_lT8_i,comdat
	.globl	_ZL26rocblas_hemvn_kernel_upperILb0ELi64ELi4ELi33ELi32ELi16Ei19rocblas_complex_numIdEPKPKS1_PS1_EviT6_lT7_lT5_lS8_lS9_lS7_lT8_i ; -- Begin function _ZL26rocblas_hemvn_kernel_upperILb0ELi64ELi4ELi33ELi32ELi16Ei19rocblas_complex_numIdEPKPKS1_PS1_EviT6_lT7_lT5_lS8_lS9_lS7_lT8_i
	.p2align	8
	.type	_ZL26rocblas_hemvn_kernel_upperILb0ELi64ELi4ELi33ELi32ELi16Ei19rocblas_complex_numIdEPKPKS1_PS1_EviT6_lT7_lT5_lS8_lS9_lS7_lT8_i,@function
_ZL26rocblas_hemvn_kernel_upperILb0ELi64ELi4ELi33ELi32ELi16Ei19rocblas_complex_numIdEPKPKS1_PS1_EviT6_lT7_lT5_lS8_lS9_lS7_lT8_i: ; @_ZL26rocblas_hemvn_kernel_upperILb0ELi64ELi4ELi33ELi32ELi16Ei19rocblas_complex_numIdEPKPKS1_PS1_EviT6_lT7_lT5_lS8_lS9_lS7_lT8_i
; %bb.0:
	s_load_dwordx2 s[0:1], s[4:5], 0x94
	s_add_u32 s8, s4, 0x88
	s_addc_u32 s9, s5, 0
	s_waitcnt lgkmcnt(0)
	s_lshr_b32 s2, s0, 16
	s_and_b32 s0, s0, 0xffff
	s_and_b32 s1, s1, 0xffff
	s_mul_i32 s0, s2, s0
	s_mul_i32 s0, s0, s1
	s_cmpk_lg_i32 s0, 0x100
	s_cbranch_scc1 .LBB191_155
; %bb.1:
	s_load_dwordx4 s[0:3], s[4:5], 0x8
	s_mov_b32 s22, s7
	s_waitcnt lgkmcnt(0)
	v_cmp_neq_f64_e64 s[0:1], s[0:1], 0
	v_cmp_neq_f64_e64 s[2:3], s[2:3], 0
	s_or_b64 s[2:3], s[0:1], s[2:3]
	s_mov_b64 s[0:1], -1
	s_and_b64 vcc, exec, s[2:3]
	s_cbranch_vccnz .LBB191_3
; %bb.2:
	s_load_dwordx4 s[0:3], s[4:5], 0x60
	s_waitcnt lgkmcnt(0)
	v_cmp_eq_f64_e64 s[0:1], s[0:1], 1.0
	v_cmp_eq_f64_e64 s[2:3], s[2:3], 0
	s_and_b64 s[0:1], s[0:1], s[2:3]
	s_andn2_b64 vcc, exec, s[0:1]
	s_mov_b64 s[0:1], 0
.LBB191_3:
	s_andn2_b64 vcc, exec, s[0:1]
	s_cbranch_vccnz .LBB191_155
; %bb.4:
	s_load_dwordx4 s[0:3], s[4:5], 0x20
	s_load_dwordx4 s[12:15], s[4:5], 0x40
	s_load_dword s40, s[4:5], 0x50
	s_mov_b32 s23, 0
	s_lshl_b64 s[10:11], s[22:23], 3
	s_waitcnt lgkmcnt(0)
	s_add_u32 s0, s0, s10
	s_addc_u32 s1, s1, s11
	s_add_u32 s12, s12, s10
	s_addc_u32 s13, s13, s11
	s_load_dwordx2 s[16:17], s[12:13], 0x0
	s_load_dword s23, s[4:5], 0x0
	s_load_dword s7, s[8:9], 0x0
	s_load_dwordx2 s[10:11], s[0:1], 0x0
	s_lshl_b64 s[0:1], s[14:15], 4
	s_waitcnt lgkmcnt(0)
	s_add_u32 s0, s16, s0
	s_addc_u32 s1, s17, s1
	s_lshl_b32 s26, s6, 6
	v_add_u32_e32 v167, s26, v0
	v_mul_lo_u32 v2, s40, v167
	s_ashr_i32 s41, s23, 31
	s_lshr_b32 s9, s41, 26
	s_add_i32 s9, s23, s9
	v_ashrrev_i32_e32 v3, 31, v2
	s_andn2_b32 s9, s9, 63
	v_lshlrev_b64 v[2:3], 4, v[2:3]
	s_add_i32 s8, s7, -1
	s_sub_i32 s33, s23, s9
	s_cmp_eq_u32 s6, s8
	v_mov_b32_e32 v4, s1
	v_add_co_u32_e32 v38, vcc, s0, v2
	s_cselect_b32 s18, s33, 0
	v_addc_co_u32_e32 v39, vcc, v4, v3, vcc
	v_cmp_eq_u32_e64 s[0:1], 0, v1
	s_and_saveexec_b64 s[8:9], s[0:1]
	s_cbranch_execz .LBB191_9
; %bb.5:
	s_cmp_lg_u32 s18, 0
	s_cselect_b64 s[12:13], -1, 0
	v_cmp_le_i32_e32 vcc, s18, v0
	v_mov_b32_e32 v2, 0x4700
	s_and_b64 s[12:13], s[12:13], vcc
	v_lshl_add_u32 v2, v0, 4, v2
	s_and_saveexec_b64 s[14:15], s[12:13]
	s_xor_b64 s[12:13], exec, s[14:15]
; %bb.6:
	v_mov_b32_e32 v3, 0
	v_mov_b32_e32 v4, v3
	;; [unrolled: 1-line block ×4, first 2 shown]
	ds_write_b128 v2, v[3:6]
                                        ; implicit-def: $vgpr2
; %bb.7:
	s_andn2_saveexec_b64 s[12:13], s[12:13]
	s_cbranch_execz .LBB191_9
; %bb.8:
	flat_load_dwordx4 v[3:6], v[38:39]
	s_waitcnt vmcnt(0) lgkmcnt(0)
	ds_write2_b64 v2, v[3:4], v[5:6] offset1:1
.LBB191_9:
	s_or_b64 exec, exec, s[8:9]
	s_load_dword s24, s[4:5], 0x30
	s_lshl_b64 s[2:3], s[2:3], 4
	v_lshl_add_u32 v44, v1, 6, v0
	s_add_u32 s8, s10, s2
	v_and_b32_e32 v6, 31, v0
	v_lshrrev_b32_e32 v11, 5, v44
	s_addc_u32 s9, s11, s3
	s_waitcnt lgkmcnt(0)
	v_mad_u64_u32 v[2:3], s[2:3], s24, v11, v[6:7]
	s_ashr_i32 s27, s26, 31
	s_lshl_b64 s[2:3], s[26:27], 4
	v_ashrrev_i32_e32 v3, 31, v2
	v_lshlrev_b64 v[40:41], 4, v[2:3]
	s_add_u32 s2, s8, s2
	s_addc_u32 s3, s9, s3
	v_add_co_u32_e32 v3, vcc, s2, v40
	s_mul_i32 s2, s24, s26
	v_mov_b32_e32 v2, s3
	s_ashr_i32 s3, s2, 31
	s_lshl_b64 s[2:3], s[2:3], 4
	v_addc_co_u32_e32 v4, vcc, v2, v41, vcc
	s_cmp_eq_u32 s18, 0
	v_mov_b32_e32 v5, s3
	v_add_co_u32_e32 v2, vcc, s2, v3
	s_cselect_b64 s[20:21], -1, 0
	s_cmp_lg_u32 s18, 0
	v_addc_co_u32_e32 v3, vcc, v4, v5, vcc
	s_cselect_b64 s[34:35], -1, 0
	s_and_b64 vcc, exec, s[34:35]
	v_cmp_gt_i32_e64 s[2:3], s18, v6
	v_lshlrev_b32_e32 v12, 4, v6
	s_cbranch_vccz .LBB191_27
; %bb.10:
	v_sub_co_u32_e32 v4, vcc, v2, v12
	s_ashr_i32 s19, s18, 31
	v_subbrev_co_u32_e32 v5, vcc, 0, v3, vcc
	s_lshl_b64 s[8:9], s[18:19], 4
	v_mov_b32_e32 v7, s9
	v_add_co_u32_e32 v4, vcc, s8, v4
	v_addc_co_u32_e32 v5, vcc, v5, v7, vcc
	v_add_co_u32_e32 v4, vcc, -16, v4
	v_addc_co_u32_e32 v5, vcc, -1, v5, vcc
	s_movk_i32 s10, 0x210
	v_cndmask_b32_e64 v5, v5, v3, s[2:3]
	v_cndmask_b32_e64 v4, v4, v2, s[2:3]
	v_cmp_le_i32_e32 vcc, s18, v11
	v_mad_u32_u24 v8, v11, s10, v12
	s_and_saveexec_b64 s[10:11], vcc
	s_xor_b64 s[10:11], exec, s[10:11]
; %bb.11:
	v_mov_b32_e32 v13, 0
	v_mov_b32_e32 v14, v13
	;; [unrolled: 1-line block ×4, first 2 shown]
	ds_write_b128 v8, v[13:16]
                                        ; implicit-def: $vgpr8
; %bb.12:
	s_or_saveexec_b64 s[10:11], s[10:11]
	v_mul_u32_u24_e32 v7, 0x210, v11
	s_xor_b64 exec, exec, s[10:11]
	s_cbranch_execz .LBB191_14
; %bb.13:
	flat_load_dwordx4 v[13:16], v[4:5]
	s_waitcnt vmcnt(0) lgkmcnt(0)
	ds_write2_b64 v8, v[13:14], v[15:16] offset1:1
.LBB191_14:
	s_or_b64 exec, exec, s[10:11]
	v_add_u32_e32 v8, 8, v11
	v_cmp_le_i32_e32 vcc, s18, v8
	v_add_u32_e32 v8, v7, v12
	s_and_saveexec_b64 s[10:11], vcc
	s_xor_b64 s[10:11], exec, s[10:11]
; %bb.15:
	v_mov_b32_e32 v13, 0
	v_mov_b32_e32 v14, v13
	;; [unrolled: 1-line block ×4, first 2 shown]
	ds_write_b128 v8, v[13:16] offset:4224
; %bb.16:
	s_andn2_saveexec_b64 s[10:11], s[10:11]
	s_cbranch_execz .LBB191_18
; %bb.17:
	s_lshl_b32 s12, s24, 3
	s_ashr_i32 s13, s12, 31
	s_lshl_b64 s[12:13], s[12:13], 4
	v_mov_b32_e32 v10, s13
	v_add_co_u32_e32 v9, vcc, s12, v4
	v_addc_co_u32_e32 v10, vcc, v5, v10, vcc
	flat_load_dwordx4 v[13:16], v[9:10]
	s_movk_i32 s12, 0x1080
	v_add3_u32 v9, v7, v12, s12
	s_waitcnt vmcnt(0) lgkmcnt(0)
	ds_write2_b64 v9, v[13:14], v[15:16] offset1:1
.LBB191_18:
	s_or_b64 exec, exec, s[10:11]
	v_add_u32_e32 v9, 16, v11
	v_cmp_le_i32_e32 vcc, s18, v9
	s_and_saveexec_b64 s[10:11], vcc
	s_xor_b64 s[10:11], exec, s[10:11]
; %bb.19:
	v_mov_b32_e32 v13, 0
	v_mov_b32_e32 v14, v13
	;; [unrolled: 1-line block ×4, first 2 shown]
	ds_write_b128 v8, v[13:16] offset:8448
; %bb.20:
	s_andn2_saveexec_b64 s[10:11], s[10:11]
	s_cbranch_execz .LBB191_22
; %bb.21:
	s_lshl_b32 s12, s24, 4
	s_ashr_i32 s13, s12, 31
	s_lshl_b64 s[12:13], s[12:13], 4
	v_mov_b32_e32 v10, s13
	v_add_co_u32_e32 v9, vcc, s12, v4
	v_addc_co_u32_e32 v10, vcc, v5, v10, vcc
	flat_load_dwordx4 v[13:16], v[9:10]
	s_movk_i32 s12, 0x2100
	v_add3_u32 v9, v7, v12, s12
	s_waitcnt vmcnt(0) lgkmcnt(0)
	ds_write2_b64 v9, v[13:14], v[15:16] offset1:1
.LBB191_22:
	s_or_b64 exec, exec, s[10:11]
	v_add_u32_e32 v9, 24, v11
	v_cmp_le_i32_e32 vcc, s18, v9
	s_and_saveexec_b64 s[10:11], vcc
	s_xor_b64 s[10:11], exec, s[10:11]
; %bb.23:
	v_mov_b32_e32 v13, 0
	v_mov_b32_e32 v14, v13
	;; [unrolled: 1-line block ×4, first 2 shown]
	ds_write_b128 v8, v[13:16] offset:12672
                                        ; implicit-def: $vgpr7
; %bb.24:
	s_andn2_saveexec_b64 s[10:11], s[10:11]
	s_cbranch_execz .LBB191_26
; %bb.25:
	s_mul_i32 s12, s24, 24
	s_ashr_i32 s13, s12, 31
	s_lshl_b64 s[12:13], s[12:13], 4
	v_mov_b32_e32 v9, s13
	v_add_co_u32_e32 v8, vcc, s12, v4
	v_addc_co_u32_e32 v9, vcc, v5, v9, vcc
	flat_load_dwordx4 v[13:16], v[8:9]
	s_movk_i32 s12, 0x3180
	v_add3_u32 v7, v7, v12, s12
	s_waitcnt vmcnt(0) lgkmcnt(0)
	ds_write2_b64 v7, v[13:14], v[15:16] offset1:1
.LBB191_26:
	s_or_b64 exec, exec, s[10:11]
	v_add_co_u32_e32 v4, vcc, v4, v12
	v_addc_co_u32_e32 v5, vcc, 0, v5, vcc
	v_mov_b32_e32 v7, s9
	v_subrev_co_u32_e32 v4, vcc, s8, v4
	v_subb_co_u32_e32 v5, vcc, v5, v7, vcc
	v_add_co_u32_e32 v4, vcc, 16, v4
	v_addc_co_u32_e32 v5, vcc, 0, v5, vcc
	v_cndmask_b32_e64 v8, v5, v3, s[2:3]
	v_cndmask_b32_e64 v7, v4, v2, s[2:3]
	s_branch .LBB191_29
.LBB191_27:
                                        ; implicit-def: $vgpr7_vgpr8
	s_cbranch_execz .LBB191_29
; %bb.28:
	flat_load_dwordx4 v[7:10], v[2:3]
	s_lshl_b32 s2, s24, 3
	s_ashr_i32 s3, s2, 31
	v_mul_u32_u24_e32 v4, 0x210, v11
	s_lshl_b64 s[2:3], s[2:3], 4
	v_lshl_add_u32 v13, v6, 4, v4
	v_mov_b32_e32 v5, s3
	v_add_co_u32_e32 v4, vcc, s2, v2
	v_addc_co_u32_e32 v5, vcc, v3, v5, vcc
	s_ashr_i32 s25, s24, 31
	s_lshl_b64 s[2:3], s[24:25], 7
	v_add_u32_e32 v14, 0x1080, v13
	v_mov_b32_e32 v15, s3
	s_waitcnt vmcnt(0) lgkmcnt(0)
	ds_write2_b64 v13, v[7:8], v[9:10] offset1:1
	flat_load_dwordx4 v[7:10], v[4:5]
	v_add_co_u32_e32 v4, vcc, s2, v4
	v_addc_co_u32_e32 v5, vcc, v5, v15, vcc
	s_waitcnt vmcnt(0) lgkmcnt(0)
	ds_write2_b64 v14, v[7:8], v[9:10] offset1:1
	flat_load_dwordx4 v[7:10], v[4:5]
	v_add_u32_e32 v14, 0x2100, v13
	v_add_co_u32_e32 v4, vcc, s2, v4
	v_addc_co_u32_e32 v5, vcc, v5, v15, vcc
	s_waitcnt vmcnt(0) lgkmcnt(0)
	ds_write2_b64 v14, v[7:8], v[9:10] offset1:1
	flat_load_dwordx4 v[7:10], v[4:5]
	v_add_u32_e32 v4, 0x3180, v13
	s_waitcnt vmcnt(0) lgkmcnt(0)
	ds_write2_b64 v4, v[7:8], v[9:10] offset1:1
	v_mov_b32_e32 v8, v3
	v_mov_b32_e32 v7, v2
.LBB191_29:
	v_lshlrev_b32_e32 v16, 2, v11
	v_lshl_or_b32 v2, v6, 9, v12
	v_cmp_gt_u32_e64 s[16:17], v16, v6
	v_lshl_add_u32 v4, v16, 4, v2
	s_waitcnt lgkmcnt(0)
	s_barrier
	s_and_saveexec_b64 s[2:3], s[16:17]
	s_cbranch_execz .LBB191_31
; %bb.30:
	s_movk_i32 s8, 0x840
	v_mad_u32_u24 v2, v11, s8, v12
	ds_read_b128 v[17:20], v2
	s_waitcnt lgkmcnt(0)
	ds_write_b128 v4, v[17:20]
.LBB191_31:
	s_or_b64 exec, exec, s[2:3]
	v_or_b32_e32 v2, 1, v16
	v_cmp_ge_u32_e64 s[8:9], v16, v6
	s_and_saveexec_b64 s[2:3], s[8:9]
	s_cbranch_execz .LBB191_33
; %bb.32:
	s_movk_i32 s10, 0x210
	v_mad_u32_u24 v3, v2, s10, v12
	ds_read_b128 v[17:20], v3
	s_waitcnt lgkmcnt(0)
	ds_write_b128 v4, v[17:20] offset:16
.LBB191_33:
	s_or_b64 exec, exec, s[2:3]
	v_or_b32_e32 v3, 2, v16
	v_cmp_gt_u32_e64 s[10:11], v3, v6
	s_and_saveexec_b64 s[2:3], s[10:11]
	s_cbranch_execz .LBB191_35
; %bb.34:
	s_movk_i32 s12, 0x210
	v_mad_u32_u24 v3, v3, s12, v12
	ds_read_b128 v[17:20], v3
	s_waitcnt lgkmcnt(0)
	ds_write_b128 v4, v[17:20] offset:32
.LBB191_35:
	s_or_b64 exec, exec, s[2:3]
	v_or_b32_e32 v5, 3, v16
	v_cmp_gt_u32_e64 s[12:13], v5, v6
	v_cmp_le_u32_e32 vcc, v5, v6
                                        ; implicit-def: $vgpr3
	s_and_saveexec_b64 s[2:3], vcc
	s_xor_b64 s[2:3], exec, s[2:3]
; %bb.36:
	v_mul_u32_u24_e32 v3, 0x210, v5
                                        ; implicit-def: $vgpr5
                                        ; implicit-def: $vgpr4
; %bb.37:
	s_andn2_saveexec_b64 s[2:3], s[2:3]
	s_cbranch_execz .LBB191_39
; %bb.38:
	s_movk_i32 s14, 0x210
	v_mad_u32_u24 v3, v5, s14, v12
	ds_read_b128 v[17:20], v3
	v_mul_u32_u24_e32 v3, 0x210, v5
	s_waitcnt lgkmcnt(0)
	ds_write_b128 v4, v[17:20] offset:48
.LBB191_39:
	s_or_b64 exec, exec, s[2:3]
	s_movk_i32 s2, 0x840
	v_mad_u32_u24 v13, v11, s2, v12
	s_waitcnt lgkmcnt(0)
	s_barrier
	v_lshlrev_b32_e32 v17, 4, v16
	ds_read_b128 v[18:21], v13
	ds_read_b128 v[22:25], v17 offset:18176
	ds_read_b128 v[26:29], v17 offset:18192
	s_movk_i32 s2, 0x210
	v_mad_u32_u24 v14, v2, s2, v12
	ds_read_b128 v[30:33], v14
	s_waitcnt lgkmcnt(2)
	v_mul_f64 v[4:5], v[24:25], v[20:21]
	v_mul_f64 v[9:10], v[22:23], v[20:21]
	v_add_u32_e32 v15, v12, v3
	v_cmp_gt_u32_e64 s[2:3], 32, v44
	v_fma_f64 v[36:37], v[22:23], v[18:19], -v[4:5]
	ds_read_b128 v[20:23], v14 offset:528
	s_waitcnt lgkmcnt(1)
	v_mul_f64 v[42:43], v[28:29], v[32:33]
	v_mul_f64 v[49:50], v[26:27], v[32:33]
	v_fma_f64 v[9:10], v[24:25], v[18:19], v[9:10]
	ds_read_b128 v[2:5], v17 offset:18208
	ds_read_b128 v[32:35], v17 offset:18224
	ds_read_b128 v[45:48], v15
	s_waitcnt lgkmcnt(0)
	v_add_f64 v[18:19], v[36:37], 0
	s_barrier
	v_mul_f64 v[24:25], v[4:5], v[22:23]
	v_fma_f64 v[26:27], v[26:27], v[30:31], -v[42:43]
	v_fma_f64 v[28:29], v[28:29], v[30:31], v[49:50]
	v_mul_f64 v[22:23], v[2:3], v[22:23]
	v_add_f64 v[9:10], v[9:10], 0
	v_mul_f64 v[30:31], v[34:35], v[47:48]
	v_fma_f64 v[2:3], v[2:3], v[20:21], -v[24:25]
	v_add_f64 v[18:19], v[18:19], v[26:27]
	v_mul_f64 v[24:25], v[32:33], v[47:48]
	v_fma_f64 v[4:5], v[4:5], v[20:21], v[22:23]
	v_add_f64 v[9:10], v[9:10], v[28:29]
	v_fma_f64 v[20:21], v[32:33], v[45:46], -v[30:31]
	v_add_f64 v[18:19], v[18:19], v[2:3]
	v_fma_f64 v[22:23], v[34:35], v[45:46], v[24:25]
	v_mov_b32_e32 v2, 0
	v_add_f64 v[4:5], v[9:10], v[4:5]
	v_mul_u32_u24_e32 v9, 33, v6
	v_lshlrev_b32_e32 v45, 4, v9
	v_mov_b32_e32 v3, 0
	v_lshl_add_u32 v46, v11, 4, v45
	v_add_f64 v[18:19], v[18:19], v[20:21]
	v_add_f64 v[20:21], v[4:5], v[22:23]
	v_mov_b32_e32 v4, 0
	v_mov_b32_e32 v5, 0
	ds_write_b128 v46, v[18:21]
	s_waitcnt lgkmcnt(0)
	s_barrier
	s_and_saveexec_b64 s[14:15], s[2:3]
	s_cbranch_execz .LBB191_41
; %bb.40:
	ds_read_b128 v[2:5], v45
	ds_read_b128 v[18:21], v45 offset:16
	s_waitcnt lgkmcnt(0)
	v_add_f64 v[9:10], v[18:19], v[2:3]
	v_add_f64 v[22:23], v[20:21], v[4:5]
	ds_read_b128 v[2:5], v45 offset:32
	ds_read_b128 v[18:21], v45 offset:48
	s_waitcnt lgkmcnt(1)
	v_add_f64 v[2:3], v[9:10], v[2:3]
	v_add_f64 v[4:5], v[22:23], v[4:5]
	s_waitcnt lgkmcnt(0)
	v_add_f64 v[9:10], v[2:3], v[18:19]
	v_add_f64 v[22:23], v[4:5], v[20:21]
	ds_read_b128 v[2:5], v45 offset:64
	ds_read_b128 v[18:21], v45 offset:80
	s_waitcnt lgkmcnt(1)
	v_add_f64 v[2:3], v[9:10], v[2:3]
	v_add_f64 v[4:5], v[22:23], v[4:5]
	;; [unrolled: 8-line block ×3, first 2 shown]
	s_waitcnt lgkmcnt(0)
	v_add_f64 v[2:3], v[2:3], v[18:19]
	v_add_f64 v[4:5], v[4:5], v[20:21]
.LBB191_41:
	s_or_b64 exec, exec, s[14:15]
	s_lshl_b32 s30, s24, 5
	s_ashr_i32 s31, s30, 31
	s_lshl_b64 s[28:29], s[30:31], 4
	v_mov_b32_e32 v9, s29
	v_add_co_u32_e32 v18, vcc, s28, v7
	v_addc_co_u32_e32 v19, vcc, v8, v9, vcc
	v_add_co_u32_e32 v7, vcc, 0x200, v18
	v_addc_co_u32_e32 v8, vcc, 0, v19, vcc
	s_and_b64 vcc, exec, s[34:35]
	s_barrier
	s_cbranch_vccz .LBB191_59
; %bb.42:
	v_sub_co_u32_e32 v10, vcc, v18, v12
	s_ashr_i32 s19, s18, 31
	v_subbrev_co_u32_e32 v20, vcc, 0, v19, vcc
	s_lshl_b64 s[36:37], s[18:19], 4
	v_mov_b32_e32 v21, s37
	v_add_co_u32_e32 v10, vcc, s36, v10
	v_addc_co_u32_e32 v20, vcc, v20, v21, vcc
	v_or_b32_e32 v9, 32, v6
	v_add_co_u32_e32 v21, vcc, -16, v10
	v_addc_co_u32_e32 v10, vcc, -1, v20, vcc
	v_cmp_gt_i32_e64 s[14:15], s18, v9
	s_sub_i32 s19, s18, 32
	s_movk_i32 s25, 0x210
	v_cndmask_b32_e64 v10, v10, v8, s[14:15]
	v_cndmask_b32_e64 v9, v21, v7, s[14:15]
	v_cmp_le_i32_e32 vcc, s19, v11
	v_mad_u32_u24 v21, v11, s25, v12
	s_and_saveexec_b64 s[38:39], vcc
	s_xor_b64 s[38:39], exec, s[38:39]
; %bb.43:
	v_mov_b32_e32 v22, 0
	v_mov_b32_e32 v23, v22
	;; [unrolled: 1-line block ×4, first 2 shown]
	ds_write_b128 v21, v[22:25]
                                        ; implicit-def: $vgpr21
; %bb.44:
	s_or_saveexec_b64 s[38:39], s[38:39]
	v_mul_u32_u24_e32 v20, 0x210, v11
	s_xor_b64 exec, exec, s[38:39]
	s_cbranch_execz .LBB191_46
; %bb.45:
	flat_load_dwordx4 v[22:25], v[9:10]
	s_waitcnt vmcnt(0) lgkmcnt(0)
	ds_write2_b64 v21, v[22:23], v[24:25] offset1:1
.LBB191_46:
	s_or_b64 exec, exec, s[38:39]
	v_add_u32_e32 v21, 8, v11
	v_cmp_le_i32_e32 vcc, s19, v21
	v_add_u32_e32 v21, v20, v12
	s_and_saveexec_b64 s[38:39], vcc
	s_xor_b64 s[38:39], exec, s[38:39]
; %bb.47:
	v_mov_b32_e32 v22, 0
	v_mov_b32_e32 v23, v22
	;; [unrolled: 1-line block ×4, first 2 shown]
	ds_write_b128 v21, v[22:25] offset:4224
; %bb.48:
	s_andn2_saveexec_b64 s[38:39], s[38:39]
	s_cbranch_execz .LBB191_50
; %bb.49:
	s_lshl_b32 s42, s24, 3
	s_ashr_i32 s43, s42, 31
	s_lshl_b64 s[42:43], s[42:43], 4
	v_mov_b32_e32 v23, s43
	v_add_co_u32_e32 v22, vcc, s42, v9
	v_addc_co_u32_e32 v23, vcc, v10, v23, vcc
	flat_load_dwordx4 v[22:25], v[22:23]
	s_movk_i32 s25, 0x1080
	v_add3_u32 v26, v20, v12, s25
	s_waitcnt vmcnt(0) lgkmcnt(0)
	ds_write2_b64 v26, v[22:23], v[24:25] offset1:1
.LBB191_50:
	s_or_b64 exec, exec, s[38:39]
	v_add_u32_e32 v22, 16, v11
	v_cmp_le_i32_e32 vcc, s19, v22
	s_and_saveexec_b64 s[38:39], vcc
	s_xor_b64 s[38:39], exec, s[38:39]
; %bb.51:
	v_mov_b32_e32 v22, 0
	v_mov_b32_e32 v23, v22
	;; [unrolled: 1-line block ×4, first 2 shown]
	ds_write_b128 v21, v[22:25] offset:8448
; %bb.52:
	s_andn2_saveexec_b64 s[38:39], s[38:39]
	s_cbranch_execz .LBB191_54
; %bb.53:
	s_lshl_b32 s42, s24, 4
	s_ashr_i32 s43, s42, 31
	s_lshl_b64 s[42:43], s[42:43], 4
	v_mov_b32_e32 v23, s43
	v_add_co_u32_e32 v22, vcc, s42, v9
	v_addc_co_u32_e32 v23, vcc, v10, v23, vcc
	flat_load_dwordx4 v[22:25], v[22:23]
	s_movk_i32 s25, 0x2100
	v_add3_u32 v26, v20, v12, s25
	s_waitcnt vmcnt(0) lgkmcnt(0)
	ds_write2_b64 v26, v[22:23], v[24:25] offset1:1
.LBB191_54:
	s_or_b64 exec, exec, s[38:39]
	v_add_u32_e32 v22, 24, v11
	v_cmp_le_i32_e32 vcc, s19, v22
	s_and_saveexec_b64 s[38:39], vcc
	s_xor_b64 s[38:39], exec, s[38:39]
; %bb.55:
	v_mov_b32_e32 v22, 0
	v_mov_b32_e32 v23, v22
	;; [unrolled: 1-line block ×4, first 2 shown]
	ds_write_b128 v21, v[22:25] offset:12672
                                        ; implicit-def: $vgpr20
; %bb.56:
	s_andn2_saveexec_b64 s[38:39], s[38:39]
	s_cbranch_execz .LBB191_58
; %bb.57:
	s_mul_i32 s42, s24, 24
	s_ashr_i32 s43, s42, 31
	s_lshl_b64 s[42:43], s[42:43], 4
	v_mov_b32_e32 v22, s43
	v_add_co_u32_e32 v21, vcc, s42, v9
	v_addc_co_u32_e32 v22, vcc, v10, v22, vcc
	flat_load_dwordx4 v[21:24], v[21:22]
	s_movk_i32 s19, 0x3180
	v_add3_u32 v20, v20, v12, s19
	s_waitcnt vmcnt(0) lgkmcnt(0)
	ds_write2_b64 v20, v[21:22], v[23:24] offset1:1
.LBB191_58:
	s_or_b64 exec, exec, s[38:39]
	v_add_co_u32_e32 v9, vcc, v9, v12
	v_addc_co_u32_e32 v10, vcc, 0, v10, vcc
	v_mov_b32_e32 v20, s37
	v_subrev_co_u32_e32 v9, vcc, s36, v9
	v_subb_co_u32_e32 v10, vcc, v10, v20, vcc
	v_add_co_u32_e32 v9, vcc, 0x210, v9
	v_addc_co_u32_e32 v10, vcc, 0, v10, vcc
	v_cndmask_b32_e64 v10, v10, v8, s[14:15]
	v_cndmask_b32_e64 v9, v9, v7, s[14:15]
	s_branch .LBB191_61
.LBB191_59:
                                        ; implicit-def: $vgpr9_vgpr10
	s_cbranch_execz .LBB191_61
; %bb.60:
	flat_load_dwordx4 v[20:23], v[7:8]
	s_movk_i32 s15, 0x210
	s_lshl_b32 s14, s24, 3
	v_mad_u32_u24 v24, v11, s15, v12
	s_ashr_i32 s15, s14, 31
	s_lshl_b64 s[14:15], s[14:15], 4
	v_mov_b32_e32 v10, s15
	v_add_co_u32_e32 v9, vcc, s14, v18
	v_addc_co_u32_e32 v10, vcc, v19, v10, vcc
	s_ashr_i32 s25, s24, 31
	s_lshl_b64 s[14:15], s[24:25], 7
	s_waitcnt vmcnt(0) lgkmcnt(0)
	ds_write2_b64 v24, v[20:21], v[22:23] offset1:1
	flat_load_dwordx4 v[18:21], v[9:10] offset:512
	v_add_u32_e32 v22, 0x1080, v24
	v_mov_b32_e32 v23, s15
	v_add_co_u32_e32 v9, vcc, s14, v9
	v_addc_co_u32_e32 v10, vcc, v10, v23, vcc
	s_waitcnt vmcnt(0) lgkmcnt(0)
	ds_write2_b64 v22, v[18:19], v[20:21] offset1:1
	flat_load_dwordx4 v[18:21], v[9:10] offset:512
	v_add_u32_e32 v22, 0x2100, v24
	v_add_co_u32_e32 v9, vcc, s14, v9
	v_addc_co_u32_e32 v10, vcc, v10, v23, vcc
	s_waitcnt vmcnt(0) lgkmcnt(0)
	ds_write2_b64 v22, v[18:19], v[20:21] offset1:1
	flat_load_dwordx4 v[18:21], v[9:10] offset:512
	v_add_u32_e32 v9, 0x3180, v24
	s_waitcnt vmcnt(0) lgkmcnt(0)
	ds_write2_b64 v9, v[18:19], v[20:21] offset1:1
	v_mov_b32_e32 v10, v8
	v_mov_b32_e32 v9, v7
.LBB191_61:
	v_lshl_add_u32 v7, v16, 4, v45
	s_waitcnt lgkmcnt(0)
	s_barrier
	s_and_saveexec_b64 s[14:15], s[16:17]
	s_cbranch_execz .LBB191_65
; %bb.62:
	ds_read_b128 v[18:21], v13
	s_waitcnt lgkmcnt(0)
	ds_write_b128 v7, v[18:21]
	s_or_b64 exec, exec, s[14:15]
	s_and_saveexec_b64 s[14:15], s[8:9]
	s_cbranch_execnz .LBB191_66
.LBB191_63:
	s_or_b64 exec, exec, s[14:15]
	v_add_u32_e32 v16, 0x210, v14
	s_and_saveexec_b64 s[8:9], s[10:11]
	s_cbranch_execz .LBB191_67
.LBB191_64:
	ds_read_b128 v[18:21], v16
	s_waitcnt lgkmcnt(0)
	ds_write_b128 v7, v[18:21] offset:32
	s_or_b64 exec, exec, s[8:9]
	v_add_u32_e32 v17, 0x4700, v17
	s_and_saveexec_b64 s[8:9], s[12:13]
	s_cbranch_execnz .LBB191_68
	s_branch .LBB191_69
.LBB191_65:
	s_or_b64 exec, exec, s[14:15]
	s_and_saveexec_b64 s[14:15], s[8:9]
	s_cbranch_execz .LBB191_63
.LBB191_66:
	ds_read_b128 v[18:21], v14
	s_waitcnt lgkmcnt(0)
	ds_write_b128 v7, v[18:21] offset:16
	s_or_b64 exec, exec, s[14:15]
	v_add_u32_e32 v16, 0x210, v14
	s_and_saveexec_b64 s[8:9], s[10:11]
	s_cbranch_execnz .LBB191_64
.LBB191_67:
	s_or_b64 exec, exec, s[8:9]
	v_add_u32_e32 v17, 0x4700, v17
	s_and_saveexec_b64 s[8:9], s[12:13]
	s_cbranch_execz .LBB191_69
.LBB191_68:
	ds_read_b128 v[18:21], v15
	s_waitcnt lgkmcnt(0)
	ds_write_b128 v7, v[18:21] offset:48
.LBB191_69:
	s_or_b64 exec, exec, s[8:9]
	s_waitcnt lgkmcnt(0)
	s_barrier
	ds_read_b128 v[18:21], v17 offset:512
	ds_read_b128 v[22:25], v13
	v_cmp_eq_u32_e64 s[8:9], 1, v11
	s_waitcnt lgkmcnt(0)
	v_mul_f64 v[7:8], v[20:21], v[24:25]
	v_mul_f64 v[36:37], v[18:19], v[24:25]
	ds_read_b128 v[24:27], v14
	ds_read_b128 v[28:31], v17 offset:528
	ds_read_b128 v[32:35], v17 offset:544
	ds_read_b128 v[47:50], v16
	s_waitcnt lgkmcnt(2)
	v_mul_f64 v[42:43], v[30:31], v[26:27]
	v_mul_f64 v[26:27], v[28:29], v[26:27]
	v_fma_f64 v[7:8], v[18:19], v[22:23], -v[7:8]
	v_fma_f64 v[22:23], v[20:21], v[22:23], v[36:37]
	s_waitcnt lgkmcnt(0)
	v_mul_f64 v[36:37], v[34:35], v[49:50]
	v_mul_f64 v[49:50], v[32:33], v[49:50]
	ds_read_b128 v[18:21], v17 offset:560
	ds_read_b128 v[51:54], v15
	v_fma_f64 v[28:29], v[28:29], v[24:25], -v[42:43]
	v_fma_f64 v[24:25], v[30:31], v[24:25], v[26:27]
	s_waitcnt lgkmcnt(0)
	v_add_f64 v[7:8], v[7:8], 0
	v_add_f64 v[22:23], v[22:23], 0
	v_mul_f64 v[26:27], v[20:21], v[53:54]
	v_mul_f64 v[30:31], v[18:19], v[53:54]
	v_fma_f64 v[32:33], v[32:33], v[47:48], -v[36:37]
	v_fma_f64 v[34:35], v[34:35], v[47:48], v[49:50]
	s_barrier
	v_add_f64 v[7:8], v[7:8], v[28:29]
	v_add_f64 v[22:23], v[22:23], v[24:25]
	v_fma_f64 v[18:19], v[18:19], v[51:52], -v[26:27]
	v_fma_f64 v[20:21], v[20:21], v[51:52], v[30:31]
	v_add_f64 v[7:8], v[7:8], v[32:33]
	v_add_f64 v[22:23], v[22:23], v[34:35]
	;; [unrolled: 1-line block ×4, first 2 shown]
	ds_write_b128 v46, v[18:21]
	s_waitcnt lgkmcnt(0)
	s_barrier
	s_and_saveexec_b64 s[10:11], s[8:9]
	s_cbranch_execz .LBB191_71
; %bb.70:
	ds_read_b128 v[2:5], v45
	ds_read_b128 v[18:21], v45 offset:16
	s_waitcnt lgkmcnt(0)
	v_add_f64 v[7:8], v[18:19], v[2:3]
	v_add_f64 v[22:23], v[20:21], v[4:5]
	ds_read_b128 v[2:5], v45 offset:32
	ds_read_b128 v[18:21], v45 offset:48
	s_waitcnt lgkmcnt(1)
	v_add_f64 v[2:3], v[7:8], v[2:3]
	v_add_f64 v[4:5], v[22:23], v[4:5]
	s_waitcnt lgkmcnt(0)
	v_add_f64 v[7:8], v[2:3], v[18:19]
	v_add_f64 v[22:23], v[4:5], v[20:21]
	ds_read_b128 v[2:5], v45 offset:64
	ds_read_b128 v[18:21], v45 offset:80
	s_waitcnt lgkmcnt(1)
	v_add_f64 v[2:3], v[7:8], v[2:3]
	v_add_f64 v[4:5], v[22:23], v[4:5]
	;; [unrolled: 8-line block ×3, first 2 shown]
	s_waitcnt lgkmcnt(0)
	v_add_f64 v[2:3], v[2:3], v[18:19]
	v_add_f64 v[4:5], v[4:5], v[20:21]
.LBB191_71:
	s_or_b64 exec, exec, s[10:11]
	v_add_co_u32_e32 v7, vcc, 0xfffffe00, v9
	v_addc_co_u32_e32 v8, vcc, -1, v10, vcc
	s_and_b64 vcc, exec, s[34:35]
	s_barrier
	s_cbranch_vccz .LBB191_89
; %bb.72:
	v_sub_co_u32_e32 v9, vcc, v7, v12
	s_ashr_i32 s19, s18, 31
	v_subbrev_co_u32_e32 v10, vcc, 0, v8, vcc
	s_lshl_b64 s[12:13], s[18:19], 4
	v_mov_b32_e32 v18, s13
	v_add_co_u32_e32 v9, vcc, s12, v9
	v_addc_co_u32_e32 v10, vcc, v10, v18, vcc
	v_add_co_u32_e32 v9, vcc, -16, v9
	v_addc_co_u32_e32 v10, vcc, -1, v10, vcc
	v_cmp_gt_i32_e32 vcc, s18, v6
	s_sub_i32 s16, s18, 32
	s_movk_i32 s14, 0x210
	v_cndmask_b32_e32 v10, v10, v8, vcc
	v_cndmask_b32_e32 v9, v9, v7, vcc
	v_cmp_le_i32_e64 s[10:11], s16, v11
	v_mad_u32_u24 v6, v11, s14, v12
	s_and_saveexec_b64 s[14:15], s[10:11]
	s_xor_b64 s[10:11], exec, s[14:15]
; %bb.73:
	v_mov_b32_e32 v18, 0
	v_mov_b32_e32 v19, v18
	;; [unrolled: 1-line block ×4, first 2 shown]
	ds_write_b128 v6, v[18:21]
                                        ; implicit-def: $vgpr6
; %bb.74:
	s_or_saveexec_b64 s[10:11], s[10:11]
	v_mul_u32_u24_e32 v20, 0x210, v11
	s_xor_b64 exec, exec, s[10:11]
	s_cbranch_execz .LBB191_76
; %bb.75:
	flat_load_dwordx4 v[21:24], v[9:10]
	s_waitcnt vmcnt(0) lgkmcnt(0)
	ds_write2_b64 v6, v[21:22], v[23:24] offset1:1
.LBB191_76:
	s_or_b64 exec, exec, s[10:11]
	v_add_u32_e32 v6, 8, v11
	v_cmp_le_i32_e64 s[10:11], s16, v6
	v_add_u32_e32 v21, v20, v12
	s_and_saveexec_b64 s[14:15], s[10:11]
	s_xor_b64 s[10:11], exec, s[14:15]
; %bb.77:
	v_mov_b32_e32 v22, 0
	v_mov_b32_e32 v23, v22
	;; [unrolled: 1-line block ×4, first 2 shown]
	ds_write_b128 v21, v[22:25] offset:4224
; %bb.78:
	s_andn2_saveexec_b64 s[14:15], s[10:11]
	s_cbranch_execz .LBB191_80
; %bb.79:
	s_lshl_b32 s10, s24, 3
	s_ashr_i32 s11, s10, 31
	s_lshl_b64 s[10:11], s[10:11], 4
	v_mov_b32_e32 v19, s11
	v_add_co_u32_e64 v18, s[10:11], s10, v9
	v_addc_co_u32_e64 v19, s[10:11], v10, v19, s[10:11]
	flat_load_dwordx4 v[22:25], v[18:19]
	s_movk_i32 s10, 0x1080
	v_add3_u32 v18, v20, v12, s10
	s_waitcnt vmcnt(0) lgkmcnt(0)
	ds_write2_b64 v18, v[22:23], v[24:25] offset1:1
.LBB191_80:
	s_or_b64 exec, exec, s[14:15]
	v_add_u32_e32 v19, 16, v11
	v_cmp_le_i32_e64 s[10:11], s16, v19
	s_and_saveexec_b64 s[14:15], s[10:11]
	s_xor_b64 s[10:11], exec, s[14:15]
; %bb.81:
	v_mov_b32_e32 v22, 0
	v_mov_b32_e32 v23, v22
	;; [unrolled: 1-line block ×4, first 2 shown]
	ds_write_b128 v21, v[22:25] offset:8448
; %bb.82:
	s_andn2_saveexec_b64 s[14:15], s[10:11]
	s_cbranch_execz .LBB191_84
; %bb.83:
	s_lshl_b32 s10, s24, 4
	s_ashr_i32 s11, s10, 31
	s_lshl_b64 s[10:11], s[10:11], 4
	v_mov_b32_e32 v18, s11
	v_add_co_u32_e64 v22, s[10:11], s10, v9
	v_addc_co_u32_e64 v23, s[10:11], v10, v18, s[10:11]
	flat_load_dwordx4 v[22:25], v[22:23]
	s_movk_i32 s10, 0x2100
	v_add3_u32 v18, v20, v12, s10
	s_waitcnt vmcnt(0) lgkmcnt(0)
	ds_write2_b64 v18, v[22:23], v[24:25] offset1:1
.LBB191_84:
	s_or_b64 exec, exec, s[14:15]
	v_add_u32_e32 v18, 24, v11
	v_cmp_le_i32_e64 s[10:11], s16, v18
	s_and_saveexec_b64 s[14:15], s[10:11]
	s_xor_b64 s[10:11], exec, s[14:15]
; %bb.85:
	v_mov_b32_e32 v22, 0
	v_mov_b32_e32 v23, v22
	;; [unrolled: 1-line block ×4, first 2 shown]
	ds_write_b128 v21, v[22:25] offset:12672
                                        ; implicit-def: $vgpr20
; %bb.86:
	s_andn2_saveexec_b64 s[14:15], s[10:11]
	s_cbranch_execz .LBB191_88
; %bb.87:
	s_mul_i32 s10, s24, 24
	s_ashr_i32 s11, s10, 31
	s_lshl_b64 s[10:11], s[10:11], 4
	v_mov_b32_e32 v22, s11
	v_add_co_u32_e64 v21, s[10:11], s10, v9
	v_addc_co_u32_e64 v22, s[10:11], v10, v22, s[10:11]
	flat_load_dwordx4 v[21:24], v[21:22]
	s_movk_i32 s10, 0x3180
	v_add3_u32 v20, v20, v12, s10
	s_waitcnt vmcnt(0) lgkmcnt(0)
	ds_write2_b64 v20, v[21:22], v[23:24] offset1:1
.LBB191_88:
	s_or_b64 exec, exec, s[14:15]
	v_add_co_u32_e64 v9, s[10:11], v9, v12
	v_addc_co_u32_e64 v10, s[10:11], 0, v10, s[10:11]
	v_mov_b32_e32 v20, s13
	v_subrev_co_u32_e64 v9, s[10:11], s12, v9
	v_subb_co_u32_e64 v10, s[10:11], v10, v20, s[10:11]
	v_add_co_u32_e64 v9, s[10:11], 16, v9
	v_addc_co_u32_e64 v10, s[10:11], 0, v10, s[10:11]
	v_cndmask_b32_e32 v43, v10, v8, vcc
	v_cndmask_b32_e32 v42, v9, v7, vcc
	s_branch .LBB191_91
.LBB191_89:
                                        ; implicit-def: $vgpr42_vgpr43
                                        ; implicit-def: $vgpr6
                                        ; implicit-def: $vgpr19
                                        ; implicit-def: $vgpr18
	s_cbranch_execz .LBB191_91
; %bb.90:
	flat_load_dwordx4 v[18:21], v[7:8]
	s_movk_i32 s11, 0x210
	s_lshl_b32 s10, s24, 3
	v_mad_u32_u24 v12, v11, s11, v12
	s_ashr_i32 s11, s10, 31
	s_lshl_b64 s[10:11], s[10:11], 4
	v_mov_b32_e32 v6, s11
	v_add_co_u32_e32 v9, vcc, s10, v7
	v_addc_co_u32_e32 v10, vcc, v8, v6, vcc
	s_ashr_i32 s25, s24, 31
	s_lshl_b64 s[10:11], s[24:25], 7
	v_add_u32_e32 v6, 0x1080, v12
	v_mov_b32_e32 v22, s11
	v_mov_b32_e32 v43, v8
	;; [unrolled: 1-line block ×3, first 2 shown]
	s_waitcnt vmcnt(0) lgkmcnt(0)
	ds_write2_b64 v12, v[18:19], v[20:21] offset1:1
	flat_load_dwordx4 v[18:21], v[9:10]
	v_add_co_u32_e32 v9, vcc, s10, v9
	v_addc_co_u32_e32 v10, vcc, v10, v22, vcc
	s_waitcnt vmcnt(0) lgkmcnt(0)
	ds_write2_b64 v6, v[18:19], v[20:21] offset1:1
	flat_load_dwordx4 v[18:21], v[9:10]
	v_add_u32_e32 v6, 0x2100, v12
	v_add_co_u32_e32 v9, vcc, s10, v9
	v_addc_co_u32_e32 v10, vcc, v10, v22, vcc
	s_waitcnt vmcnt(0) lgkmcnt(0)
	ds_write2_b64 v6, v[18:19], v[20:21] offset1:1
	flat_load_dwordx4 v[20:23], v[9:10]
	v_add_u32_e32 v6, 8, v11
	v_add_u32_e32 v19, 16, v11
	;; [unrolled: 1-line block ×4, first 2 shown]
	s_waitcnt vmcnt(0) lgkmcnt(0)
	ds_write2_b64 v9, v[20:21], v[22:23] offset1:1
.LBB191_91:
	v_lshlrev_b32_e32 v11, 4, v11
	v_add_u32_e32 v7, v45, v11
	s_waitcnt lgkmcnt(0)
	s_barrier
	ds_read_b128 v[7:10], v7
	ds_read_b128 v[20:23], v11 offset:18176
	v_lshlrev_b32_e32 v6, 4, v6
	v_add_u32_e32 v11, v45, v6
	ds_read_b128 v[24:27], v11
	ds_read_b128 v[28:31], v6 offset:18176
	v_lshlrev_b32_e32 v6, 4, v19
	s_waitcnt lgkmcnt(2)
	v_mul_f64 v[11:12], v[9:10], v[22:23]
	v_mul_f64 v[22:23], v[7:8], v[22:23]
	v_add_u32_e32 v19, v45, v6
	s_waitcnt lgkmcnt(0)
	v_mul_f64 v[36:37], v[26:27], v[30:31]
	ds_read_b128 v[32:35], v19
	ds_read_b128 v[47:50], v6 offset:18176
	v_fma_f64 v[6:7], v[7:8], v[20:21], -v[11:12]
	v_mul_f64 v[11:12], v[24:25], v[30:31]
	v_fma_f64 v[22:23], v[9:10], v[20:21], v[22:23]
	v_lshlrev_b32_e32 v10, 4, v18
	v_fma_f64 v[24:25], v[24:25], v[28:29], -v[36:37]
	s_waitcnt lgkmcnt(0)
	v_mul_f64 v[30:31], v[34:35], v[49:50]
	v_mul_f64 v[49:50], v[32:33], v[49:50]
	v_add_f64 v[36:37], v[6:7], 0
	v_add_u32_e32 v6, v45, v10
	ds_read_b128 v[6:9], v6
	ds_read_b128 v[18:21], v10 offset:18176
	v_fma_f64 v[10:11], v[26:27], v[28:29], v[11:12]
	v_add_f64 v[22:23], v[22:23], 0
	v_fma_f64 v[26:27], v[32:33], v[47:48], -v[30:31]
	v_fma_f64 v[30:31], v[34:35], v[47:48], v[49:50]
	s_waitcnt lgkmcnt(0)
	v_mul_f64 v[28:29], v[8:9], v[20:21]
	v_add_f64 v[24:25], v[36:37], v[24:25]
	v_mul_f64 v[20:21], v[6:7], v[20:21]
	v_add_f64 v[10:11], v[22:23], v[10:11]
	v_fma_f64 v[28:29], v[6:7], v[18:19], -v[28:29]
	v_fma_f64 v[18:19], v[8:9], v[18:19], v[20:21]
	v_add_f64 v[20:21], v[24:25], v[26:27]
	v_add_f64 v[10:11], v[10:11], v[30:31]
	ds_read_b128 v[22:25], v17 offset:528
	ds_read_b128 v[6:9], v17 offset:544
	;; [unrolled: 1-line block ×3, first 2 shown]
	ds_read_b128 v[34:37], v13
	v_add_f64 v[47:48], v[20:21], v[28:29]
	v_add_f64 v[49:50], v[10:11], v[18:19]
	ds_read_b128 v[10:13], v17 offset:560
	ds_read_b128 v[26:29], v14
	ds_read_b128 v[18:21], v16
	;; [unrolled: 1-line block ×3, first 2 shown]
	s_waitcnt lgkmcnt(0)
	s_barrier
	ds_write_b128 v46, v[47:50]
	s_waitcnt lgkmcnt(0)
	s_barrier
	s_and_saveexec_b64 s[10:11], s[8:9]
	s_cbranch_execz .LBB191_93
; %bb.92:
	ds_read_b128 v[47:50], v45
	ds_read_b128 v[51:54], v45 offset:16
	s_waitcnt lgkmcnt(1)
	v_add_f64 v[2:3], v[2:3], v[47:48]
	v_add_f64 v[4:5], v[4:5], v[49:50]
	s_waitcnt lgkmcnt(0)
	v_add_f64 v[51:52], v[2:3], v[51:52]
	v_add_f64 v[53:54], v[4:5], v[53:54]
	ds_read_b128 v[2:5], v45 offset:32
	ds_read_b128 v[47:50], v45 offset:48
	s_waitcnt lgkmcnt(1)
	v_add_f64 v[2:3], v[51:52], v[2:3]
	v_add_f64 v[4:5], v[53:54], v[4:5]
	s_waitcnt lgkmcnt(0)
	v_add_f64 v[51:52], v[2:3], v[47:48]
	v_add_f64 v[53:54], v[4:5], v[49:50]
	ds_read_b128 v[2:5], v45 offset:64
	;; [unrolled: 8-line block ×3, first 2 shown]
	ds_read_b128 v[47:50], v45 offset:112
	s_waitcnt lgkmcnt(1)
	v_add_f64 v[2:3], v[51:52], v[2:3]
	v_add_f64 v[4:5], v[53:54], v[4:5]
	s_waitcnt lgkmcnt(0)
	v_add_f64 v[2:3], v[2:3], v[47:48]
	v_add_f64 v[4:5], v[4:5], v[49:50]
.LBB191_93:
	s_or_b64 exec, exec, s[10:11]
	v_mul_f64 v[47:48], v[32:33], v[36:37]
	v_mul_f64 v[36:37], v[30:31], v[36:37]
	;; [unrolled: 1-line block ×4, first 2 shown]
	s_barrier
	v_fma_f64 v[30:31], v[30:31], v[34:35], -v[47:48]
	v_fma_f64 v[32:33], v[32:33], v[34:35], v[36:37]
	v_mul_f64 v[34:35], v[8:9], v[20:21]
	v_mul_f64 v[20:21], v[6:7], v[20:21]
	v_fma_f64 v[22:23], v[22:23], v[26:27], -v[49:50]
	v_fma_f64 v[24:25], v[24:25], v[26:27], v[28:29]
	v_add_f64 v[26:27], v[30:31], 0
	v_add_f64 v[28:29], v[32:33], 0
	v_mul_f64 v[30:31], v[12:13], v[16:17]
	v_mul_f64 v[16:17], v[10:11], v[16:17]
	v_fma_f64 v[6:7], v[6:7], v[18:19], -v[34:35]
	v_fma_f64 v[8:9], v[8:9], v[18:19], v[20:21]
	v_add_f64 v[18:19], v[26:27], v[22:23]
	v_add_f64 v[20:21], v[28:29], v[24:25]
	v_fma_f64 v[10:11], v[10:11], v[14:15], -v[30:31]
	v_fma_f64 v[12:13], v[12:13], v[14:15], v[16:17]
	v_add_f64 v[6:7], v[18:19], v[6:7]
	v_add_f64 v[8:9], v[20:21], v[8:9]
	;; [unrolled: 1-line block ×4, first 2 shown]
	ds_write_b128 v46, v[6:9]
	s_waitcnt lgkmcnt(0)
	s_barrier
	s_and_saveexec_b64 s[8:9], s[2:3]
	s_cbranch_execz .LBB191_95
; %bb.94:
	ds_read_b128 v[6:9], v45
	ds_read_b128 v[10:13], v45 offset:16
	s_waitcnt lgkmcnt(1)
	v_add_f64 v[2:3], v[2:3], v[6:7]
	v_add_f64 v[4:5], v[4:5], v[8:9]
	s_waitcnt lgkmcnt(0)
	v_add_f64 v[10:11], v[2:3], v[10:11]
	v_add_f64 v[12:13], v[4:5], v[12:13]
	ds_read_b128 v[2:5], v45 offset:32
	ds_read_b128 v[6:9], v45 offset:48
	s_waitcnt lgkmcnt(1)
	v_add_f64 v[2:3], v[10:11], v[2:3]
	v_add_f64 v[4:5], v[12:13], v[4:5]
	s_waitcnt lgkmcnt(0)
	v_add_f64 v[10:11], v[2:3], v[6:7]
	v_add_f64 v[12:13], v[4:5], v[8:9]
	ds_read_b128 v[2:5], v45 offset:64
	;; [unrolled: 8-line block ×3, first 2 shown]
	ds_read_b128 v[6:9], v45 offset:112
	s_waitcnt lgkmcnt(1)
	v_add_f64 v[2:3], v[10:11], v[2:3]
	v_add_f64 v[4:5], v[12:13], v[4:5]
	s_waitcnt lgkmcnt(0)
	v_add_f64 v[2:3], v[2:3], v[6:7]
	v_add_f64 v[4:5], v[4:5], v[8:9]
.LBB191_95:
	s_or_b64 exec, exec, s[8:9]
	s_load_dwordx2 s[2:3], s[4:5], 0x78
	s_mul_hi_u32 s4, s23, s22
	s_mul_i32 s41, s41, s22
	s_add_i32 s4, s4, s41
	s_mul_i32 s8, s23, s22
	s_mul_i32 s4, s4, s7
	s_mul_hi_u32 s5, s8, s7
	s_add_i32 s5, s5, s4
	s_mul_i32 s4, s8, s7
	s_lshl_b64 s[4:5], s[4:5], 4
	s_waitcnt lgkmcnt(0)
	s_add_u32 s4, s2, s4
	s_addc_u32 s5, s3, s5
	s_mul_hi_i32 s3, s23, s6
	s_mul_i32 s2, s23, s6
	s_lshl_b64 s[2:3], s[2:3], 4
	s_add_u32 s19, s4, s2
	s_addc_u32 s27, s5, s3
	s_add_i32 s8, s6, 1
	s_cmp_ge_u32 s8, s7
	v_lshlrev_b32_e32 v170, 4, v0
	s_barrier
	s_cbranch_scc1 .LBB191_153
; %bb.96:
	s_mul_i32 s2, s40, s26
	s_ashr_i32 s3, s2, 31
	s_lshl_b64 s[2:3], s[2:3], 4
	v_lshlrev_b32_e32 v171, 2, v1
	v_mov_b32_e32 v8, s3
	v_subrev_co_u32_e32 v172, vcc, s2, v38
	v_mad_u64_u32 v[6:7], s[4:5], s24, v171, v[0:1]
	v_subb_co_u32_e32 v173, vcc, v39, v8, vcc
	v_lshrrev_b32_e32 v8, 4, v44
	v_mov_b32_e32 v10, 0x4300
	v_lshl_add_u32 v175, v1, 6, v10
	v_lshlrev_b32_e32 v10, 6, v8
	v_mul_i32_i24_e32 v12, 0xffffffd0, v8
	v_and_b32_e32 v8, 48, v0
	v_and_b32_e32 v9, 15, v0
	s_movk_i32 s4, 0x430
	v_lshlrev_b32_e32 v8, 4, v8
	s_lshl_b32 s34, s40, 6
	s_lshl_b32 s14, s24, 4
	v_mad_u32_u24 v179, v9, s4, v8
	v_or_b32_e32 v8, 0xf0, v170
	s_ashr_i32 s25, s24, 31
	s_lshl_b32 s16, s24, 1
	s_mul_i32 s36, s24, 3
	s_mul_i32 s40, s40, s8
	v_ashrrev_i32_e32 v7, 31, v6
	s_add_i32 s26, s7, -2
	v_mad_u32_u24 v178, v9, s4, v10
	s_ashr_i32 s15, s14, 31
	v_mad_u32_u24 v180, v9, s4, v8
	s_ashr_i32 s17, s16, 31
	s_ashr_i32 s37, s36, 31
	s_lshl_b64 s[4:5], s[24:25], 4
	s_lshl_b32 s10, s40, 6
	s_lshl_b64 s[22:23], s[24:25], 5
	v_sub_co_u32_e32 v196, vcc, 0, v40
	s_add_u32 s11, s22, s28
	v_lshlrev_b64 v[8:9], 4, v[6:7]
	v_subb_co_u32_e32 v197, vcc, 0, v41, vcc
	s_addc_u32 s35, s23, s29
	v_mov_b32_e32 v10, s35
	v_add_co_u32_e32 v11, vcc, s11, v8
	v_addc_co_u32_e32 v10, vcc, v10, v9, vcc
	v_add_co_u32_e32 v198, vcc, v42, v11
	v_addc_co_u32_e32 v199, vcc, v43, v10, vcc
	v_mov_b32_e32 v10, s31
	v_add_co_u32_e32 v6, vcc, s30, v6
	v_addc_co_u32_e32 v7, vcc, v10, v7, vcc
	v_lshlrev_b64 v[6:7], 4, v[6:7]
	s_lshl_b64 s[12:13], s[14:15], 6
	v_mad_i64_i32 v[10:11], s[8:9], s14, 48, v[6:7]
	s_lshl_b64 s[8:9], s[36:37], 4
	v_mov_b32_e32 v13, s9
	v_add_co_u32_e32 v14, vcc, s8, v10
	v_addc_co_u32_e32 v13, vcc, v11, v13, vcc
	v_add_co_u32_e32 v200, vcc, v42, v14
	s_add_u32 s30, s4, s28
	v_addc_co_u32_e32 v201, vcc, v43, v13, vcc
	s_addc_u32 s31, s5, s29
	v_mov_b32_e32 v13, s31
	v_add_co_u32_e32 v14, vcc, s30, v8
	v_addc_co_u32_e32 v13, vcc, v13, v9, vcc
	v_add_co_u32_e32 v202, vcc, v42, v14
	v_addc_co_u32_e32 v203, vcc, v43, v13, vcc
	s_lshl_b64 s[16:17], s[16:17], 4
	v_mov_b32_e32 v13, s17
	v_add_co_u32_e32 v14, vcc, s16, v10
	v_addc_co_u32_e32 v13, vcc, v11, v13, vcc
	v_add_co_u32_e32 v204, vcc, v42, v14
	v_addc_co_u32_e32 v205, vcc, v43, v13, vcc
	v_mov_b32_e32 v13, s29
	v_add_co_u32_e32 v14, vcc, s28, v8
	v_addc_co_u32_e32 v13, vcc, v13, v9, vcc
	v_add_co_u32_e32 v206, vcc, v42, v14
	v_addc_co_u32_e32 v207, vcc, v43, v13, vcc
	s_mul_i32 s38, s24, 0x300
	v_add_co_u32_e32 v208, vcc, v42, v10
	s_add_u32 s24, s28, s16
	v_addc_co_u32_e32 v209, vcc, v43, v11, vcc
	s_addc_u32 s25, s29, s17
	v_mov_b32_e32 v13, s25
	v_add_co_u32_e32 v14, vcc, s24, v8
	v_addc_co_u32_e32 v13, vcc, v13, v9, vcc
	v_add_co_u32_e32 v210, vcc, v42, v14
	v_addc_co_u32_e32 v211, vcc, v43, v13, vcc
	v_mov_b32_e32 v13, s5
	v_add_co_u32_e32 v10, vcc, s4, v10
	v_addc_co_u32_e32 v11, vcc, v11, v13, vcc
	v_add_co_u32_e32 v212, vcc, v42, v10
	s_add_u32 s24, s28, s8
	v_addc_co_u32_e32 v213, vcc, v43, v11, vcc
	s_addc_u32 s25, s29, s9
	v_mov_b32_e32 v10, s25
	v_add_co_u32_e32 v11, vcc, s24, v8
	v_addc_co_u32_e32 v10, vcc, v10, v9, vcc
	s_lshl_b64 s[24:25], s[14:15], 4
	v_add_co_u32_e32 v214, vcc, v42, v11
	s_add_u32 s36, s11, s24
	v_addc_co_u32_e32 v215, vcc, v43, v10, vcc
	s_addc_u32 s37, s35, s25
	v_mov_b32_e32 v10, s37
	v_add_co_u32_e32 v11, vcc, s36, v8
	v_addc_co_u32_e32 v10, vcc, v10, v9, vcc
	s_mul_hi_i32 s39, s14, 48
	v_add_co_u32_e32 v216, vcc, v42, v11
	s_add_u32 s22, s38, s22
	v_addc_co_u32_e32 v217, vcc, v43, v10, vcc
	s_addc_u32 s23, s39, s23
	s_lshl_b64 s[14:15], s[14:15], 5
	v_mov_b32_e32 v10, s23
	v_add_co_u32_e32 v6, vcc, s22, v6
	s_add_u32 s22, s14, s28
	v_addc_co_u32_e32 v7, vcc, v10, v7, vcc
	s_addc_u32 s23, s15, s29
	v_add_co_u32_e32 v218, vcc, v42, v6
	s_add_u32 s36, s22, s8
	v_addc_co_u32_e32 v219, vcc, v43, v7, vcc
	s_addc_u32 s37, s23, s9
	v_mov_b32_e32 v6, s37
	v_add_co_u32_e32 v7, vcc, s36, v8
	v_addc_co_u32_e32 v6, vcc, v6, v9, vcc
	v_add_co_u32_e32 v220, vcc, v42, v7
	s_add_u32 s30, s30, s24
	v_addc_co_u32_e32 v221, vcc, v43, v6, vcc
	s_addc_u32 s31, s31, s25
	v_mov_b32_e32 v6, s31
	v_add_co_u32_e32 v7, vcc, s30, v8
	v_addc_co_u32_e32 v6, vcc, v6, v9, vcc
	;; [unrolled: 7-line block ×4, first 2 shown]
	v_add_co_u32_e32 v226, vcc, v42, v7
	v_addc_co_u32_e32 v227, vcc, v43, v6, vcc
	v_mov_b32_e32 v6, s23
	v_add_co_u32_e32 v7, vcc, s22, v8
	v_addc_co_u32_e32 v6, vcc, v6, v9, vcc
	v_add_co_u32_e32 v228, vcc, v42, v7
	s_add_u32 s16, s24, s16
	v_addc_co_u32_e32 v229, vcc, v43, v6, vcc
	s_addc_u32 s17, s25, s17
	v_mov_b32_e32 v6, s17
	v_add_co_u32_e32 v7, vcc, s16, v8
	v_addc_co_u32_e32 v6, vcc, v6, v9, vcc
	v_add_co_u32_e32 v230, vcc, v42, v7
	s_add_u32 s4, s22, s4
	v_addc_co_u32_e32 v231, vcc, v43, v6, vcc
	s_addc_u32 s5, s23, s5
	;; [unrolled: 7-line block ×4, first 2 shown]
	v_mov_b32_e32 v6, s5
	v_add_co_u32_e32 v7, vcc, s4, v8
	v_addc_co_u32_e32 v6, vcc, v6, v9, vcc
	s_movk_i32 s2, 0x10c0
	v_add_co_u32_e32 v236, vcc, v42, v7
	v_add_u32_e32 v174, 0x4300, v170
	v_add_u32_e32 v176, 0x4700, v170
	v_mad_u32_u24 v177, v1, s2, v170
	v_cmp_gt_u32_e64 s[2:3], 64, v44
	v_or_b32_e32 v181, 1, v171
	v_or_b32_e32 v182, 2, v171
	;; [unrolled: 1-line block ×3, first 2 shown]
	v_add_u32_e32 v184, 16, v171
	v_add_u32_e32 v185, 17, v171
	;; [unrolled: 1-line block ×13, first 2 shown]
	v_addc_co_u32_e32 v237, vcc, v43, v6, vcc
	v_add_u32_e32 v238, v178, v12
	v_mov_b32_e32 v6, 0
	s_cmp_eq_u32 s26, s6
	s_cselect_b32 s22, s33, 0
	s_and_saveexec_b64 s[4:5], s[0:1]
	s_cbranch_execz .LBB191_102
	s_branch .LBB191_98
.LBB191_97:                             ;   in Loop: Header=BB191_102 Depth=1
	s_mov_b32 s6, s4
	s_cmp_eq_u32 s26, s6
	s_cselect_b32 s22, s33, 0
	s_and_saveexec_b64 s[4:5], s[0:1]
	s_cbranch_execz .LBB191_102
.LBB191_98:
	s_cmp_lg_u32 s22, 0
	s_cselect_b64 s[8:9], -1, 0
	v_cmp_le_i32_e32 vcc, s22, v0
	s_and_b64 s[8:9], s[8:9], vcc
	s_and_saveexec_b64 s[14:15], s[8:9]
	s_xor_b64 s[8:9], exec, s[14:15]
; %bb.99:
	v_mov_b32_e32 v7, v6
	v_mov_b32_e32 v8, v6
	;; [unrolled: 1-line block ×3, first 2 shown]
	ds_write_b128 v174, v[6:9]
; %bb.100:
	s_andn2_saveexec_b64 s[8:9], s[8:9]
	s_cbranch_execz .LBB191_102
; %bb.101:
	s_ashr_i32 s11, s10, 31
	s_lshl_b64 s[8:9], s[10:11], 4
	v_mov_b32_e32 v8, s9
	v_add_co_u32_e32 v7, vcc, s8, v172
	v_addc_co_u32_e32 v8, vcc, v173, v8, vcc
	flat_load_dwordx4 v[7:10], v[7:8]
	s_waitcnt vmcnt(0) lgkmcnt(0)
	ds_write2_b64 v174, v[7:8], v[9:10] offset1:1
.LBB191_102:                            ; =>This Inner Loop Header: Depth=1
	s_or_b64 exec, exec, s[4:5]
	s_cmp_eq_u32 s22, 0
	v_add_co_u32_e32 v19, vcc, v206, v196
	s_cselect_b64 s[14:15], -1, 0
	s_cmp_lg_u32 s22, 0
	v_addc_co_u32_e32 v20, vcc, v207, v197, vcc
	s_cselect_b64 s[8:9], -1, 0
	s_and_b64 vcc, exec, s[8:9]
	s_waitcnt lgkmcnt(0)
	s_barrier
	s_cbranch_vccz .LBB191_110
; %bb.103:                              ;   in Loop: Header=BB191_102 Depth=1
	v_mov_b32_e32 v11, 0
	v_mov_b32_e32 v7, 0
	;; [unrolled: 1-line block ×6, first 2 shown]
	v_cmp_gt_i32_e32 vcc, s22, v171
	s_and_saveexec_b64 s[4:5], vcc
	s_cbranch_execz .LBB191_105
; %bb.104:                              ;   in Loop: Header=BB191_102 Depth=1
	flat_load_dwordx4 v[7:10], v[19:20]
.LBB191_105:                            ;   in Loop: Header=BB191_102 Depth=1
	s_or_b64 exec, exec, s[4:5]
	v_mov_b32_e32 v13, 0
	v_mov_b32_e32 v14, 0
	v_cmp_gt_i32_e32 vcc, s22, v181
	s_and_saveexec_b64 s[4:5], vcc
	s_cbranch_execz .LBB191_107
; %bb.106:                              ;   in Loop: Header=BB191_102 Depth=1
	v_add_co_u32_e32 v11, vcc, v202, v196
	v_addc_co_u32_e32 v12, vcc, v203, v197, vcc
	flat_load_dwordx4 v[11:14], v[11:12]
.LBB191_107:                            ;   in Loop: Header=BB191_102 Depth=1
	s_or_b64 exec, exec, s[4:5]
	v_mov_b32_e32 v15, 0
	v_mov_b32_e32 v17, 0
	;; [unrolled: 1-line block ×4, first 2 shown]
	v_cmp_gt_i32_e32 vcc, s22, v182
	s_and_saveexec_b64 s[4:5], vcc
	s_cbranch_execz .LBB191_109
; %bb.108:                              ;   in Loop: Header=BB191_102 Depth=1
	v_add_co_u32_e32 v15, vcc, v210, v196
	v_addc_co_u32_e32 v16, vcc, v211, v197, vcc
	flat_load_dwordx4 v[15:18], v[15:16]
.LBB191_109:                            ;   in Loop: Header=BB191_102 Depth=1
	s_or_b64 exec, exec, s[4:5]
	v_cmp_gt_i32_e64 s[4:5], s22, v183
	s_branch .LBB191_112
.LBB191_110:                            ;   in Loop: Header=BB191_102 Depth=1
	s_mov_b64 s[4:5], 0
                                        ; implicit-def: $vgpr17_vgpr18
                                        ; implicit-def: $vgpr13_vgpr14
                                        ; implicit-def: $vgpr9_vgpr10
	s_cbranch_execz .LBB191_112
; %bb.111:                              ;   in Loop: Header=BB191_102 Depth=1
	s_waitcnt vmcnt(0) lgkmcnt(0)
	v_add_co_u32_e32 v11, vcc, v202, v196
	v_addc_co_u32_e32 v12, vcc, v203, v197, vcc
	v_add_co_u32_e32 v15, vcc, v198, v196
	v_addc_co_u32_e32 v16, vcc, v199, v197, vcc
	flat_load_dwordx4 v[7:10], v[19:20]
	s_or_b64 s[4:5], s[4:5], exec
	flat_load_dwordx4 v[11:14], v[11:12]
	s_nop 0
	flat_load_dwordx4 v[15:18], v[15:16]
.LBB191_112:                            ;   in Loop: Header=BB191_102 Depth=1
	v_mov_b32_e32 v19, 0
	v_mov_b32_e32 v21, 0
	;; [unrolled: 1-line block ×4, first 2 shown]
	s_and_saveexec_b64 s[16:17], s[4:5]
	s_cbranch_execz .LBB191_114
; %bb.113:                              ;   in Loop: Header=BB191_102 Depth=1
	v_add_co_u32_e32 v19, vcc, v214, v196
	v_addc_co_u32_e32 v20, vcc, v215, v197, vcc
	flat_load_dwordx4 v[19:22], v[19:20]
.LBB191_114:                            ;   in Loop: Header=BB191_102 Depth=1
	s_or_b64 exec, exec, s[16:17]
	ds_read_b128 v[23:26], v176
	s_andn2_b64 vcc, exec, s[8:9]
	s_waitcnt vmcnt(0) lgkmcnt(0)
	v_mul_f64 v[27:28], v[9:10], v[25:26]
	v_mul_f64 v[29:30], v[7:8], v[25:26]
	;; [unrolled: 1-line block ×8, first 2 shown]
	v_fma_f64 v[27:28], v[7:8], v[23:24], -v[27:28]
	v_fma_f64 v[29:30], v[9:10], v[23:24], v[29:30]
	v_fma_f64 v[31:32], v[11:12], v[23:24], -v[31:32]
	v_fma_f64 v[33:34], v[13:14], v[23:24], v[33:34]
	;; [unrolled: 2-line block ×4, first 2 shown]
	ds_read_b128 v[47:50], v175
	ds_read_b128 v[43:46], v175 offset:16
	ds_read_b128 v[35:38], v175 offset:32
	;; [unrolled: 1-line block ×3, first 2 shown]
	ds_write_b128 v177, v[27:30]
	ds_write_b128 v177, v[31:34] offset:1072
	ds_write_b128 v177, v[39:42] offset:2144
	;; [unrolled: 1-line block ×3, first 2 shown]
	s_waitcnt lgkmcnt(0)
	s_barrier
	ds_read_b128 v[131:134], v178
	ds_read_b128 v[127:130], v178 offset:16
	ds_read_b128 v[123:126], v178 offset:32
	;; [unrolled: 1-line block ×3, first 2 shown]
	v_cndmask_b32_e64 v27, 0, 1, s[8:9]
	v_add_co_u32_e64 v51, s[8:9], v226, v196
	v_cmp_ne_u32_e64 s[4:5], 1, v27
	v_addc_co_u32_e64 v52, s[8:9], v227, v197, s[8:9]
	s_waitcnt lgkmcnt(0)
	s_barrier
	s_cbranch_vccnz .LBB191_122
; %bb.115:                              ;   in Loop: Header=BB191_102 Depth=1
	v_mov_b32_e32 v27, 0
	v_mov_b32_e32 v31, 0
	;; [unrolled: 1-line block ×6, first 2 shown]
	v_cmp_gt_i32_e32 vcc, s22, v184
	s_and_saveexec_b64 s[8:9], vcc
	s_cbranch_execz .LBB191_117
; %bb.116:                              ;   in Loop: Header=BB191_102 Depth=1
	flat_load_dwordx4 v[31:34], v[51:52]
.LBB191_117:                            ;   in Loop: Header=BB191_102 Depth=1
	s_or_b64 exec, exec, s[8:9]
	v_mov_b32_e32 v29, 0
	v_mov_b32_e32 v30, 0
	v_cmp_gt_i32_e32 vcc, s22, v185
	s_and_saveexec_b64 s[8:9], vcc
	s_cbranch_execz .LBB191_119
; %bb.118:                              ;   in Loop: Header=BB191_102 Depth=1
	v_add_co_u32_e32 v27, vcc, v222, v196
	v_addc_co_u32_e32 v28, vcc, v223, v197, vcc
	flat_load_dwordx4 v[27:30], v[27:28]
.LBB191_119:                            ;   in Loop: Header=BB191_102 Depth=1
	s_or_b64 exec, exec, s[8:9]
	v_mov_b32_e32 v39, 0
	v_mov_b32_e32 v41, 0
	;; [unrolled: 1-line block ×4, first 2 shown]
	v_cmp_gt_i32_e32 vcc, s22, v186
	s_and_saveexec_b64 s[8:9], vcc
	s_cbranch_execz .LBB191_121
; %bb.120:                              ;   in Loop: Header=BB191_102 Depth=1
	v_add_co_u32_e32 v39, vcc, v230, v196
	v_addc_co_u32_e32 v40, vcc, v231, v197, vcc
	flat_load_dwordx4 v[39:42], v[39:40]
.LBB191_121:                            ;   in Loop: Header=BB191_102 Depth=1
	s_or_b64 exec, exec, s[8:9]
	v_cmp_gt_i32_e64 s[8:9], s22, v187
	s_branch .LBB191_124
.LBB191_122:                            ;   in Loop: Header=BB191_102 Depth=1
	s_mov_b64 s[8:9], 0
                                        ; implicit-def: $vgpr41_vgpr42
                                        ; implicit-def: $vgpr29_vgpr30
                                        ; implicit-def: $vgpr33_vgpr34
	s_cbranch_execz .LBB191_124
; %bb.123:                              ;   in Loop: Header=BB191_102 Depth=1
	s_waitcnt vmcnt(0) lgkmcnt(0)
	v_add_co_u32_e32 v27, vcc, v222, v196
	v_addc_co_u32_e32 v28, vcc, v223, v197, vcc
	v_add_co_u32_e32 v39, vcc, v216, v196
	v_addc_co_u32_e32 v40, vcc, v217, v197, vcc
	flat_load_dwordx4 v[31:34], v[51:52]
	s_or_b64 s[8:9], s[8:9], exec
	flat_load_dwordx4 v[27:30], v[27:28]
	s_nop 0
	flat_load_dwordx4 v[39:42], v[39:40]
.LBB191_124:                            ;   in Loop: Header=BB191_102 Depth=1
	v_mov_b32_e32 v51, 0
	v_mov_b32_e32 v53, 0
	;; [unrolled: 1-line block ×4, first 2 shown]
	s_and_saveexec_b64 s[16:17], s[8:9]
	s_cbranch_execz .LBB191_126
; %bb.125:                              ;   in Loop: Header=BB191_102 Depth=1
	v_add_co_u32_e32 v51, vcc, v234, v196
	v_addc_co_u32_e32 v52, vcc, v235, v197, vcc
	flat_load_dwordx4 v[51:54], v[51:52]
.LBB191_126:                            ;   in Loop: Header=BB191_102 Depth=1
	s_or_b64 exec, exec, s[16:17]
	ds_read_b128 v[55:58], v176
	s_and_b64 vcc, exec, s[4:5]
	s_waitcnt vmcnt(0) lgkmcnt(0)
	v_mul_f64 v[59:60], v[33:34], v[57:58]
	v_mul_f64 v[61:62], v[31:32], v[57:58]
	;; [unrolled: 1-line block ×8, first 2 shown]
	v_fma_f64 v[63:64], v[31:32], v[55:56], -v[59:60]
	v_fma_f64 v[65:66], v[33:34], v[55:56], v[61:62]
	v_fma_f64 v[67:68], v[27:28], v[55:56], -v[67:68]
	v_fma_f64 v[69:70], v[29:30], v[55:56], v[69:70]
	;; [unrolled: 2-line block ×4, first 2 shown]
	ds_read_b128 v[75:78], v175 offset:256
	ds_read_b128 v[71:74], v175 offset:272
	;; [unrolled: 1-line block ×4, first 2 shown]
	ds_write_b128 v177, v[63:66]
	ds_write_b128 v177, v[67:70] offset:1072
	ds_write_b128 v177, v[79:82] offset:2144
	;; [unrolled: 1-line block ×3, first 2 shown]
	s_waitcnt lgkmcnt(0)
	s_barrier
	ds_read_b128 v[147:150], v178
	ds_read_b128 v[143:146], v178 offset:16
	ds_read_b128 v[139:142], v178 offset:32
	;; [unrolled: 1-line block ×3, first 2 shown]
	v_add_co_u32_e64 v83, s[8:9], v228, v196
	v_addc_co_u32_e64 v84, s[8:9], v229, v197, s[8:9]
	s_waitcnt lgkmcnt(0)
	s_barrier
	s_cbranch_vccnz .LBB191_134
; %bb.127:                              ;   in Loop: Header=BB191_102 Depth=1
	v_mov_b32_e32 v67, 0
	v_mov_b32_e32 v63, 0
	;; [unrolled: 1-line block ×6, first 2 shown]
	v_cmp_gt_i32_e32 vcc, s22, v188
	s_and_saveexec_b64 s[8:9], vcc
	s_cbranch_execz .LBB191_129
; %bb.128:                              ;   in Loop: Header=BB191_102 Depth=1
	flat_load_dwordx4 v[63:66], v[83:84]
.LBB191_129:                            ;   in Loop: Header=BB191_102 Depth=1
	s_or_b64 exec, exec, s[8:9]
	v_mov_b32_e32 v69, 0
	v_mov_b32_e32 v70, 0
	v_cmp_gt_i32_e32 vcc, s22, v189
	s_and_saveexec_b64 s[8:9], vcc
	s_cbranch_execz .LBB191_131
; %bb.130:                              ;   in Loop: Header=BB191_102 Depth=1
	v_add_co_u32_e32 v67, vcc, v232, v196
	v_addc_co_u32_e32 v68, vcc, v233, v197, vcc
	flat_load_dwordx4 v[67:70], v[67:68]
.LBB191_131:                            ;   in Loop: Header=BB191_102 Depth=1
	s_or_b64 exec, exec, s[8:9]
	v_mov_b32_e32 v79, 0
	v_mov_b32_e32 v81, 0
	;; [unrolled: 1-line block ×4, first 2 shown]
	v_cmp_gt_i32_e32 vcc, s22, v190
	s_and_saveexec_b64 s[8:9], vcc
	s_cbranch_execz .LBB191_133
; %bb.132:                              ;   in Loop: Header=BB191_102 Depth=1
	v_add_co_u32_e32 v79, vcc, v224, v196
	v_addc_co_u32_e32 v80, vcc, v225, v197, vcc
	flat_load_dwordx4 v[79:82], v[79:80]
.LBB191_133:                            ;   in Loop: Header=BB191_102 Depth=1
	s_or_b64 exec, exec, s[8:9]
	v_cmp_gt_i32_e64 s[8:9], s22, v191
	s_branch .LBB191_136
.LBB191_134:                            ;   in Loop: Header=BB191_102 Depth=1
	s_mov_b64 s[8:9], 0
                                        ; implicit-def: $vgpr81_vgpr82
                                        ; implicit-def: $vgpr69_vgpr70
                                        ; implicit-def: $vgpr65_vgpr66
	s_cbranch_execz .LBB191_136
; %bb.135:                              ;   in Loop: Header=BB191_102 Depth=1
	s_waitcnt vmcnt(0) lgkmcnt(0)
	v_add_co_u32_e32 v67, vcc, v232, v196
	v_addc_co_u32_e32 v68, vcc, v233, v197, vcc
	v_add_co_u32_e32 v79, vcc, v236, v196
	v_addc_co_u32_e32 v80, vcc, v237, v197, vcc
	flat_load_dwordx4 v[63:66], v[83:84]
	s_or_b64 s[8:9], s[8:9], exec
	flat_load_dwordx4 v[67:70], v[67:68]
	s_nop 0
	flat_load_dwordx4 v[79:82], v[79:80]
.LBB191_136:                            ;   in Loop: Header=BB191_102 Depth=1
	v_mov_b32_e32 v83, 0
	v_mov_b32_e32 v85, 0
	;; [unrolled: 1-line block ×4, first 2 shown]
	s_and_saveexec_b64 s[16:17], s[8:9]
	s_cbranch_execz .LBB191_138
; %bb.137:                              ;   in Loop: Header=BB191_102 Depth=1
	v_add_co_u32_e32 v83, vcc, v220, v196
	v_addc_co_u32_e32 v84, vcc, v221, v197, vcc
	flat_load_dwordx4 v[83:86], v[83:84]
.LBB191_138:                            ;   in Loop: Header=BB191_102 Depth=1
	s_or_b64 exec, exec, s[16:17]
	ds_read_b128 v[87:90], v176
	s_and_b64 vcc, exec, s[4:5]
	s_waitcnt vmcnt(0) lgkmcnt(0)
	v_mul_f64 v[91:92], v[65:66], v[89:90]
	v_mul_f64 v[93:94], v[63:64], v[89:90]
	;; [unrolled: 1-line block ×8, first 2 shown]
	v_fma_f64 v[103:104], v[63:64], v[87:88], -v[91:92]
	v_fma_f64 v[105:106], v[65:66], v[87:88], v[93:94]
	v_fma_f64 v[107:108], v[67:68], v[87:88], -v[95:96]
	v_fma_f64 v[109:110], v[69:70], v[87:88], v[97:98]
	;; [unrolled: 2-line block ×4, first 2 shown]
	ds_read_b128 v[99:102], v175 offset:512
	ds_read_b128 v[95:98], v175 offset:528
	;; [unrolled: 1-line block ×4, first 2 shown]
	ds_write_b128 v177, v[103:106]
	ds_write_b128 v177, v[107:110] offset:1072
	ds_write_b128 v177, v[111:114] offset:2144
	;; [unrolled: 1-line block ×3, first 2 shown]
	s_waitcnt lgkmcnt(0)
	s_barrier
	ds_read_b128 v[163:166], v178
	ds_read_b128 v[159:162], v178 offset:16
	ds_read_b128 v[155:158], v178 offset:32
	;; [unrolled: 1-line block ×3, first 2 shown]
	v_add_co_u32_e64 v115, s[4:5], v208, v196
	v_addc_co_u32_e64 v116, s[4:5], v209, v197, s[4:5]
	s_waitcnt lgkmcnt(0)
	s_barrier
	s_cbranch_vccnz .LBB191_146
; %bb.139:                              ;   in Loop: Header=BB191_102 Depth=1
	v_mov_b32_e32 v107, 0
	v_mov_b32_e32 v103, 0
	;; [unrolled: 1-line block ×6, first 2 shown]
	v_cmp_gt_i32_e32 vcc, s22, v192
	s_and_saveexec_b64 s[4:5], vcc
	s_cbranch_execz .LBB191_141
; %bb.140:                              ;   in Loop: Header=BB191_102 Depth=1
	flat_load_dwordx4 v[103:106], v[115:116]
.LBB191_141:                            ;   in Loop: Header=BB191_102 Depth=1
	s_or_b64 exec, exec, s[4:5]
	v_mov_b32_e32 v109, 0
	v_mov_b32_e32 v110, 0
	v_cmp_gt_i32_e32 vcc, s22, v193
	s_and_saveexec_b64 s[4:5], vcc
	s_cbranch_execz .LBB191_143
; %bb.142:                              ;   in Loop: Header=BB191_102 Depth=1
	v_add_co_u32_e32 v107, vcc, v212, v196
	v_addc_co_u32_e32 v108, vcc, v213, v197, vcc
	flat_load_dwordx4 v[107:110], v[107:108]
.LBB191_143:                            ;   in Loop: Header=BB191_102 Depth=1
	s_or_b64 exec, exec, s[4:5]
	v_mov_b32_e32 v111, 0
	v_mov_b32_e32 v113, 0
	;; [unrolled: 1-line block ×4, first 2 shown]
	v_cmp_gt_i32_e32 vcc, s22, v194
	s_and_saveexec_b64 s[4:5], vcc
	s_cbranch_execz .LBB191_145
; %bb.144:                              ;   in Loop: Header=BB191_102 Depth=1
	v_add_co_u32_e32 v111, vcc, v204, v196
	v_addc_co_u32_e32 v112, vcc, v205, v197, vcc
	flat_load_dwordx4 v[111:114], v[111:112]
.LBB191_145:                            ;   in Loop: Header=BB191_102 Depth=1
	s_or_b64 exec, exec, s[4:5]
	v_cmp_gt_i32_e64 s[4:5], s22, v195
	s_branch .LBB191_148
.LBB191_146:                            ;   in Loop: Header=BB191_102 Depth=1
	s_mov_b64 s[4:5], 0
                                        ; implicit-def: $vgpr113_vgpr114
                                        ; implicit-def: $vgpr109_vgpr110
                                        ; implicit-def: $vgpr105_vgpr106
	s_cbranch_execz .LBB191_148
; %bb.147:                              ;   in Loop: Header=BB191_102 Depth=1
	s_waitcnt vmcnt(0) lgkmcnt(0)
	v_add_co_u32_e32 v107, vcc, v212, v196
	v_addc_co_u32_e32 v108, vcc, v213, v197, vcc
	v_add_co_u32_e32 v111, vcc, v218, v196
	v_addc_co_u32_e32 v112, vcc, v219, v197, vcc
	flat_load_dwordx4 v[103:106], v[115:116]
	s_or_b64 s[4:5], s[4:5], exec
	flat_load_dwordx4 v[107:110], v[107:108]
	s_nop 0
	flat_load_dwordx4 v[111:114], v[111:112]
.LBB191_148:                            ;   in Loop: Header=BB191_102 Depth=1
	v_mov_b32_e32 v115, 0
	v_mov_b32_e32 v117, 0
	;; [unrolled: 1-line block ×4, first 2 shown]
	s_and_saveexec_b64 s[8:9], s[4:5]
	s_cbranch_execz .LBB191_150
; %bb.149:                              ;   in Loop: Header=BB191_102 Depth=1
	v_add_co_u32_e32 v115, vcc, v200, v196
	v_addc_co_u32_e32 v116, vcc, v201, v197, vcc
	flat_load_dwordx4 v[115:118], v[115:116]
.LBB191_150:                            ;   in Loop: Header=BB191_102 Depth=1
	s_or_b64 exec, exec, s[8:9]
	v_add_f64 v[147:148], v[147:148], 0
	v_add_f64 v[149:150], v[149:150], 0
	;; [unrolled: 1-line block ×6, first 2 shown]
	v_cmp_gt_i32_e32 vcc, s22, v0
	s_or_b64 s[4:5], s[14:15], vcc
	v_add_f64 v[143:144], v[147:148], v[143:144]
	v_add_f64 v[145:146], v[149:150], v[145:146]
	;; [unrolled: 1-line block ×6, first 2 shown]
	s_and_b64 s[8:9], s[2:3], s[4:5]
	v_add_f64 v[139:140], v[143:144], v[139:140]
	v_add_f64 v[141:142], v[145:146], v[141:142]
	;; [unrolled: 1-line block ×10, first 2 shown]
	ds_read_b128 v[143:146], v176
	ds_read_b128 v[131:134], v175 offset:768
	ds_read_b128 v[127:130], v175 offset:784
	;; [unrolled: 1-line block ×4, first 2 shown]
	s_waitcnt vmcnt(0) lgkmcnt(0)
	v_mul_f64 v[147:148], v[105:106], v[145:146]
	v_mul_f64 v[149:150], v[103:104], v[145:146]
	v_add_f64 v[151:152], v[155:156], v[151:152]
	v_add_f64 v[153:154], v[157:158], v[153:154]
	v_fma_f64 v[147:148], v[103:104], v[143:144], -v[147:148]
	v_fma_f64 v[149:150], v[105:106], v[143:144], v[149:150]
	ds_write_b128 v177, v[147:150]
	v_mul_f64 v[147:148], v[109:110], v[145:146]
	v_mul_f64 v[149:150], v[107:108], v[145:146]
	v_fma_f64 v[147:148], v[107:108], v[143:144], -v[147:148]
	v_fma_f64 v[149:150], v[109:110], v[143:144], v[149:150]
	ds_write_b128 v177, v[147:150] offset:1072
	v_mul_f64 v[147:148], v[113:114], v[145:146]
	v_mul_f64 v[149:150], v[111:112], v[145:146]
	v_fma_f64 v[147:148], v[111:112], v[143:144], -v[147:148]
	v_fma_f64 v[149:150], v[113:114], v[143:144], v[149:150]
	ds_write_b128 v177, v[147:150] offset:2144
	;; [unrolled: 5-line block ×3, first 2 shown]
	s_waitcnt lgkmcnt(0)
	s_barrier
	ds_read_b128 v[143:146], v178
	ds_read_b128 v[147:150], v178 offset:16
	ds_read_b128 v[155:158], v178 offset:32
	;; [unrolled: 1-line block ×3, first 2 shown]
	s_waitcnt lgkmcnt(0)
	v_add_f64 v[143:144], v[143:144], 0
	v_add_f64 v[145:146], v[145:146], 0
	s_barrier
	v_add_f64 v[143:144], v[143:144], v[147:148]
	v_add_f64 v[145:146], v[145:146], v[149:150]
	;; [unrolled: 1-line block ×6, first 2 shown]
	ds_write_b128 v238, v[139:142]
	ds_write_b128 v238, v[135:138] offset:256
	ds_write_b128 v238, v[151:154] offset:512
	;; [unrolled: 1-line block ×3, first 2 shown]
	s_waitcnt lgkmcnt(0)
	s_barrier
	s_and_saveexec_b64 s[4:5], s[8:9]
	s_cbranch_execz .LBB191_152
; %bb.151:                              ;   in Loop: Header=BB191_102 Depth=1
	ds_read_b128 v[135:138], v179
	ds_read_b128 v[139:142], v179 offset:16
	v_ashrrev_i32_e32 v169, 31, v168
	s_waitcnt lgkmcnt(0)
	v_add_f64 v[143:144], v[139:140], v[135:136]
	v_add_f64 v[145:146], v[141:142], v[137:138]
	ds_read_b128 v[135:138], v179 offset:32
	ds_read_b128 v[139:142], v179 offset:48
	s_waitcnt lgkmcnt(1)
	v_add_f64 v[135:136], v[143:144], v[135:136]
	v_add_f64 v[137:138], v[145:146], v[137:138]
	s_waitcnt lgkmcnt(0)
	v_add_f64 v[143:144], v[135:136], v[139:140]
	v_add_f64 v[145:146], v[137:138], v[141:142]
	ds_read_b128 v[135:138], v179 offset:64
	ds_read_b128 v[139:142], v179 offset:80
	s_waitcnt lgkmcnt(1)
	v_add_f64 v[135:136], v[143:144], v[135:136]
	v_add_f64 v[137:138], v[145:146], v[137:138]
	;; [unrolled: 8-line block ×6, first 2 shown]
	s_waitcnt lgkmcnt(0)
	v_add_f64 v[143:144], v[135:136], v[139:140]
	v_add_f64 v[145:146], v[137:138], v[141:142]
	ds_read_b128 v[135:138], v179 offset:224
	ds_read_b128 v[139:142], v180
	s_waitcnt lgkmcnt(1)
	v_add_f64 v[135:136], v[143:144], v[135:136]
	v_add_f64 v[137:138], v[145:146], v[137:138]
	s_waitcnt lgkmcnt(0)
	v_add_f64 v[135:136], v[135:136], v[139:140]
	v_add_f64 v[137:138], v[137:138], v[141:142]
	v_lshlrev_b64 v[139:140], 4, v[168:169]
	v_mov_b32_e32 v141, s27
	v_add_co_u32_e32 v139, vcc, s19, v139
	v_addc_co_u32_e32 v140, vcc, v141, v140, vcc
	global_store_dwordx4 v[139:140], v[135:138], off
.LBB191_152:                            ;   in Loop: Header=BB191_102 Depth=1
	s_or_b64 exec, exec, s[4:5]
	v_mul_f64 v[135:136], v[9:10], v[49:50]
	v_mul_f64 v[49:50], v[7:8], v[49:50]
	;; [unrolled: 1-line block ×4, first 2 shown]
	v_add_co_u32_e32 v198, vcc, s12, v198
	s_add_i32 s4, s6, 1
	s_add_i32 s10, s10, s34
	v_fma_f64 v[7:8], v[7:8], v[47:48], -v[135:136]
	v_fma_f64 v[9:10], v[9:10], v[47:48], v[49:50]
	v_mul_f64 v[47:48], v[17:18], v[37:38]
	v_mul_f64 v[37:38], v[15:16], v[37:38]
	v_fma_f64 v[11:12], v[11:12], v[43:44], -v[137:138]
	v_fma_f64 v[13:14], v[13:14], v[43:44], v[45:46]
	v_mul_f64 v[49:50], v[21:22], v[25:26]
	v_mul_f64 v[25:26], v[19:20], v[25:26]
	v_add_f64 v[2:3], v[2:3], v[7:8]
	v_add_f64 v[4:5], v[4:5], v[9:10]
	v_fma_f64 v[15:16], v[15:16], v[35:36], -v[47:48]
	v_fma_f64 v[17:18], v[17:18], v[35:36], v[37:38]
	v_mul_f64 v[7:8], v[33:34], v[77:78]
	v_mul_f64 v[9:10], v[31:32], v[77:78]
	v_fma_f64 v[19:20], v[19:20], v[23:24], -v[49:50]
	v_fma_f64 v[21:22], v[21:22], v[23:24], v[25:26]
	v_add_f64 v[2:3], v[2:3], v[11:12]
	v_add_f64 v[4:5], v[4:5], v[13:14]
	v_mul_f64 v[43:44], v[29:30], v[73:74]
	v_mul_f64 v[45:46], v[27:28], v[73:74]
	v_fma_f64 v[7:8], v[31:32], v[75:76], -v[7:8]
	v_fma_f64 v[9:10], v[33:34], v[75:76], v[9:10]
	v_mul_f64 v[11:12], v[41:42], v[61:62]
	v_mul_f64 v[13:14], v[39:40], v[61:62]
	v_add_f64 v[2:3], v[2:3], v[15:16]
	v_add_f64 v[4:5], v[4:5], v[17:18]
	v_fma_f64 v[27:28], v[27:28], v[71:72], -v[43:44]
	v_fma_f64 v[29:30], v[29:30], v[71:72], v[45:46]
	v_mul_f64 v[35:36], v[53:54], v[57:58]
	v_mul_f64 v[37:38], v[51:52], v[57:58]
	v_fma_f64 v[11:12], v[39:40], v[59:60], -v[11:12]
	v_fma_f64 v[13:14], v[41:42], v[59:60], v[13:14]
	v_add_f64 v[2:3], v[2:3], v[19:20]
	v_add_f64 v[4:5], v[4:5], v[21:22]
	v_mul_f64 v[15:16], v[65:66], v[101:102]
	v_mul_f64 v[17:18], v[63:64], v[101:102]
	v_fma_f64 v[35:36], v[51:52], v[55:56], -v[35:36]
	v_fma_f64 v[37:38], v[53:54], v[55:56], v[37:38]
	v_mul_f64 v[23:24], v[69:70], v[97:98]
	v_mul_f64 v[25:26], v[67:68], v[97:98]
	v_add_f64 v[2:3], v[2:3], v[7:8]
	v_add_f64 v[4:5], v[4:5], v[9:10]
	v_mul_f64 v[19:20], v[81:82], v[93:94]
	v_mul_f64 v[21:22], v[79:80], v[93:94]
	;; [unrolled: 1-line block ×6, first 2 shown]
	v_add_f64 v[2:3], v[2:3], v[27:28]
	v_add_f64 v[4:5], v[4:5], v[29:30]
	v_mul_f64 v[43:44], v[109:110], v[129:130]
	v_mul_f64 v[45:46], v[107:108], v[129:130]
	;; [unrolled: 1-line block ×4, first 2 shown]
	v_fma_f64 v[7:8], v[103:104], v[131:132], -v[7:8]
	v_fma_f64 v[9:10], v[105:106], v[131:132], v[9:10]
	v_add_f64 v[2:3], v[2:3], v[11:12]
	v_add_f64 v[4:5], v[4:5], v[13:14]
	v_fma_f64 v[11:12], v[63:64], v[99:100], -v[15:16]
	v_fma_f64 v[13:14], v[65:66], v[99:100], v[17:18]
	v_fma_f64 v[15:16], v[67:68], v[95:96], -v[23:24]
	v_fma_f64 v[17:18], v[69:70], v[95:96], v[25:26]
	v_mul_f64 v[39:40], v[117:118], v[121:122]
	v_mul_f64 v[41:42], v[115:116], v[121:122]
	v_add_f64 v[2:3], v[2:3], v[35:36]
	v_add_f64 v[4:5], v[4:5], v[37:38]
	v_mov_b32_e32 v35, s13
	v_addc_co_u32_e32 v199, vcc, v199, v35, vcc
	v_add_co_u32_e32 v200, vcc, s12, v200
	v_addc_co_u32_e32 v201, vcc, v201, v35, vcc
	v_add_f64 v[2:3], v[2:3], v[11:12]
	v_add_f64 v[4:5], v[4:5], v[13:14]
	v_fma_f64 v[11:12], v[79:80], v[91:92], -v[19:20]
	v_fma_f64 v[13:14], v[81:82], v[91:92], v[21:22]
	v_add_co_u32_e32 v202, vcc, s12, v202
	v_addc_co_u32_e32 v203, vcc, v203, v35, vcc
	v_add_f64 v[2:3], v[2:3], v[15:16]
	v_add_f64 v[4:5], v[4:5], v[17:18]
	v_fma_f64 v[15:16], v[83:84], v[87:88], -v[31:32]
	v_fma_f64 v[17:18], v[85:86], v[87:88], v[33:34]
	;; [unrolled: 6-line block ×3, first 2 shown]
	v_add_co_u32_e32 v206, vcc, s12, v206
	v_addc_co_u32_e32 v207, vcc, v207, v35, vcc
	v_add_f64 v[2:3], v[2:3], v[15:16]
	v_add_f64 v[4:5], v[4:5], v[17:18]
	v_add_co_u32_e32 v208, vcc, s12, v208
	v_addc_co_u32_e32 v209, vcc, v209, v35, vcc
	v_add_co_u32_e32 v210, vcc, s12, v210
	v_add_f64 v[2:3], v[2:3], v[7:8]
	v_add_f64 v[4:5], v[4:5], v[9:10]
	v_addc_co_u32_e32 v211, vcc, v211, v35, vcc
	v_add_co_u32_e32 v212, vcc, s12, v212
	v_addc_co_u32_e32 v213, vcc, v213, v35, vcc
	v_fma_f64 v[7:8], v[111:112], v[123:124], -v[27:28]
	v_fma_f64 v[9:10], v[113:114], v[123:124], v[29:30]
	v_add_f64 v[2:3], v[2:3], v[11:12]
	v_add_f64 v[4:5], v[4:5], v[13:14]
	v_add_co_u32_e32 v214, vcc, s12, v214
	v_addc_co_u32_e32 v215, vcc, v215, v35, vcc
	v_add_co_u32_e32 v216, vcc, s12, v216
	v_addc_co_u32_e32 v217, vcc, v217, v35, vcc
	;; [unrolled: 2-line block ×4, first 2 shown]
	v_fma_f64 v[11:12], v[115:116], v[119:120], -v[39:40]
	v_fma_f64 v[13:14], v[117:118], v[119:120], v[41:42]
	v_add_f64 v[2:3], v[2:3], v[7:8]
	v_add_f64 v[4:5], v[4:5], v[9:10]
	v_add_co_u32_e32 v222, vcc, s12, v222
	v_addc_co_u32_e32 v223, vcc, v223, v35, vcc
	v_add_co_u32_e32 v224, vcc, s12, v224
	v_addc_co_u32_e32 v225, vcc, v225, v35, vcc
	;; [unrolled: 2-line block ×4, first 2 shown]
	v_add_f64 v[2:3], v[2:3], v[11:12]
	v_add_f64 v[4:5], v[4:5], v[13:14]
	v_add_co_u32_e32 v230, vcc, s12, v230
	v_addc_co_u32_e32 v231, vcc, v231, v35, vcc
	v_add_co_u32_e32 v232, vcc, s12, v232
	v_addc_co_u32_e32 v233, vcc, v233, v35, vcc
	;; [unrolled: 2-line block ×3, first 2 shown]
	s_add_i32 s5, s6, 2
	v_add_co_u32_e32 v236, vcc, s12, v236
	v_add_u32_e32 v168, 64, v168
	s_cmp_ge_u32 s5, s7
	v_addc_co_u32_e32 v237, vcc, v237, v35, vcc
	s_waitcnt vmcnt(0)
	s_barrier
	s_cbranch_scc0 .LBB191_97
.LBB191_153:
	s_movk_i32 s2, 0x430
	v_cmp_gt_i32_e32 vcc, s18, v0
	v_mad_u32_u24 v1, v1, s2, v170
	s_or_b64 s[2:3], s[20:21], vcc
	s_and_b64 s[0:1], s[0:1], s[2:3]
	ds_write_b128 v1, v[2:5]
	s_waitcnt lgkmcnt(0)
	s_barrier
	s_and_saveexec_b64 s[2:3], s[0:1]
	s_cbranch_execz .LBB191_155
; %bb.154:
	ds_read_b128 v[0:3], v170 offset:1072
	ds_read_b128 v[4:7], v170
	v_ashrrev_i32_e32 v168, 31, v167
	s_waitcnt lgkmcnt(0)
	v_add_f64 v[8:9], v[0:1], v[4:5]
	v_add_f64 v[10:11], v[2:3], v[6:7]
	ds_read_b128 v[0:3], v170 offset:2144
	ds_read_b128 v[4:7], v170 offset:3216
	s_waitcnt lgkmcnt(1)
	v_add_f64 v[0:1], v[8:9], v[0:1]
	v_add_f64 v[2:3], v[10:11], v[2:3]
	s_waitcnt lgkmcnt(0)
	v_add_f64 v[0:1], v[0:1], v[4:5]
	v_add_f64 v[2:3], v[2:3], v[6:7]
	v_lshlrev_b64 v[4:5], 4, v[167:168]
	v_mov_b32_e32 v6, s27
	v_add_co_u32_e32 v4, vcc, s19, v4
	v_addc_co_u32_e32 v5, vcc, v6, v5, vcc
	global_store_dwordx4 v[4:5], v[0:3], off
.LBB191_155:
	s_endpgm
	.section	.rodata,"a",@progbits
	.p2align	6, 0x0
	.amdhsa_kernel _ZL26rocblas_hemvn_kernel_upperILb0ELi64ELi4ELi33ELi32ELi16Ei19rocblas_complex_numIdEPKPKS1_PS1_EviT6_lT7_lT5_lS8_lS9_lS7_lT8_i
		.amdhsa_group_segment_fixed_size 19200
		.amdhsa_private_segment_fixed_size 0
		.amdhsa_kernarg_size 392
		.amdhsa_user_sgpr_count 6
		.amdhsa_user_sgpr_private_segment_buffer 1
		.amdhsa_user_sgpr_dispatch_ptr 0
		.amdhsa_user_sgpr_queue_ptr 0
		.amdhsa_user_sgpr_kernarg_segment_ptr 1
		.amdhsa_user_sgpr_dispatch_id 0
		.amdhsa_user_sgpr_flat_scratch_init 0
		.amdhsa_user_sgpr_private_segment_size 0
		.amdhsa_uses_dynamic_stack 0
		.amdhsa_system_sgpr_private_segment_wavefront_offset 0
		.amdhsa_system_sgpr_workgroup_id_x 1
		.amdhsa_system_sgpr_workgroup_id_y 0
		.amdhsa_system_sgpr_workgroup_id_z 1
		.amdhsa_system_sgpr_workgroup_info 0
		.amdhsa_system_vgpr_workitem_id 1
		.amdhsa_next_free_vgpr 239
		.amdhsa_next_free_sgpr 98
		.amdhsa_reserve_vcc 1
		.amdhsa_reserve_flat_scratch 0
		.amdhsa_float_round_mode_32 0
		.amdhsa_float_round_mode_16_64 0
		.amdhsa_float_denorm_mode_32 3
		.amdhsa_float_denorm_mode_16_64 3
		.amdhsa_dx10_clamp 1
		.amdhsa_ieee_mode 1
		.amdhsa_fp16_overflow 0
		.amdhsa_exception_fp_ieee_invalid_op 0
		.amdhsa_exception_fp_denorm_src 0
		.amdhsa_exception_fp_ieee_div_zero 0
		.amdhsa_exception_fp_ieee_overflow 0
		.amdhsa_exception_fp_ieee_underflow 0
		.amdhsa_exception_fp_ieee_inexact 0
		.amdhsa_exception_int_div_zero 0
	.end_amdhsa_kernel
	.section	.text._ZL26rocblas_hemvn_kernel_upperILb0ELi64ELi4ELi33ELi32ELi16Ei19rocblas_complex_numIdEPKPKS1_PS1_EviT6_lT7_lT5_lS8_lS9_lS7_lT8_i,"axG",@progbits,_ZL26rocblas_hemvn_kernel_upperILb0ELi64ELi4ELi33ELi32ELi16Ei19rocblas_complex_numIdEPKPKS1_PS1_EviT6_lT7_lT5_lS8_lS9_lS7_lT8_i,comdat
.Lfunc_end191:
	.size	_ZL26rocblas_hemvn_kernel_upperILb0ELi64ELi4ELi33ELi32ELi16Ei19rocblas_complex_numIdEPKPKS1_PS1_EviT6_lT7_lT5_lS8_lS9_lS7_lT8_i, .Lfunc_end191-_ZL26rocblas_hemvn_kernel_upperILb0ELi64ELi4ELi33ELi32ELi16Ei19rocblas_complex_numIdEPKPKS1_PS1_EviT6_lT7_lT5_lS8_lS9_lS7_lT8_i
                                        ; -- End function
	.set _ZL26rocblas_hemvn_kernel_upperILb0ELi64ELi4ELi33ELi32ELi16Ei19rocblas_complex_numIdEPKPKS1_PS1_EviT6_lT7_lT5_lS8_lS9_lS7_lT8_i.num_vgpr, 239
	.set _ZL26rocblas_hemvn_kernel_upperILb0ELi64ELi4ELi33ELi32ELi16Ei19rocblas_complex_numIdEPKPKS1_PS1_EviT6_lT7_lT5_lS8_lS9_lS7_lT8_i.num_agpr, 0
	.set _ZL26rocblas_hemvn_kernel_upperILb0ELi64ELi4ELi33ELi32ELi16Ei19rocblas_complex_numIdEPKPKS1_PS1_EviT6_lT7_lT5_lS8_lS9_lS7_lT8_i.numbered_sgpr, 44
	.set _ZL26rocblas_hemvn_kernel_upperILb0ELi64ELi4ELi33ELi32ELi16Ei19rocblas_complex_numIdEPKPKS1_PS1_EviT6_lT7_lT5_lS8_lS9_lS7_lT8_i.num_named_barrier, 0
	.set _ZL26rocblas_hemvn_kernel_upperILb0ELi64ELi4ELi33ELi32ELi16Ei19rocblas_complex_numIdEPKPKS1_PS1_EviT6_lT7_lT5_lS8_lS9_lS7_lT8_i.private_seg_size, 0
	.set _ZL26rocblas_hemvn_kernel_upperILb0ELi64ELi4ELi33ELi32ELi16Ei19rocblas_complex_numIdEPKPKS1_PS1_EviT6_lT7_lT5_lS8_lS9_lS7_lT8_i.uses_vcc, 1
	.set _ZL26rocblas_hemvn_kernel_upperILb0ELi64ELi4ELi33ELi32ELi16Ei19rocblas_complex_numIdEPKPKS1_PS1_EviT6_lT7_lT5_lS8_lS9_lS7_lT8_i.uses_flat_scratch, 0
	.set _ZL26rocblas_hemvn_kernel_upperILb0ELi64ELi4ELi33ELi32ELi16Ei19rocblas_complex_numIdEPKPKS1_PS1_EviT6_lT7_lT5_lS8_lS9_lS7_lT8_i.has_dyn_sized_stack, 0
	.set _ZL26rocblas_hemvn_kernel_upperILb0ELi64ELi4ELi33ELi32ELi16Ei19rocblas_complex_numIdEPKPKS1_PS1_EviT6_lT7_lT5_lS8_lS9_lS7_lT8_i.has_recursion, 0
	.set _ZL26rocblas_hemvn_kernel_upperILb0ELi64ELi4ELi33ELi32ELi16Ei19rocblas_complex_numIdEPKPKS1_PS1_EviT6_lT7_lT5_lS8_lS9_lS7_lT8_i.has_indirect_call, 0
	.section	.AMDGPU.csdata,"",@progbits
; Kernel info:
; codeLenInByte = 10696
; TotalNumSgprs: 48
; NumVgprs: 239
; ScratchSize: 0
; MemoryBound: 1
; FloatMode: 240
; IeeeMode: 1
; LDSByteSize: 19200 bytes/workgroup (compile time only)
; SGPRBlocks: 12
; VGPRBlocks: 59
; NumSGPRsForWavesPerEU: 102
; NumVGPRsForWavesPerEU: 239
; Occupancy: 1
; WaveLimiterHint : 0
; COMPUTE_PGM_RSRC2:SCRATCH_EN: 0
; COMPUTE_PGM_RSRC2:USER_SGPR: 6
; COMPUTE_PGM_RSRC2:TRAP_HANDLER: 0
; COMPUTE_PGM_RSRC2:TGID_X_EN: 1
; COMPUTE_PGM_RSRC2:TGID_Y_EN: 0
; COMPUTE_PGM_RSRC2:TGID_Z_EN: 1
; COMPUTE_PGM_RSRC2:TIDIG_COMP_CNT: 1
	.section	.text._ZL26rocblas_hemvn_kernel_lowerILb0ELi64ELi4ELi33ELi32ELi16ElPK19rocblas_complex_numIdEPKS3_PS1_EviT6_lT7_lT5_lS8_lS9_lS7_lT8_i,"axG",@progbits,_ZL26rocblas_hemvn_kernel_lowerILb0ELi64ELi4ELi33ELi32ELi16ElPK19rocblas_complex_numIdEPKS3_PS1_EviT6_lT7_lT5_lS8_lS9_lS7_lT8_i,comdat
	.globl	_ZL26rocblas_hemvn_kernel_lowerILb0ELi64ELi4ELi33ELi32ELi16ElPK19rocblas_complex_numIdEPKS3_PS1_EviT6_lT7_lT5_lS8_lS9_lS7_lT8_i ; -- Begin function _ZL26rocblas_hemvn_kernel_lowerILb0ELi64ELi4ELi33ELi32ELi16ElPK19rocblas_complex_numIdEPKS3_PS1_EviT6_lT7_lT5_lS8_lS9_lS7_lT8_i
	.p2align	8
	.type	_ZL26rocblas_hemvn_kernel_lowerILb0ELi64ELi4ELi33ELi32ELi16ElPK19rocblas_complex_numIdEPKS3_PS1_EviT6_lT7_lT5_lS8_lS9_lS7_lT8_i,@function
_ZL26rocblas_hemvn_kernel_lowerILb0ELi64ELi4ELi33ELi32ELi16ElPK19rocblas_complex_numIdEPKS3_PS1_EviT6_lT7_lT5_lS8_lS9_lS7_lT8_i: ; @_ZL26rocblas_hemvn_kernel_lowerILb0ELi64ELi4ELi33ELi32ELi16ElPK19rocblas_complex_numIdEPKS3_PS1_EviT6_lT7_lT5_lS8_lS9_lS7_lT8_i
; %bb.0:
	s_load_dwordx2 s[0:1], s[4:5], 0x84
	s_add_u32 s16, s4, 0x78
	s_addc_u32 s17, s5, 0
	s_waitcnt lgkmcnt(0)
	s_lshr_b32 s2, s0, 16
	s_and_b32 s0, s0, 0xffff
	s_and_b32 s1, s1, 0xffff
	s_mul_i32 s0, s2, s0
	s_mul_i32 s0, s0, s1
	s_cmpk_lg_i32 s0, 0x100
	s_cbranch_scc1 .LBB192_104
; %bb.1:
	s_load_dwordx8 s[8:15], s[4:5], 0x8
	s_mov_b32 s22, s7
	s_mov_b32 s23, 0
	s_waitcnt lgkmcnt(0)
	s_mul_i32 s1, s11, s7
	s_mul_hi_u32 s2, s10, s7
	s_mul_i32 s0, s10, s7
	s_add_i32 s1, s2, s1
	s_lshl_b64 s[0:1], s[0:1], 4
	s_add_u32 s8, s8, s0
	s_addc_u32 s9, s9, s1
	s_load_dwordx4 s[0:3], s[8:9], 0x0
	s_waitcnt lgkmcnt(0)
	v_cmp_neq_f64_e64 s[8:9], s[0:1], 0
	v_cmp_neq_f64_e64 s[10:11], s[2:3], 0
	s_load_dwordx2 s[26:27], s[4:5], 0x68
	s_load_dwordx4 s[0:3], s[4:5], 0x58
	s_or_b64 s[10:11], s[8:9], s[10:11]
	s_mov_b64 s[8:9], -1
	s_and_b64 vcc, exec, s[10:11]
	s_cbranch_vccnz .LBB192_3
; %bb.2:
	s_waitcnt lgkmcnt(0)
	s_mul_i32 s3, s3, s22
	s_mul_hi_u32 s7, s2, s22
	s_add_i32 s3, s7, s3
	s_mul_i32 s2, s2, s22
	s_lshl_b64 s[2:3], s[2:3], 4
	s_add_u32 s8, s0, s2
	s_addc_u32 s9, s1, s3
	s_load_dwordx4 s[0:3], s[8:9], 0x0
	s_mov_b64 s[8:9], 0
	s_waitcnt lgkmcnt(0)
	v_cmp_eq_f64_e64 s[0:1], s[0:1], 1.0
	v_cmp_eq_f64_e64 s[2:3], s[2:3], 0
	s_and_b64 s[0:1], s[0:1], s[2:3]
	s_andn2_b64 vcc, exec, s[0:1]
.LBB192_3:
	s_andn2_b64 vcc, exec, s[8:9]
	s_cbranch_vccnz .LBB192_104
; %bb.4:
	s_load_dword s7, s[16:17], 0x0
	s_waitcnt lgkmcnt(0)
	s_load_dwordx4 s[0:3], s[4:5], 0x38
	s_load_dwordx2 s[20:21], s[4:5], 0x48
	s_lshl_b64 s[8:9], s[22:23], 3
	s_add_u32 s10, s12, s8
	s_addc_u32 s11, s13, s9
	s_waitcnt lgkmcnt(0)
	s_add_u32 s0, s0, s8
	s_addc_u32 s1, s1, s9
	s_load_dwordx2 s[12:13], s[0:1], 0x0
	s_load_dwordx2 s[24:25], s[4:5], 0x28
	s_load_dword s23, s[4:5], 0x0
	s_load_dwordx2 s[8:9], s[10:11], 0x0
	s_lshl_b64 s[0:1], s[2:3], 4
	s_waitcnt lgkmcnt(0)
	s_add_u32 s2, s12, s0
	s_addc_u32 s3, s13, s1
	s_lshl_b32 s30, s6, 6
	s_ashr_i32 s33, s23, 31
	s_lshr_b32 s0, s33, 26
	v_add_u32_e32 v142, s30, v0
	s_add_i32 s0, s23, s0
	v_ashrrev_i32_e32 v143, 31, v142
	s_and_b32 s5, s0, 0xffffffc0
	v_mul_lo_u32 v4, s20, v143
	v_mul_lo_u32 v5, s21, v142
	v_mad_u64_u32 v[2:3], s[0:1], s20, v142, 0
	s_add_i32 s4, s7, -1
	s_sub_i32 s0, s23, s5
	v_add3_u32 v3, v3, v4, v5
	v_lshlrev_b64 v[2:3], 4, v[2:3]
	s_cmp_eq_u32 s6, s4
	v_mov_b32_e32 v4, s3
	v_add_co_u32_e32 v38, vcc, s2, v2
	s_cselect_b32 s28, s0, 0
	v_addc_co_u32_e32 v39, vcc, v4, v3, vcc
	v_cmp_ne_u32_e64 s[0:1], 0, v1
	v_cmp_eq_u32_e64 s[2:3], 0, v1
	s_and_saveexec_b64 s[4:5], s[2:3]
	s_cbranch_execz .LBB192_9
; %bb.5:
	s_cmp_lg_u32 s28, 0
	s_cselect_b64 s[10:11], -1, 0
	v_cmp_le_i32_e32 vcc, s28, v0
	v_mov_b32_e32 v2, 0x4700
	s_and_b64 s[10:11], s[10:11], vcc
	v_lshl_add_u32 v2, v0, 4, v2
	s_and_saveexec_b64 s[12:13], s[10:11]
	s_xor_b64 s[10:11], exec, s[12:13]
; %bb.6:
	v_mov_b32_e32 v3, 0
	v_mov_b32_e32 v4, v3
	;; [unrolled: 1-line block ×4, first 2 shown]
	ds_write_b128 v2, v[3:6]
                                        ; implicit-def: $vgpr2
; %bb.7:
	s_andn2_saveexec_b64 s[10:11], s[10:11]
	s_cbranch_execz .LBB192_9
; %bb.8:
	flat_load_dwordx4 v[3:6], v[38:39]
	s_waitcnt vmcnt(0) lgkmcnt(0)
	ds_write2_b64 v2, v[3:4], v[5:6] offset1:1
.LBB192_9:
	s_or_b64 exec, exec, s[4:5]
	v_lshl_add_u32 v44, v1, 6, v0
	v_and_b32_e32 v6, 31, v0
	v_lshrrev_b32_e32 v11, 5, v44
	v_mov_b32_e32 v7, 0
	v_mad_u64_u32 v[2:3], s[10:11], s24, v11, v[6:7]
	s_lshl_b64 s[4:5], s[14:15], 4
	s_add_u32 s8, s8, s4
	s_addc_u32 s9, s9, s5
	v_mad_u64_u32 v[3:4], s[4:5], s25, v11, v[3:4]
	s_ashr_i32 s31, s30, 31
	s_lshl_b64 s[4:5], s[30:31], 4
	s_add_u32 s4, s8, s4
	v_lshlrev_b64 v[40:41], 4, v[2:3]
	s_addc_u32 s5, s9, s5
	v_mov_b32_e32 v2, s5
	v_add_co_u32_e32 v3, vcc, s4, v40
	s_mul_hi_u32 s4, s24, s30
	s_mul_i32 s5, s24, s31
	s_add_i32 s4, s4, s5
	s_mul_i32 s5, s25, s30
	s_add_i32 s5, s4, s5
	s_mul_i32 s4, s24, s30
	v_addc_co_u32_e32 v2, vcc, v2, v41, vcc
	s_lshl_b64 s[34:35], s[4:5], 4
	v_mov_b32_e32 v4, s35
	v_add_co_u32_e32 v7, vcc, s34, v3
	s_cmp_lg_u32 s28, 0
	v_addc_co_u32_e32 v8, vcc, v2, v4, vcc
	s_cselect_b64 s[36:37], -1, 0
	s_cmp_eq_u32 s28, 0
	s_cselect_b64 s[16:17], -1, 0
	s_mov_b64 s[4:5], -1
	s_and_b64 vcc, exec, s[36:37]
	s_cbranch_vccnz .LBB192_11
; %bb.10:
	flat_load_dwordx4 v[2:5], v[7:8]
	v_mul_u32_u24_e32 v9, 0x210, v11
	s_lshl_b64 s[4:5], s[24:25], 7
	v_lshl_add_u32 v12, v6, 4, v9
	v_mov_b32_e32 v13, s5
	v_add_co_u32_e32 v9, vcc, s4, v7
	v_addc_co_u32_e32 v10, vcc, v8, v13, vcc
	v_add_u32_e32 v14, 0x1080, v12
	s_waitcnt vmcnt(0) lgkmcnt(0)
	ds_write2_b64 v12, v[2:3], v[4:5] offset1:1
	flat_load_dwordx4 v[2:5], v[9:10]
	v_add_co_u32_e32 v9, vcc, s4, v9
	v_addc_co_u32_e32 v10, vcc, v10, v13, vcc
	s_waitcnt vmcnt(0) lgkmcnt(0)
	ds_write2_b64 v14, v[2:3], v[4:5] offset1:1
	flat_load_dwordx4 v[2:5], v[9:10]
	v_add_u32_e32 v14, 0x2100, v12
	v_add_co_u32_e32 v9, vcc, s4, v9
	v_addc_co_u32_e32 v10, vcc, v10, v13, vcc
	s_mov_b64 s[4:5], 0
	s_waitcnt vmcnt(0) lgkmcnt(0)
	ds_write2_b64 v14, v[2:3], v[4:5] offset1:1
	flat_load_dwordx4 v[2:5], v[9:10]
	v_add_u32_e32 v9, 0x3180, v12
	s_waitcnt vmcnt(0) lgkmcnt(0)
	ds_write2_b64 v9, v[2:3], v[4:5] offset1:1
.LBB192_11:
	s_andn2_b64 vcc, exec, s[4:5]
	v_lshlrev_b32_e32 v12, 4, v6
	s_cbranch_vccnz .LBB192_29
; %bb.12:
	v_lshlrev_b32_e32 v4, 4, v6
	v_sub_co_u32_e32 v2, vcc, v7, v4
	s_ashr_i32 s29, s28, 31
	v_subbrev_co_u32_e32 v3, vcc, 0, v8, vcc
	s_lshl_b64 s[8:9], s[28:29], 4
	v_mov_b32_e32 v5, s9
	v_add_co_u32_e32 v2, vcc, s8, v2
	v_addc_co_u32_e32 v3, vcc, v3, v5, vcc
	v_add_co_u32_e32 v2, vcc, -16, v2
	v_addc_co_u32_e32 v3, vcc, -1, v3, vcc
	v_cmp_gt_i32_e32 vcc, s28, v6
	s_movk_i32 s10, 0x210
	v_cndmask_b32_e32 v3, v3, v8, vcc
	v_cndmask_b32_e32 v2, v2, v7, vcc
	v_cmp_le_i32_e64 s[4:5], s28, v11
	v_mad_u32_u24 v5, v11, s10, v12
	s_and_saveexec_b64 s[10:11], s[4:5]
	s_xor_b64 s[4:5], exec, s[10:11]
; %bb.13:
	v_mov_b32_e32 v13, 0
	v_mov_b32_e32 v14, v13
	v_mov_b32_e32 v15, v13
	v_mov_b32_e32 v16, v13
	ds_write_b128 v5, v[13:16]
                                        ; implicit-def: $vgpr5
; %bb.14:
	s_andn2_saveexec_b64 s[4:5], s[4:5]
	s_cbranch_execz .LBB192_16
; %bb.15:
	flat_load_dwordx4 v[13:16], v[2:3]
	s_waitcnt vmcnt(0) lgkmcnt(0)
	ds_write2_b64 v5, v[13:14], v[15:16] offset1:1
.LBB192_16:
	s_or_b64 exec, exec, s[4:5]
	v_add_u32_e32 v9, 8, v11
	v_mul_u32_u24_e32 v5, 0x210, v11
	v_cmp_le_i32_e64 s[4:5], s28, v9
	s_and_saveexec_b64 s[10:11], s[4:5]
	s_xor_b64 s[4:5], exec, s[10:11]
	s_cbranch_execz .LBB192_18
; %bb.17:
	v_mov_b32_e32 v13, 0
	v_add_u32_e32 v9, v5, v12
	v_mov_b32_e32 v14, v13
	v_mov_b32_e32 v15, v13
	;; [unrolled: 1-line block ×3, first 2 shown]
	ds_write_b128 v9, v[13:16] offset:4224
.LBB192_18:
	s_andn2_saveexec_b64 s[10:11], s[4:5]
	s_cbranch_execz .LBB192_20
; %bb.19:
	s_lshl_b64 s[4:5], s[24:25], 7
	v_mov_b32_e32 v10, s5
	v_add_co_u32_e64 v9, s[4:5], s4, v2
	v_addc_co_u32_e64 v10, s[4:5], v3, v10, s[4:5]
	flat_load_dwordx4 v[13:16], v[9:10]
	s_movk_i32 s4, 0x1080
	v_add3_u32 v9, v5, v12, s4
	s_waitcnt vmcnt(0) lgkmcnt(0)
	ds_write2_b64 v9, v[13:14], v[15:16] offset1:1
.LBB192_20:
	s_or_b64 exec, exec, s[10:11]
	v_add_u32_e32 v9, 16, v11
	v_cmp_le_i32_e64 s[4:5], s28, v9
	s_and_saveexec_b64 s[10:11], s[4:5]
	s_xor_b64 s[4:5], exec, s[10:11]
	s_cbranch_execz .LBB192_22
; %bb.21:
	v_mov_b32_e32 v13, 0
	v_add_u32_e32 v9, v5, v12
	v_mov_b32_e32 v14, v13
	v_mov_b32_e32 v15, v13
	;; [unrolled: 1-line block ×3, first 2 shown]
	ds_write_b128 v9, v[13:16] offset:8448
.LBB192_22:
	s_andn2_saveexec_b64 s[10:11], s[4:5]
	s_cbranch_execz .LBB192_24
; %bb.23:
	s_lshl_b64 s[4:5], s[24:25], 8
	v_mov_b32_e32 v10, s5
	v_add_co_u32_e64 v9, s[4:5], s4, v2
	v_addc_co_u32_e64 v10, s[4:5], v3, v10, s[4:5]
	flat_load_dwordx4 v[13:16], v[9:10]
	s_movk_i32 s4, 0x2100
	v_add3_u32 v9, v5, v12, s4
	s_waitcnt vmcnt(0) lgkmcnt(0)
	ds_write2_b64 v9, v[13:14], v[15:16] offset1:1
.LBB192_24:
	s_or_b64 exec, exec, s[10:11]
	v_add_u32_e32 v9, 24, v11
	v_cmp_le_i32_e64 s[4:5], s28, v9
	s_and_saveexec_b64 s[10:11], s[4:5]
	s_xor_b64 s[4:5], exec, s[10:11]
	s_cbranch_execz .LBB192_26
; %bb.25:
	v_mov_b32_e32 v13, 0
	v_add_u32_e32 v5, v5, v12
	v_mov_b32_e32 v14, v13
	v_mov_b32_e32 v15, v13
	;; [unrolled: 1-line block ×3, first 2 shown]
	ds_write_b128 v5, v[13:16] offset:12672
                                        ; implicit-def: $vgpr5
.LBB192_26:
	s_andn2_saveexec_b64 s[4:5], s[4:5]
	s_cbranch_execz .LBB192_28
; %bb.27:
	v_mov_b32_e32 v9, 0x180
	v_mad_u64_u32 v[9:10], s[10:11], s24, v9, v[2:3]
	s_mul_i32 s10, s25, 0x180
	v_add_u32_e32 v10, s10, v10
	flat_load_dwordx4 v[13:16], v[9:10]
	s_movk_i32 s10, 0x3180
	v_add3_u32 v5, v5, v12, s10
	s_waitcnt vmcnt(0) lgkmcnt(0)
	ds_write2_b64 v5, v[13:14], v[15:16] offset1:1
.LBB192_28:
	s_or_b64 exec, exec, s[4:5]
	v_add_co_u32_e64 v2, s[4:5], v2, v4
	v_addc_co_u32_e64 v3, s[4:5], 0, v3, s[4:5]
	v_mov_b32_e32 v4, s9
	v_subrev_co_u32_e64 v2, s[4:5], s8, v2
	v_subb_co_u32_e64 v3, s[4:5], v3, v4, s[4:5]
	v_add_co_u32_e64 v2, s[4:5], 16, v2
	v_addc_co_u32_e64 v3, s[4:5], 0, v3, s[4:5]
	v_cndmask_b32_e32 v8, v3, v8, vcc
	v_cndmask_b32_e32 v7, v2, v7, vcc
.LBB192_29:
	v_lshlrev_b32_e32 v13, 2, v11
	v_lshl_or_b32 v4, v6, 9, v12
	v_cmp_lt_u32_e64 s[18:19], v13, v6
	s_waitcnt lgkmcnt(0)
	s_barrier
	s_and_saveexec_b64 s[4:5], s[18:19]
	s_cbranch_execz .LBB192_31
; %bb.30:
	s_movk_i32 s8, 0x840
	v_mad_u32_u24 v2, v11, s8, v12
	ds_read_b128 v[14:17], v2
	v_lshl_add_u32 v2, v13, 4, v4
	s_waitcnt lgkmcnt(0)
	ds_write_b128 v2, v[14:17]
.LBB192_31:
	s_or_b64 exec, exec, s[4:5]
	v_or_b32_e32 v2, 1, v13
	v_cmp_lt_u32_e64 s[8:9], v2, v6
	s_and_saveexec_b64 s[4:5], s[8:9]
	s_cbranch_execz .LBB192_33
; %bb.32:
	s_movk_i32 s10, 0x210
	v_mad_u32_u24 v3, v2, s10, v12
	ds_read_b128 v[14:17], v3
	v_lshl_add_u32 v3, v13, 4, v4
	s_waitcnt lgkmcnt(0)
	ds_write_b128 v3, v[14:17] offset:16
.LBB192_33:
	s_or_b64 exec, exec, s[4:5]
	v_or_b32_e32 v3, 2, v13
	v_cmp_lt_u32_e64 s[10:11], v3, v6
	s_and_saveexec_b64 s[4:5], s[10:11]
	s_cbranch_execz .LBB192_35
; %bb.34:
	s_movk_i32 s12, 0x210
	v_mad_u32_u24 v3, v3, s12, v12
	ds_read_b128 v[14:17], v3
	v_lshl_add_u32 v3, v13, 4, v4
	s_waitcnt lgkmcnt(0)
	ds_write_b128 v3, v[14:17] offset:32
.LBB192_35:
	s_or_b64 exec, exec, s[4:5]
	v_or_b32_e32 v5, 3, v13
	v_cmp_lt_u32_e64 s[12:13], v5, v6
	v_cmp_ge_u32_e32 vcc, v5, v6
                                        ; implicit-def: $vgpr3
	s_and_saveexec_b64 s[4:5], vcc
	s_xor_b64 s[4:5], exec, s[4:5]
; %bb.36:
	v_mul_u32_u24_e32 v3, 0x210, v5
                                        ; implicit-def: $vgpr4
                                        ; implicit-def: $vgpr5
; %bb.37:
	s_andn2_saveexec_b64 s[4:5], s[4:5]
	s_cbranch_execz .LBB192_39
; %bb.38:
	s_movk_i32 s14, 0x210
	v_mad_u32_u24 v3, v5, s14, v12
	ds_read_b128 v[14:17], v3
	v_lshl_add_u32 v4, v13, 4, v4
	v_mul_u32_u24_e32 v3, 0x210, v5
	s_waitcnt lgkmcnt(0)
	ds_write_b128 v4, v[14:17] offset:48
.LBB192_39:
	s_or_b64 exec, exec, s[4:5]
	s_movk_i32 s4, 0x840
	v_mad_u32_u24 v15, v11, s4, v12
	s_waitcnt lgkmcnt(0)
	s_barrier
	v_lshlrev_b32_e32 v18, 4, v13
	ds_read_b128 v[19:22], v15
	ds_read_b128 v[23:26], v18 offset:18176
	ds_read_b128 v[27:30], v18 offset:18192
	s_movk_i32 s29, 0x210
	v_mad_u32_u24 v17, v2, s29, v12
	ds_read_b128 v[31:34], v17
	s_waitcnt lgkmcnt(2)
	v_mul_f64 v[4:5], v[25:26], v[21:22]
	v_mul_f64 v[9:10], v[23:24], v[21:22]
	v_add_u32_e32 v16, v12, v3
	v_cmp_gt_u32_e64 s[4:5], 32, v44
	v_fma_f64 v[42:43], v[23:24], v[19:20], -v[4:5]
	ds_read_b128 v[21:24], v17 offset:528
	s_waitcnt lgkmcnt(1)
	v_mul_f64 v[49:50], v[29:30], v[33:34]
	v_mul_f64 v[51:52], v[27:28], v[33:34]
	v_fma_f64 v[9:10], v[25:26], v[19:20], v[9:10]
	ds_read_b128 v[2:5], v18 offset:18208
	ds_read_b128 v[33:36], v18 offset:18224
	ds_read_b128 v[45:48], v16
	s_waitcnt lgkmcnt(0)
	v_add_f64 v[19:20], v[42:43], 0
	s_barrier
	v_mul_f64 v[25:26], v[4:5], v[23:24]
	v_fma_f64 v[27:28], v[27:28], v[31:32], -v[49:50]
	v_fma_f64 v[29:30], v[29:30], v[31:32], v[51:52]
	v_mul_f64 v[23:24], v[2:3], v[23:24]
	v_add_f64 v[9:10], v[9:10], 0
	v_mul_f64 v[31:32], v[35:36], v[47:48]
	v_fma_f64 v[2:3], v[2:3], v[21:22], -v[25:26]
	v_add_f64 v[19:20], v[19:20], v[27:28]
	v_mul_f64 v[25:26], v[33:34], v[47:48]
	v_fma_f64 v[4:5], v[4:5], v[21:22], v[23:24]
	v_add_f64 v[9:10], v[9:10], v[29:30]
	v_fma_f64 v[21:22], v[33:34], v[45:46], -v[31:32]
	v_add_f64 v[19:20], v[19:20], v[2:3]
	v_fma_f64 v[23:24], v[35:36], v[45:46], v[25:26]
	v_mov_b32_e32 v2, 0
	v_add_f64 v[4:5], v[9:10], v[4:5]
	v_mul_u32_u24_e32 v9, 33, v6
	v_lshlrev_b32_e32 v45, 4, v9
	v_mov_b32_e32 v3, 0
	v_lshl_add_u32 v46, v11, 4, v45
	v_add_f64 v[19:20], v[19:20], v[21:22]
	v_add_f64 v[21:22], v[4:5], v[23:24]
	v_mov_b32_e32 v4, 0
	v_mov_b32_e32 v5, 0
	ds_write_b128 v46, v[19:22]
	s_waitcnt lgkmcnt(0)
	s_barrier
	s_and_saveexec_b64 s[14:15], s[4:5]
	s_cbranch_execz .LBB192_41
; %bb.40:
	ds_read_b128 v[2:5], v45
	ds_read_b128 v[19:22], v45 offset:16
	s_waitcnt lgkmcnt(0)
	v_add_f64 v[9:10], v[19:20], v[2:3]
	v_add_f64 v[23:24], v[21:22], v[4:5]
	ds_read_b128 v[2:5], v45 offset:32
	ds_read_b128 v[19:22], v45 offset:48
	s_waitcnt lgkmcnt(1)
	v_add_f64 v[2:3], v[9:10], v[2:3]
	v_add_f64 v[4:5], v[23:24], v[4:5]
	s_waitcnt lgkmcnt(0)
	v_add_f64 v[9:10], v[2:3], v[19:20]
	v_add_f64 v[23:24], v[4:5], v[21:22]
	ds_read_b128 v[2:5], v45 offset:64
	ds_read_b128 v[19:22], v45 offset:80
	s_waitcnt lgkmcnt(1)
	v_add_f64 v[2:3], v[9:10], v[2:3]
	v_add_f64 v[4:5], v[23:24], v[4:5]
	;; [unrolled: 8-line block ×3, first 2 shown]
	s_waitcnt lgkmcnt(0)
	v_add_f64 v[2:3], v[2:3], v[19:20]
	v_add_f64 v[4:5], v[4:5], v[21:22]
.LBB192_41:
	s_or_b64 exec, exec, s[14:15]
	s_lshl_b64 s[14:15], s[24:25], 9
	v_mov_b32_e32 v10, s15
	v_add_co_u32_e32 v9, vcc, s14, v7
	v_addc_co_u32_e32 v10, vcc, v8, v10, vcc
	v_add_co_u32_e32 v7, vcc, 0x200, v9
	v_addc_co_u32_e32 v8, vcc, 0, v10, vcc
	v_cndmask_b32_e64 v19, 0, 1, s[16:17]
	v_mad_u32_u24 v14, v11, s29, v12
	v_cmp_ne_u32_e64 s[14:15], 1, v19
	s_andn2_b64 vcc, exec, s[16:17]
	s_mov_b64 s[16:17], -1
	s_barrier
	s_cbranch_vccnz .LBB192_43
; %bb.42:
	flat_load_dwordx4 v[19:22], v[7:8]
	s_lshl_b64 s[16:17], s[24:25], 7
	v_mov_b32_e32 v25, s17
	v_add_co_u32_e32 v23, vcc, s16, v9
	v_addc_co_u32_e32 v24, vcc, v10, v25, vcc
	v_add_u32_e32 v26, 0x1080, v14
	s_waitcnt vmcnt(0) lgkmcnt(0)
	ds_write2_b64 v14, v[19:20], v[21:22] offset1:1
	flat_load_dwordx4 v[19:22], v[23:24] offset:512
	v_add_co_u32_e32 v23, vcc, s16, v23
	v_addc_co_u32_e32 v24, vcc, v24, v25, vcc
	s_waitcnt vmcnt(0) lgkmcnt(0)
	ds_write2_b64 v26, v[19:20], v[21:22] offset1:1
	flat_load_dwordx4 v[19:22], v[23:24] offset:512
	v_add_u32_e32 v26, 0x2100, v14
	v_add_co_u32_e32 v23, vcc, s16, v23
	v_addc_co_u32_e32 v24, vcc, v24, v25, vcc
	s_mov_b64 s[16:17], 0
	s_waitcnt vmcnt(0) lgkmcnt(0)
	ds_write2_b64 v26, v[19:20], v[21:22] offset1:1
	flat_load_dwordx4 v[19:22], v[23:24] offset:512
	v_add_u32_e32 v23, 0x3180, v14
	s_waitcnt vmcnt(0) lgkmcnt(0)
	ds_write2_b64 v23, v[19:20], v[21:22] offset1:1
.LBB192_43:
	s_andn2_b64 vcc, exec, s[16:17]
	s_cbranch_vccnz .LBB192_61
; %bb.44:
	v_lshlrev_b32_e32 v19, 4, v6
	v_sub_co_u32_e32 v9, vcc, v9, v19
	s_ashr_i32 s29, s28, 31
	v_subbrev_co_u32_e32 v10, vcc, 0, v10, vcc
	s_lshl_b64 s[38:39], s[28:29], 4
	v_mov_b32_e32 v21, s39
	v_add_co_u32_e32 v9, vcc, s38, v9
	v_addc_co_u32_e32 v10, vcc, v10, v21, vcc
	v_or_b32_e32 v20, 32, v6
	v_add_co_u32_e32 v9, vcc, -16, v9
	v_addc_co_u32_e32 v10, vcc, -1, v10, vcc
	v_cmp_gt_i32_e64 s[16:17], s28, v20
	s_sub_i32 s29, s28, 32
	v_cndmask_b32_e64 v10, v10, v8, s[16:17]
	v_cndmask_b32_e64 v9, v9, v7, s[16:17]
	v_cmp_le_i32_e32 vcc, s29, v11
	s_and_saveexec_b64 s[40:41], vcc
	s_xor_b64 s[40:41], exec, s[40:41]
; %bb.45:
	v_mov_b32_e32 v20, 0
	v_mov_b32_e32 v21, v20
	;; [unrolled: 1-line block ×4, first 2 shown]
	ds_write_b128 v14, v[20:23]
; %bb.46:
	s_andn2_saveexec_b64 s[40:41], s[40:41]
	s_cbranch_execz .LBB192_48
; %bb.47:
	flat_load_dwordx4 v[20:23], v[9:10]
	s_waitcnt vmcnt(0) lgkmcnt(0)
	ds_write2_b64 v14, v[20:21], v[22:23] offset1:1
.LBB192_48:
	s_or_b64 exec, exec, s[40:41]
	v_add_u32_e32 v21, 8, v11
	v_mul_u32_u24_e32 v20, 0x210, v11
	v_cmp_le_i32_e32 vcc, s29, v21
	s_and_saveexec_b64 s[40:41], vcc
	s_xor_b64 s[40:41], exec, s[40:41]
	s_cbranch_execz .LBB192_50
; %bb.49:
	v_mov_b32_e32 v21, 0
	v_add_u32_e32 v25, v20, v12
	v_mov_b32_e32 v22, v21
	v_mov_b32_e32 v23, v21
	;; [unrolled: 1-line block ×3, first 2 shown]
	ds_write_b128 v25, v[21:24] offset:4224
.LBB192_50:
	s_andn2_saveexec_b64 s[40:41], s[40:41]
	s_cbranch_execz .LBB192_52
; %bb.51:
	s_lshl_b64 s[42:43], s[24:25], 7
	v_mov_b32_e32 v22, s43
	v_add_co_u32_e32 v21, vcc, s42, v9
	v_addc_co_u32_e32 v22, vcc, v10, v22, vcc
	flat_load_dwordx4 v[21:24], v[21:22]
	s_movk_i32 s42, 0x1080
	v_add3_u32 v25, v20, v12, s42
	s_waitcnt vmcnt(0) lgkmcnt(0)
	ds_write2_b64 v25, v[21:22], v[23:24] offset1:1
.LBB192_52:
	s_or_b64 exec, exec, s[40:41]
	v_add_u32_e32 v21, 16, v11
	v_cmp_le_i32_e32 vcc, s29, v21
	s_and_saveexec_b64 s[40:41], vcc
	s_xor_b64 s[40:41], exec, s[40:41]
	s_cbranch_execz .LBB192_54
; %bb.53:
	v_mov_b32_e32 v21, 0
	v_add_u32_e32 v25, v20, v12
	v_mov_b32_e32 v22, v21
	v_mov_b32_e32 v23, v21
	;; [unrolled: 1-line block ×3, first 2 shown]
	ds_write_b128 v25, v[21:24] offset:8448
.LBB192_54:
	s_andn2_saveexec_b64 s[40:41], s[40:41]
	s_cbranch_execz .LBB192_56
; %bb.55:
	s_lshl_b64 s[42:43], s[24:25], 8
	v_mov_b32_e32 v22, s43
	v_add_co_u32_e32 v21, vcc, s42, v9
	v_addc_co_u32_e32 v22, vcc, v10, v22, vcc
	flat_load_dwordx4 v[21:24], v[21:22]
	s_movk_i32 s42, 0x2100
	v_add3_u32 v25, v20, v12, s42
	s_waitcnt vmcnt(0) lgkmcnt(0)
	ds_write2_b64 v25, v[21:22], v[23:24] offset1:1
.LBB192_56:
	s_or_b64 exec, exec, s[40:41]
	v_add_u32_e32 v21, 24, v11
	v_cmp_le_i32_e32 vcc, s29, v21
	s_and_saveexec_b64 s[40:41], vcc
	s_xor_b64 s[40:41], exec, s[40:41]
	s_cbranch_execz .LBB192_58
; %bb.57:
	v_add_u32_e32 v24, v20, v12
	v_mov_b32_e32 v20, 0
	v_mov_b32_e32 v21, v20
	;; [unrolled: 1-line block ×4, first 2 shown]
	ds_write_b128 v24, v[20:23] offset:12672
                                        ; implicit-def: $vgpr20
.LBB192_58:
	s_andn2_saveexec_b64 s[40:41], s[40:41]
	s_cbranch_execz .LBB192_60
; %bb.59:
	v_mov_b32_e32 v21, 0x180
	v_mad_u64_u32 v[21:22], s[42:43], s24, v21, v[9:10]
	s_mul_i32 s29, s25, 0x180
	v_add_u32_e32 v22, s29, v22
	flat_load_dwordx4 v[21:24], v[21:22]
	s_movk_i32 s29, 0x3180
	v_add3_u32 v20, v20, v12, s29
	s_waitcnt vmcnt(0) lgkmcnt(0)
	ds_write2_b64 v20, v[21:22], v[23:24] offset1:1
.LBB192_60:
	s_or_b64 exec, exec, s[40:41]
	v_add_co_u32_e32 v9, vcc, v9, v19
	v_addc_co_u32_e32 v10, vcc, 0, v10, vcc
	v_mov_b32_e32 v19, s39
	v_subrev_co_u32_e32 v9, vcc, s38, v9
	v_subb_co_u32_e32 v10, vcc, v10, v19, vcc
	v_add_co_u32_e32 v9, vcc, 0x210, v9
	v_addc_co_u32_e32 v10, vcc, 0, v10, vcc
	v_cndmask_b32_e64 v8, v10, v8, s[16:17]
	v_cndmask_b32_e64 v7, v9, v7, s[16:17]
.LBB192_61:
	v_add_u32_e32 v9, 0x4700, v18
	v_add_u32_e32 v10, 0x210, v17
	s_lshl_b64 s[16:17], s[24:25], 5
	s_waitcnt lgkmcnt(0)
	s_barrier
	s_and_saveexec_b64 s[38:39], s[18:19]
	s_cbranch_execnz .LBB192_70
; %bb.62:
	s_or_b64 exec, exec, s[38:39]
	s_and_saveexec_b64 s[18:19], s[8:9]
	s_cbranch_execnz .LBB192_71
.LBB192_63:
	s_or_b64 exec, exec, s[18:19]
	s_and_saveexec_b64 s[8:9], s[10:11]
	s_cbranch_execnz .LBB192_72
.LBB192_64:
	s_or_b64 exec, exec, s[8:9]
	s_and_saveexec_b64 s[8:9], s[12:13]
	s_cbranch_execz .LBB192_66
.LBB192_65:
	ds_read_b128 v[18:21], v16
	v_lshl_add_u32 v22, v13, 4, v45
	s_waitcnt lgkmcnt(0)
	ds_write_b128 v22, v[18:21] offset:48
.LBB192_66:
	s_or_b64 exec, exec, s[8:9]
	s_waitcnt lgkmcnt(0)
	s_barrier
	ds_read_b128 v[18:21], v9 offset:512
	ds_read_b128 v[22:25], v15
	v_cmp_eq_u32_e64 s[10:11], 1, v11
	s_waitcnt lgkmcnt(0)
	v_mul_f64 v[36:37], v[20:21], v[24:25]
	v_mul_f64 v[42:43], v[18:19], v[24:25]
	ds_read_b128 v[24:27], v17
	ds_read_b128 v[28:31], v9 offset:528
	ds_read_b128 v[32:35], v9 offset:544
	ds_read_b128 v[47:50], v10
	s_waitcnt lgkmcnt(2)
	v_mul_f64 v[55:56], v[30:31], v[26:27]
	v_mul_f64 v[26:27], v[28:29], v[26:27]
	v_fma_f64 v[36:37], v[18:19], v[22:23], -v[36:37]
	v_fma_f64 v[21:22], v[20:21], v[22:23], v[42:43]
	ds_read_b128 v[17:20], v9 offset:560
	ds_read_b128 v[51:54], v16
	s_waitcnt lgkmcnt(2)
	v_mul_f64 v[15:16], v[34:35], v[49:50]
	v_mul_f64 v[42:43], v[32:33], v[49:50]
	v_fma_f64 v[28:29], v[28:29], v[24:25], -v[55:56]
	v_fma_f64 v[23:24], v[30:31], v[24:25], v[26:27]
	s_waitcnt lgkmcnt(0)
	v_mul_f64 v[30:31], v[19:20], v[53:54]
	v_add_f64 v[25:26], v[36:37], 0
	v_add_f64 v[21:22], v[21:22], 0
	v_mul_f64 v[36:37], v[17:18], v[53:54]
	v_fma_f64 v[15:16], v[32:33], v[47:48], -v[15:16]
	v_fma_f64 v[32:33], v[34:35], v[47:48], v[42:43]
	s_barrier
	v_fma_f64 v[17:18], v[17:18], v[51:52], -v[30:31]
	v_add_f64 v[25:26], v[25:26], v[28:29]
	v_add_f64 v[21:22], v[21:22], v[23:24]
	v_fma_f64 v[19:20], v[19:20], v[51:52], v[36:37]
	v_add_f64 v[15:16], v[25:26], v[15:16]
	v_add_f64 v[21:22], v[21:22], v[32:33]
	;; [unrolled: 1-line block ×4, first 2 shown]
	ds_write_b128 v46, v[15:18]
	s_waitcnt lgkmcnt(0)
	s_barrier
	s_and_saveexec_b64 s[8:9], s[10:11]
	s_cbranch_execz .LBB192_68
; %bb.67:
	ds_read_b128 v[2:5], v45
	ds_read_b128 v[15:18], v45 offset:16
	s_waitcnt lgkmcnt(0)
	v_add_f64 v[19:20], v[15:16], v[2:3]
	v_add_f64 v[21:22], v[17:18], v[4:5]
	ds_read_b128 v[2:5], v45 offset:32
	ds_read_b128 v[15:18], v45 offset:48
	s_waitcnt lgkmcnt(1)
	v_add_f64 v[2:3], v[19:20], v[2:3]
	v_add_f64 v[4:5], v[21:22], v[4:5]
	s_waitcnt lgkmcnt(0)
	v_add_f64 v[19:20], v[2:3], v[15:16]
	v_add_f64 v[21:22], v[4:5], v[17:18]
	ds_read_b128 v[2:5], v45 offset:64
	ds_read_b128 v[15:18], v45 offset:80
	s_waitcnt lgkmcnt(1)
	v_add_f64 v[2:3], v[19:20], v[2:3]
	v_add_f64 v[4:5], v[21:22], v[4:5]
	;; [unrolled: 8-line block ×3, first 2 shown]
	s_waitcnt lgkmcnt(0)
	v_add_f64 v[2:3], v[2:3], v[15:16]
	v_add_f64 v[4:5], v[4:5], v[17:18]
.LBB192_68:
	s_or_b64 exec, exec, s[8:9]
	s_lshl_b64 s[8:9], s[16:17], 4
	v_mov_b32_e32 v10, s9
	v_subrev_co_u32_e64 v42, s[8:9], s8, v7
	s_and_b64 vcc, exec, s[14:15]
	v_subb_co_u32_e64 v43, s[8:9], v8, v10, s[8:9]
	s_barrier
	s_cbranch_vccnz .LBB192_73
; %bb.69:
	flat_load_dwordx4 v[15:18], v[42:43]
	s_lshl_b64 s[8:9], s[24:25], 7
	v_mov_b32_e32 v21, s9
	v_add_co_u32_e32 v7, vcc, s8, v42
	v_addc_co_u32_e32 v8, vcc, v43, v21, vcc
	v_add_u32_e32 v10, 8, v11
	s_movk_i32 s9, 0x210
	v_mad_u32_u24 v22, v10, s9, v12
	v_add_co_u32_e32 v19, vcc, s8, v7
	v_addc_co_u32_e32 v20, vcc, v8, v21, vcc
	s_waitcnt vmcnt(0) lgkmcnt(0)
	ds_write2_b64 v14, v[15:16], v[17:18] offset1:1
	flat_load_dwordx4 v[15:18], v[7:8]
	v_mov_b32_e32 v7, 0x1080
	v_mad_u32_u24 v7, v10, s9, v7
	v_add_u32_e32 v8, v12, v7
	s_waitcnt vmcnt(0) lgkmcnt(0)
	ds_write2_b64 v22, v[15:16], v[17:18] offset1:1
	flat_load_dwordx4 v[15:18], v[19:20]
	v_add_co_u32_e32 v19, vcc, s8, v19
	v_addc_co_u32_e32 v20, vcc, v20, v21, vcc
	s_waitcnt vmcnt(0) lgkmcnt(0)
	ds_write2_b64 v8, v[15:16], v[17:18] offset1:1
	flat_load_dwordx4 v[18:21], v[19:20]
	v_mov_b32_e32 v17, 0x2100
	v_mad_u32_u24 v17, v10, s9, v17
	v_add_u32_e32 v16, 16, v11
	v_add_u32_e32 v15, 24, v11
	v_mul_u32_u24_e32 v8, 0x210, v10
	v_add_u32_e32 v22, v12, v17
	s_waitcnt vmcnt(0) lgkmcnt(0)
	ds_write2_b64 v22, v[18:19], v[20:21] offset1:1
	s_cbranch_execz .LBB192_74
	s_branch .LBB192_91
.LBB192_70:
	ds_read_b128 v[18:21], v15
	v_lshl_add_u32 v22, v13, 4, v45
	s_waitcnt lgkmcnt(0)
	ds_write_b128 v22, v[18:21]
	s_or_b64 exec, exec, s[38:39]
	s_and_saveexec_b64 s[18:19], s[8:9]
	s_cbranch_execz .LBB192_63
.LBB192_71:
	ds_read_b128 v[18:21], v17
	v_lshl_add_u32 v22, v13, 4, v45
	s_waitcnt lgkmcnt(0)
	ds_write_b128 v22, v[18:21] offset:16
	s_or_b64 exec, exec, s[18:19]
	s_and_saveexec_b64 s[8:9], s[10:11]
	s_cbranch_execz .LBB192_64
.LBB192_72:
	ds_read_b128 v[18:21], v10
	v_lshl_add_u32 v22, v13, 4, v45
	s_waitcnt lgkmcnt(0)
	ds_write_b128 v22, v[18:21] offset:32
	s_or_b64 exec, exec, s[8:9]
	s_and_saveexec_b64 s[8:9], s[12:13]
	s_cbranch_execnz .LBB192_65
	s_branch .LBB192_66
.LBB192_73:
                                        ; implicit-def: $vgpr10
                                        ; implicit-def: $vgpr8
                                        ; implicit-def: $vgpr16
                                        ; implicit-def: $vgpr7
                                        ; implicit-def: $vgpr15
                                        ; implicit-def: $vgpr17
.LBB192_74:
	v_or_b32_e32 v7, 32, v6
	v_lshlrev_b32_e32 v8, 4, v7
	v_sub_co_u32_e32 v8, vcc, v42, v8
	s_ashr_i32 s29, s28, 31
	v_subbrev_co_u32_e32 v10, vcc, 0, v43, vcc
	s_lshl_b64 s[12:13], s[28:29], 4
	v_mov_b32_e32 v15, s13
	v_add_co_u32_e32 v8, vcc, s12, v8
	v_addc_co_u32_e32 v10, vcc, v10, v15, vcc
	v_add_co_u32_e32 v15, vcc, -16, v8
	v_addc_co_u32_e32 v8, vcc, -1, v10, vcc
	v_cmp_gt_i32_e64 s[8:9], s28, v7
	v_cndmask_b32_e64 v8, v8, v43, s[8:9]
	v_cndmask_b32_e64 v7, v15, v42, s[8:9]
	v_cmp_le_i32_e32 vcc, s28, v11
	s_and_saveexec_b64 s[14:15], vcc
	s_xor_b64 s[14:15], exec, s[14:15]
; %bb.75:
	v_mov_b32_e32 v15, 0
	v_mov_b32_e32 v16, v15
	;; [unrolled: 1-line block ×4, first 2 shown]
	ds_write_b128 v14, v[15:18]
; %bb.76:
	s_andn2_saveexec_b64 s[14:15], s[14:15]
	s_cbranch_execz .LBB192_78
; %bb.77:
	flat_load_dwordx4 v[15:18], v[7:8]
	s_waitcnt vmcnt(0) lgkmcnt(0)
	ds_write2_b64 v14, v[15:16], v[17:18] offset1:1
.LBB192_78:
	s_or_b64 exec, exec, s[14:15]
	v_add_u32_e32 v10, 8, v11
	v_cmp_le_i32_e32 vcc, s28, v10
	s_and_saveexec_b64 s[14:15], vcc
	s_xor_b64 s[14:15], exec, s[14:15]
	s_cbranch_execz .LBB192_80
; %bb.79:
	s_movk_i32 s16, 0x210
	v_mov_b32_e32 v15, 0
	v_mad_u32_u24 v19, v10, s16, v12
	v_mov_b32_e32 v16, v15
	v_mov_b32_e32 v17, v15
	;; [unrolled: 1-line block ×3, first 2 shown]
	ds_write_b128 v19, v[15:18]
.LBB192_80:
	s_andn2_saveexec_b64 s[14:15], s[14:15]
	s_cbranch_execz .LBB192_82
; %bb.81:
	s_lshl_b64 s[16:17], s[24:25], 7
	v_mov_b32_e32 v16, s17
	v_add_co_u32_e32 v15, vcc, s16, v7
	v_addc_co_u32_e32 v16, vcc, v8, v16, vcc
	flat_load_dwordx4 v[15:18], v[15:16]
	s_movk_i32 s16, 0x210
	v_mad_u32_u24 v19, v10, s16, v12
	s_waitcnt vmcnt(0) lgkmcnt(0)
	ds_write2_b64 v19, v[15:16], v[17:18] offset1:1
.LBB192_82:
	s_or_b64 exec, exec, s[14:15]
	v_add_u32_e32 v16, 16, v11
	v_cmp_le_i32_e32 vcc, s28, v16
	s_and_saveexec_b64 s[14:15], vcc
	s_xor_b64 s[14:15], exec, s[14:15]
	s_cbranch_execz .LBB192_84
; %bb.83:
	s_movk_i32 s16, 0x210
	v_mov_b32_e32 v17, 0
	v_mad_u32_u24 v15, v16, s16, v12
	v_mov_b32_e32 v18, v17
	v_mov_b32_e32 v19, v17
	;; [unrolled: 1-line block ×3, first 2 shown]
	ds_write_b128 v15, v[17:20]
.LBB192_84:
	s_andn2_saveexec_b64 s[14:15], s[14:15]
	s_cbranch_execz .LBB192_86
; %bb.85:
	s_lshl_b64 s[16:17], s[24:25], 8
	v_mov_b32_e32 v15, s17
	v_add_co_u32_e32 v17, vcc, s16, v7
	v_addc_co_u32_e32 v18, vcc, v8, v15, vcc
	flat_load_dwordx4 v[17:20], v[17:18]
	s_movk_i32 s16, 0x210
	v_mad_u32_u24 v15, v16, s16, v12
	s_waitcnt vmcnt(0) lgkmcnt(0)
	ds_write2_b64 v15, v[17:18], v[19:20] offset1:1
.LBB192_86:
	s_or_b64 exec, exec, s[14:15]
	v_add_u32_e32 v15, 24, v11
	v_cmp_le_i32_e32 vcc, s28, v15
                                        ; implicit-def: $vgpr17
	s_and_saveexec_b64 s[14:15], vcc
	s_xor_b64 s[14:15], exec, s[14:15]
	s_cbranch_execz .LBB192_88
; %bb.87:
	s_movk_i32 s16, 0x210
	v_mov_b32_e32 v18, 0
	v_mul_u32_u24_e32 v17, 0x210, v15
	v_mad_u32_u24 v22, v15, s16, v12
	v_mov_b32_e32 v19, v18
	v_mov_b32_e32 v20, v18
	;; [unrolled: 1-line block ×3, first 2 shown]
	ds_write_b128 v22, v[18:21]
.LBB192_88:
	s_andn2_saveexec_b64 s[14:15], s[14:15]
	s_cbranch_execz .LBB192_90
; %bb.89:
	v_mov_b32_e32 v17, 0x180
	v_mad_u64_u32 v[17:18], s[16:17], s24, v17, v[7:8]
	s_mul_i32 s16, s25, 0x180
	v_add_u32_e32 v18, s16, v18
	flat_load_dwordx4 v[18:21], v[17:18]
	s_movk_i32 s16, 0x210
	v_mul_u32_u24_e32 v17, 0x210, v15
	v_mad_u32_u24 v22, v15, s16, v12
	s_waitcnt vmcnt(0) lgkmcnt(0)
	ds_write2_b64 v22, v[18:19], v[20:21] offset1:1
.LBB192_90:
	s_or_b64 exec, exec, s[14:15]
	v_lshlrev_b32_e32 v6, 4, v6
	v_add_co_u32_e32 v6, vcc, v7, v6
	v_addc_co_u32_e32 v7, vcc, 0, v8, vcc
	v_mov_b32_e32 v8, s13
	v_subrev_co_u32_e32 v6, vcc, s12, v6
	v_subb_co_u32_e32 v7, vcc, v7, v8, vcc
	v_add_co_u32_e32 v6, vcc, 0x210, v6
	s_movk_i32 s12, 0x210
	v_addc_co_u32_e32 v7, vcc, 0, v7, vcc
	v_cndmask_b32_e64 v42, v6, v42, s[8:9]
	v_mov_b32_e32 v6, 0x1080
	v_cndmask_b32_e64 v43, v7, v43, s[8:9]
	v_mul_u32_u24_e32 v8, 0x210, v10
	v_mad_u32_u24 v7, v10, s12, v6
.LBB192_91:
	v_lshlrev_b32_e32 v6, 4, v11
	s_waitcnt lgkmcnt(0)
	s_barrier
	ds_read_b128 v[18:21], v6 offset:18176
	ds_read_b128 v[22:25], v14
	v_add_u32_e32 v6, v12, v8
	v_lshlrev_b32_e32 v8, 4, v10
	ds_read_b128 v[26:29], v8 offset:18176
	ds_read_b128 v[30:33], v6
	v_add_u32_e32 v6, v12, v7
	v_lshlrev_b32_e32 v7, 4, v16
	s_waitcnt lgkmcnt(2)
	v_mul_f64 v[10:11], v[20:21], v[24:25]
	ds_read_b128 v[34:37], v7 offset:18176
	ds_read_b128 v[47:50], v6
	v_mul_f64 v[6:7], v[18:19], v[24:25]
	s_waitcnt lgkmcnt(2)
	v_mul_f64 v[51:52], v[28:29], v[32:33]
	v_mul_f64 v[32:33], v[26:27], v[32:33]
	v_add_u32_e32 v8, v12, v17
	s_waitcnt lgkmcnt(0)
	v_mul_f64 v[24:25], v[36:37], v[49:50]
	v_lshlrev_b32_e32 v12, 4, v15
	v_fma_f64 v[10:11], v[18:19], v[22:23], -v[10:11]
	v_fma_f64 v[6:7], v[20:21], v[22:23], v[6:7]
	v_fma_f64 v[26:27], v[26:27], v[30:31], -v[51:52]
	v_fma_f64 v[22:23], v[28:29], v[30:31], v[32:33]
	v_mul_f64 v[28:29], v[34:35], v[49:50]
	ds_read_b128 v[14:17], v12 offset:18176
	ds_read2_b64 v[18:21], v8 offset1:1
	v_fma_f64 v[24:25], v[34:35], v[47:48], -v[24:25]
	v_add_f64 v[10:11], v[10:11], 0
	v_lshl_add_u32 v51, v13, 4, v45
	v_add_f64 v[6:7], v[6:7], 0
	v_fma_f64 v[28:29], v[36:37], v[47:48], v[28:29]
	v_add_f64 v[10:11], v[10:11], v[26:27]
	s_waitcnt lgkmcnt(0)
	v_mul_f64 v[26:27], v[16:17], v[20:21]
	v_mul_f64 v[20:21], v[14:15], v[20:21]
	v_add_f64 v[6:7], v[6:7], v[22:23]
	v_fma_f64 v[14:15], v[14:15], v[18:19], -v[26:27]
	v_fma_f64 v[16:17], v[16:17], v[18:19], v[20:21]
	v_add_f64 v[18:19], v[10:11], v[24:25]
	v_add_f64 v[20:21], v[6:7], v[28:29]
	ds_read_b128 v[30:33], v9 offset:512
	ds_read_b128 v[22:25], v9 offset:528
	ds_read_b128 v[10:13], v9 offset:544
	ds_read_b128 v[6:9], v9 offset:560
	v_add_f64 v[47:48], v[18:19], v[14:15]
	v_add_f64 v[49:50], v[20:21], v[16:17]
	ds_read_b128 v[34:37], v51
	ds_read_b128 v[26:29], v51 offset:16
	ds_read_b128 v[18:21], v51 offset:32
	;; [unrolled: 1-line block ×3, first 2 shown]
	s_waitcnt lgkmcnt(0)
	s_barrier
	ds_write_b128 v46, v[47:50]
	s_waitcnt lgkmcnt(0)
	s_barrier
	s_and_saveexec_b64 s[8:9], s[10:11]
	s_cbranch_execz .LBB192_93
; %bb.92:
	ds_read_b128 v[47:50], v45
	ds_read_b128 v[51:54], v45 offset:16
	s_waitcnt lgkmcnt(1)
	v_add_f64 v[2:3], v[2:3], v[47:48]
	v_add_f64 v[4:5], v[4:5], v[49:50]
	s_waitcnt lgkmcnt(0)
	v_add_f64 v[51:52], v[2:3], v[51:52]
	v_add_f64 v[53:54], v[4:5], v[53:54]
	ds_read_b128 v[2:5], v45 offset:32
	ds_read_b128 v[47:50], v45 offset:48
	s_waitcnt lgkmcnt(1)
	v_add_f64 v[2:3], v[51:52], v[2:3]
	v_add_f64 v[4:5], v[53:54], v[4:5]
	s_waitcnt lgkmcnt(0)
	v_add_f64 v[51:52], v[2:3], v[47:48]
	v_add_f64 v[53:54], v[4:5], v[49:50]
	ds_read_b128 v[2:5], v45 offset:64
	ds_read_b128 v[47:50], v45 offset:80
	s_waitcnt lgkmcnt(1)
	v_add_f64 v[2:3], v[51:52], v[2:3]
	v_add_f64 v[4:5], v[53:54], v[4:5]
	s_waitcnt lgkmcnt(0)
	v_add_f64 v[51:52], v[2:3], v[47:48]
	v_add_f64 v[53:54], v[4:5], v[49:50]
	ds_read_b128 v[2:5], v45 offset:96
	ds_read_b128 v[47:50], v45 offset:112
	s_waitcnt lgkmcnt(1)
	v_add_f64 v[2:3], v[51:52], v[2:3]
	v_add_f64 v[4:5], v[53:54], v[4:5]
	s_waitcnt lgkmcnt(0)
	v_add_f64 v[2:3], v[2:3], v[47:48]
	v_add_f64 v[4:5], v[4:5], v[49:50]
.LBB192_93:
	s_or_b64 exec, exec, s[8:9]
	v_mul_f64 v[47:48], v[36:37], v[32:33]
	v_mul_f64 v[32:33], v[34:35], v[32:33]
	;; [unrolled: 1-line block ×4, first 2 shown]
	s_barrier
	v_fma_f64 v[34:35], v[34:35], v[30:31], -v[47:48]
	v_fma_f64 v[30:31], v[36:37], v[30:31], v[32:33]
	v_mul_f64 v[32:33], v[20:21], v[12:13]
	v_mul_f64 v[12:13], v[18:19], v[12:13]
	v_fma_f64 v[26:27], v[26:27], v[22:23], -v[49:50]
	v_fma_f64 v[22:23], v[28:29], v[22:23], v[24:25]
	v_add_f64 v[24:25], v[34:35], 0
	v_add_f64 v[28:29], v[30:31], 0
	v_mul_f64 v[30:31], v[16:17], v[8:9]
	v_mul_f64 v[8:9], v[14:15], v[8:9]
	v_fma_f64 v[18:19], v[18:19], v[10:11], -v[32:33]
	v_fma_f64 v[10:11], v[20:21], v[10:11], v[12:13]
	v_add_f64 v[12:13], v[24:25], v[26:27]
	v_add_f64 v[20:21], v[28:29], v[22:23]
	v_fma_f64 v[14:15], v[14:15], v[6:7], -v[30:31]
	v_fma_f64 v[8:9], v[16:17], v[6:7], v[8:9]
	v_add_f64 v[6:7], v[12:13], v[18:19]
	v_add_f64 v[10:11], v[20:21], v[10:11]
	;; [unrolled: 1-line block ×4, first 2 shown]
	ds_write_b128 v46, v[6:9]
	s_waitcnt lgkmcnt(0)
	s_barrier
	s_and_saveexec_b64 s[8:9], s[4:5]
	s_cbranch_execz .LBB192_95
; %bb.94:
	ds_read_b128 v[6:9], v45
	ds_read_b128 v[10:13], v45 offset:16
	s_waitcnt lgkmcnt(1)
	v_add_f64 v[2:3], v[2:3], v[6:7]
	v_add_f64 v[4:5], v[4:5], v[8:9]
	s_waitcnt lgkmcnt(0)
	v_add_f64 v[10:11], v[2:3], v[10:11]
	v_add_f64 v[12:13], v[4:5], v[12:13]
	ds_read_b128 v[2:5], v45 offset:32
	ds_read_b128 v[6:9], v45 offset:48
	s_waitcnt lgkmcnt(1)
	v_add_f64 v[2:3], v[10:11], v[2:3]
	v_add_f64 v[4:5], v[12:13], v[4:5]
	s_waitcnt lgkmcnt(0)
	v_add_f64 v[10:11], v[2:3], v[6:7]
	v_add_f64 v[12:13], v[4:5], v[8:9]
	ds_read_b128 v[2:5], v45 offset:64
	;; [unrolled: 8-line block ×3, first 2 shown]
	ds_read_b128 v[6:9], v45 offset:112
	s_waitcnt lgkmcnt(1)
	v_add_f64 v[2:3], v[10:11], v[2:3]
	v_add_f64 v[4:5], v[12:13], v[4:5]
	s_waitcnt lgkmcnt(0)
	v_add_f64 v[2:3], v[2:3], v[6:7]
	v_add_f64 v[4:5], v[4:5], v[8:9]
.LBB192_95:
	s_or_b64 exec, exec, s[8:9]
	s_mul_hi_u32 s4, s23, s22
	s_mul_i32 s33, s33, s22
	s_add_i32 s4, s4, s33
	s_mul_i32 s8, s23, s22
	s_mul_i32 s4, s4, s7
	s_mul_hi_u32 s5, s8, s7
	s_add_i32 s5, s5, s4
	s_mul_i32 s4, s8, s7
	s_lshl_b64 s[4:5], s[4:5], 4
	s_add_u32 s7, s26, s4
	s_mul_i32 s4, s23, s6
	s_addc_u32 s8, s27, s5
	s_ashr_i32 s5, s4, 31
	s_lshl_b64 s[4:5], s[4:5], 4
	s_add_u32 s7, s7, s4
	v_cmp_le_i32_e32 vcc, s28, v0
	s_addc_u32 s14, s8, s5
	s_and_b64 vcc, s[36:37], vcc
	s_cmp_lt_i32 s6, 1
	v_lshlrev_b32_e32 v148, 4, v0
	s_barrier
	s_cbranch_scc1 .LBB192_102
; %bb.96:
	s_mul_i32 s4, s20, s31
	s_mul_hi_u32 s5, s20, s30
	s_add_i32 s4, s5, s4
	s_mul_i32 s5, s21, s30
	s_add_i32 s5, s4, s5
	s_mul_i32 s4, s20, s30
	s_lshl_b64 s[4:5], s[4:5], 4
	v_mov_b32_e32 v6, s5
	v_subrev_co_u32_e64 v149, s[4:5], s4, v38
	v_subb_co_u32_e64 v150, s[4:5], v39, v6, s[4:5]
	v_mov_b32_e32 v6, s35
	v_subrev_co_u32_e64 v8, s[4:5], s34, v42
	v_lshlrev_b32_e32 v11, 2, v1
	v_subb_co_u32_e64 v10, s[4:5], v43, v6, s[4:5]
	v_mad_u64_u32 v[6:7], s[4:5], s24, v11, 0
	s_movk_i32 s8, 0xfe00
	v_add_co_u32_e64 v13, s[4:5], s8, v8
	v_addc_co_u32_e64 v10, s[4:5], -1, v10, s[4:5]
	v_mad_u64_u32 v[7:8], s[4:5], s25, v11, v[7:8]
	v_sub_co_u32_e64 v8, s[4:5], v13, v40
	v_lshlrev_b64 v[6:7], 4, v[6:7]
	v_subb_co_u32_e64 v10, s[4:5], v10, v41, s[4:5]
	v_add_co_u32_e64 v6, s[4:5], v8, v6
	v_addc_co_u32_e64 v7, s[4:5], v10, v7, s[4:5]
	s_ashr_i32 s29, s28, 31
	s_lshl_b64 s[4:5], s[28:29], 4
	v_mov_b32_e32 v8, s5
	v_add_co_u32_e64 v10, s[4:5], s4, v6
	v_addc_co_u32_e64 v8, s[4:5], v7, v8, s[4:5]
	v_add_co_u32_e64 v10, s[4:5], -16, v10
	v_addc_co_u32_e64 v8, s[4:5], -1, v8, s[4:5]
	v_add_co_u32_e64 v6, s[4:5], v6, v148
	v_addc_co_u32_e64 v7, s[4:5], 0, v7, s[4:5]
	v_cndmask_b32_e32 v11, v7, v8, vcc
	v_and_b32_e32 v7, 48, v0
	v_lshrrev_b32_e32 v9, 4, v44
	v_and_b32_e32 v12, 15, v0
	v_cndmask_b32_e32 v10, v6, v10, vcc
	v_mov_b32_e32 v6, 0x4300
	s_movk_i32 s8, 0x430
	v_lshlrev_b32_e32 v7, 4, v7
	v_lshl_add_u32 v152, v1, 6, v6
	v_lshlrev_b32_e32 v6, 6, v9
	v_mad_u32_u24 v156, v12, s8, v7
	v_or_b32_e32 v7, 0xf0, v148
	v_mad_u32_u24 v155, v12, s8, v6
	v_mad_u32_u24 v157, v12, s8, v7
	s_mul_i32 s8, s25, 0xd0
	s_mul_hi_u32 s9, s24, 0xd0
	s_movk_i32 s4, 0x10c0
	v_mul_i32_i24_e32 v6, 0xffffffd0, v9
	s_lshl_b64 s[10:11], s[24:25], 4
	s_add_i32 s15, s9, s8
	v_mov_b32_e32 v145, 0
	v_add_u32_e32 v151, 0x4300, v148
	v_add_u32_e32 v153, 0x4700, v148
	v_mad_u32_u24 v154, v1, s4, v148
	v_cmp_gt_u32_e64 s[4:5], 64, v44
	s_mul_i32 s16, s24, 0xd0
	s_mov_b32 s17, 0
	v_mov_b32_e32 v158, s11
	v_mov_b32_e32 v159, s15
	v_add_u32_e32 v160, v155, v6
	s_branch .LBB192_98
.LBB192_97:                             ;   in Loop: Header=BB192_98 Depth=1
	s_or_b64 exec, exec, s[12:13]
	v_mul_f64 v[86:87], v[8:9], v[36:37]
	v_mul_f64 v[36:37], v[6:7], v[36:37]
	;; [unrolled: 1-line block ×4, first 2 shown]
	s_add_i32 s17, s17, 64
	s_add_i32 s6, s6, -1
	s_cmp_eq_u32 s6, 0
	v_fma_f64 v[6:7], v[6:7], v[34:35], -v[86:87]
	v_fma_f64 v[8:9], v[8:9], v[34:35], v[36:37]
	v_mul_f64 v[34:35], v[16:17], v[28:29]
	v_mul_f64 v[28:29], v[14:15], v[28:29]
	v_fma_f64 v[18:19], v[18:19], v[30:31], -v[88:89]
	v_fma_f64 v[20:21], v[20:21], v[30:31], v[32:33]
	s_waitcnt vmcnt(0)
	s_barrier
	v_add_f64 v[2:3], v[2:3], v[6:7]
	v_add_f64 v[4:5], v[4:5], v[8:9]
	v_mul_f64 v[6:7], v[12:13], v[24:25]
	v_mul_f64 v[8:9], v[10:11], v[24:25]
	v_fma_f64 v[14:15], v[14:15], v[26:27], -v[34:35]
	v_fma_f64 v[16:17], v[16:17], v[26:27], v[28:29]
	v_add_f64 v[2:3], v[2:3], v[18:19]
	v_add_f64 v[4:5], v[4:5], v[20:21]
	v_mul_f64 v[18:19], v[48:49], v[84:85]
	v_mul_f64 v[20:21], v[46:47], v[84:85]
	v_fma_f64 v[6:7], v[10:11], v[22:23], -v[6:7]
	v_fma_f64 v[8:9], v[12:13], v[22:23], v[8:9]
	v_mul_f64 v[10:11], v[52:53], v[80:81]
	v_mul_f64 v[12:13], v[50:51], v[80:81]
	v_add_f64 v[2:3], v[2:3], v[14:15]
	v_add_f64 v[4:5], v[4:5], v[16:17]
	v_fma_f64 v[14:15], v[46:47], v[82:83], -v[18:19]
	v_fma_f64 v[16:17], v[48:49], v[82:83], v[20:21]
	v_fma_f64 v[10:11], v[50:51], v[78:79], -v[10:11]
	v_fma_f64 v[12:13], v[52:53], v[78:79], v[12:13]
	v_add_f64 v[2:3], v[2:3], v[6:7]
	v_add_f64 v[4:5], v[4:5], v[8:9]
	v_mul_f64 v[6:7], v[44:45], v[76:77]
	v_mul_f64 v[8:9], v[42:43], v[76:77]
	v_add_f64 v[2:3], v[2:3], v[14:15]
	v_add_f64 v[4:5], v[4:5], v[16:17]
	v_mul_f64 v[14:15], v[40:41], v[72:73]
	v_mul_f64 v[16:17], v[38:39], v[72:73]
	v_fma_f64 v[6:7], v[42:43], v[74:75], -v[6:7]
	v_fma_f64 v[8:9], v[44:45], v[74:75], v[8:9]
	v_add_f64 v[2:3], v[2:3], v[10:11]
	v_add_f64 v[4:5], v[4:5], v[12:13]
	v_mul_f64 v[10:11], v[64:65], v[124:125]
	v_mul_f64 v[12:13], v[62:63], v[124:125]
	v_fma_f64 v[14:15], v[38:39], v[70:71], -v[14:15]
	v_fma_f64 v[16:17], v[40:41], v[70:71], v[16:17]
	;; [unrolled: 6-line block ×9, first 2 shown]
	v_add_f64 v[2:3], v[2:3], v[14:15]
	v_add_f64 v[4:5], v[4:5], v[16:17]
	v_fma_f64 v[6:7], v[106:107], v[126:127], -v[6:7]
	v_fma_f64 v[8:9], v[108:109], v[126:127], v[8:9]
	v_add_f64 v[2:3], v[2:3], v[10:11]
	v_add_f64 v[4:5], v[4:5], v[12:13]
	v_add_co_u32_e64 v10, s[8:9], s16, v146
	v_add_f64 v[2:3], v[2:3], v[6:7]
	v_add_f64 v[4:5], v[4:5], v[8:9]
	v_mov_b32_e32 v6, s15
	v_addc_co_u32_e64 v11, s[8:9], v147, v6, s[8:9]
	s_cbranch_scc1 .LBB192_102
.LBB192_98:                             ; =>This Inner Loop Header: Depth=1
	s_and_saveexec_b64 s[12:13], s[2:3]
	s_cbranch_execz .LBB192_100
; %bb.99:                               ;   in Loop: Header=BB192_98 Depth=1
	s_mul_i32 s8, s21, s17
	s_mul_hi_u32 s9, s20, s17
	s_add_i32 s9, s9, s8
	s_mul_i32 s8, s20, s17
	s_lshl_b64 s[8:9], s[8:9], 4
	v_mov_b32_e32 v7, s9
	v_add_co_u32_e64 v6, s[8:9], s8, v149
	v_addc_co_u32_e64 v7, s[8:9], v150, v7, s[8:9]
	flat_load_dwordx4 v[6:9], v[6:7]
	s_waitcnt vmcnt(0) lgkmcnt(0)
	ds_write2_b64 v151, v[6:7], v[8:9] offset1:1
.LBB192_100:                            ;   in Loop: Header=BB192_98 Depth=1
	s_or_b64 exec, exec, s[12:13]
	s_waitcnt lgkmcnt(0)
	s_barrier
	flat_load_dwordx4 v[6:9], v[10:11]
	v_add_co_u32_e64 v10, s[8:9], s10, v10
	v_addc_co_u32_e64 v11, s[8:9], v11, v158, s[8:9]
	v_add_co_u32_e64 v12, s[8:9], s10, v10
	v_addc_co_u32_e64 v13, s[8:9], v11, v158, s[8:9]
	v_add_co_u32_e64 v42, s[8:9], s10, v12
	flat_load_dwordx4 v[18:21], v[10:11]
	flat_load_dwordx4 v[14:17], v[12:13]
	v_addc_co_u32_e64 v43, s[8:9], v13, v158, s[8:9]
	flat_load_dwordx4 v[10:13], v[42:43]
	ds_read_b128 v[38:41], v153
	ds_read_b128 v[34:37], v152
	ds_read_b128 v[30:33], v152 offset:16
	ds_read_b128 v[26:29], v152 offset:32
	;; [unrolled: 1-line block ×3, first 2 shown]
	v_add_co_u32_e64 v56, s[8:9], s16, v42
	v_addc_co_u32_e64 v57, s[8:9], v43, v159, s[8:9]
	v_add_co_u32_e64 v58, s[8:9], s10, v56
	v_addc_co_u32_e64 v59, s[8:9], v57, v158, s[8:9]
	s_waitcnt vmcnt(0) lgkmcnt(0)
	v_mul_f64 v[42:43], v[8:9], v[40:41]
	v_mul_f64 v[44:45], v[6:7], v[40:41]
	;; [unrolled: 1-line block ×8, first 2 shown]
	v_fma_f64 v[40:41], v[6:7], v[38:39], -v[42:43]
	v_fma_f64 v[42:43], v[8:9], v[38:39], v[44:45]
	v_fma_f64 v[44:45], v[18:19], v[38:39], -v[46:47]
	v_fma_f64 v[46:47], v[20:21], v[38:39], v[48:49]
	;; [unrolled: 2-line block ×4, first 2 shown]
	v_add_co_u32_e64 v38, s[8:9], s10, v58
	v_addc_co_u32_e64 v39, s[8:9], v59, v158, s[8:9]
	ds_write_b128 v154, v[40:43]
	ds_write_b128 v154, v[44:47] offset:1072
	ds_write_b128 v154, v[48:51] offset:2144
	;; [unrolled: 1-line block ×3, first 2 shown]
	v_add_co_u32_e64 v54, s[8:9], s10, v38
	s_waitcnt lgkmcnt(0)
	s_barrier
	ds_read_b128 v[126:129], v155
	ds_read_b128 v[130:133], v155 offset:16
	ds_read_b128 v[90:93], v155 offset:32
	;; [unrolled: 1-line block ×3, first 2 shown]
	s_waitcnt lgkmcnt(0)
	s_barrier
	flat_load_dwordx4 v[46:49], v[56:57]
	flat_load_dwordx4 v[50:53], v[58:59]
	;; [unrolled: 1-line block ×3, first 2 shown]
	v_addc_co_u32_e64 v55, s[8:9], v39, v158, s[8:9]
	flat_load_dwordx4 v[38:41], v[54:55]
	v_add_co_u32_e64 v68, s[8:9], s16, v54
	v_addc_co_u32_e64 v69, s[8:9], v55, v159, s[8:9]
	ds_read_b128 v[54:57], v153
	v_add_co_u32_e64 v98, s[8:9], s10, v68
	v_addc_co_u32_e64 v99, s[8:9], v69, v158, s[8:9]
	v_add_co_u32_e64 v100, s[8:9], s10, v98
	v_addc_co_u32_e64 v101, s[8:9], v99, v158, s[8:9]
	s_waitcnt vmcnt(0) lgkmcnt(0)
	v_mul_f64 v[58:59], v[48:49], v[56:57]
	v_mul_f64 v[60:61], v[46:47], v[56:57]
	;; [unrolled: 1-line block ×8, first 2 shown]
	v_fma_f64 v[56:57], v[46:47], v[54:55], -v[58:59]
	v_fma_f64 v[58:59], v[48:49], v[54:55], v[60:61]
	v_fma_f64 v[60:61], v[50:51], v[54:55], -v[62:63]
	v_fma_f64 v[62:63], v[52:53], v[54:55], v[64:65]
	;; [unrolled: 2-line block ×4, first 2 shown]
	ds_read_b128 v[82:85], v152 offset:256
	ds_read_b128 v[78:81], v152 offset:272
	;; [unrolled: 1-line block ×4, first 2 shown]
	ds_write_b128 v154, v[56:59]
	ds_write_b128 v154, v[60:63] offset:1072
	ds_write_b128 v154, v[64:67] offset:2144
	;; [unrolled: 1-line block ×3, first 2 shown]
	v_add_co_u32_e64 v94, s[8:9], s10, v100
	s_waitcnt lgkmcnt(0)
	s_barrier
	ds_read_b128 v[161:164], v155
	ds_read_b128 v[165:168], v155 offset:16
	ds_read_b128 v[169:172], v155 offset:32
	;; [unrolled: 1-line block ×3, first 2 shown]
	s_waitcnt lgkmcnt(0)
	s_barrier
	flat_load_dwordx4 v[62:65], v[68:69]
	flat_load_dwordx4 v[58:61], v[98:99]
	;; [unrolled: 1-line block ×3, first 2 shown]
	v_addc_co_u32_e64 v95, s[8:9], v101, v158, s[8:9]
	flat_load_dwordx4 v[66:69], v[94:95]
	v_add_co_u32_e64 v108, s[8:9], s16, v94
	v_addc_co_u32_e64 v109, s[8:9], v95, v159, s[8:9]
	ds_read_b128 v[94:97], v153
	v_add_co_u32_e64 v138, s[8:9], s10, v108
	v_addc_co_u32_e64 v139, s[8:9], v109, v158, s[8:9]
	v_add_co_u32_e64 v140, s[8:9], s10, v138
	v_addc_co_u32_e64 v141, s[8:9], v139, v158, s[8:9]
	;; [unrolled: 2-line block ×3, first 2 shown]
	v_add_f64 v[213:214], v[161:162], 0
	v_add_f64 v[165:166], v[213:214], v[165:166]
	;; [unrolled: 1-line block ×3, first 2 shown]
	s_waitcnt vmcnt(0) lgkmcnt(0)
	v_mul_f64 v[98:99], v[64:65], v[96:97]
	v_mul_f64 v[100:101], v[62:63], v[96:97]
	;; [unrolled: 1-line block ×8, first 2 shown]
	v_fma_f64 v[96:97], v[62:63], v[94:95], -v[98:99]
	v_fma_f64 v[98:99], v[64:65], v[94:95], v[100:101]
	v_fma_f64 v[100:101], v[58:59], v[94:95], -v[102:103]
	v_fma_f64 v[102:103], v[60:61], v[94:95], v[104:105]
	;; [unrolled: 2-line block ×4, first 2 shown]
	ds_read_b128 v[122:125], v152 offset:512
	ds_read_b128 v[118:121], v152 offset:528
	;; [unrolled: 1-line block ×4, first 2 shown]
	ds_write_b128 v154, v[96:99]
	ds_write_b128 v154, v[100:103] offset:1072
	ds_write_b128 v154, v[104:107] offset:2144
	ds_write_b128 v154, v[134:137] offset:3216
	s_waitcnt lgkmcnt(0)
	s_barrier
	ds_read_b128 v[177:180], v155
	ds_read_b128 v[181:184], v155 offset:16
	ds_read_b128 v[185:188], v155 offset:32
	;; [unrolled: 1-line block ×3, first 2 shown]
	s_waitcnt lgkmcnt(0)
	s_barrier
	flat_load_dwordx4 v[98:101], v[108:109]
	flat_load_dwordx4 v[94:97], v[138:139]
	;; [unrolled: 1-line block ×3, first 2 shown]
	v_add_f64 v[134:135], v[126:127], 0
	flat_load_dwordx4 v[106:109], v[146:147]
	v_add_f64 v[136:137], v[128:129], 0
	ds_read_b128 v[126:129], v153
	v_add_f64 v[177:178], v[177:178], 0
	v_add_f64 v[179:180], v[179:180], 0
	;; [unrolled: 1-line block ×9, first 2 shown]
	s_waitcnt vmcnt(0) lgkmcnt(0)
	v_mul_f64 v[130:131], v[100:101], v[128:129]
	v_mul_f64 v[132:133], v[98:99], v[128:129]
	v_mul_f64 v[134:135], v[96:97], v[128:129]
	v_mul_f64 v[136:137], v[94:95], v[128:129]
	v_mul_f64 v[138:139], v[104:105], v[128:129]
	v_mul_f64 v[140:141], v[102:103], v[128:129]
	v_mul_f64 v[161:162], v[108:109], v[128:129]
	v_mul_f64 v[128:129], v[106:107], v[128:129]
	v_fma_f64 v[193:194], v[98:99], v[126:127], -v[130:131]
	v_fma_f64 v[195:196], v[100:101], v[126:127], v[132:133]
	v_fma_f64 v[197:198], v[94:95], v[126:127], -v[134:135]
	v_fma_f64 v[199:200], v[96:97], v[126:127], v[136:137]
	;; [unrolled: 2-line block ×4, first 2 shown]
	ds_read_b128 v[138:141], v152 offset:768
	ds_read_b128 v[134:137], v152 offset:784
	ds_read_b128 v[130:133], v152 offset:800
	ds_read_b128 v[126:129], v152 offset:816
	ds_write_b128 v154, v[193:196]
	ds_write_b128 v154, v[197:200] offset:1072
	ds_write_b128 v154, v[201:204] offset:2144
	;; [unrolled: 1-line block ×3, first 2 shown]
	s_waitcnt lgkmcnt(0)
	s_barrier
	ds_read_b128 v[193:196], v155
	v_add_f64 v[197:198], v[163:164], 0
	ds_read_b128 v[161:164], v155 offset:16
	v_add_f64 v[199:200], v[209:210], v[90:91]
	ds_read_b128 v[90:93], v155 offset:32
	s_waitcnt lgkmcnt(2)
	v_add_f64 v[193:194], v[193:194], 0
	v_add_f64 v[195:196], v[195:196], 0
	;; [unrolled: 1-line block ×4, first 2 shown]
	s_waitcnt lgkmcnt(1)
	v_add_f64 v[183:184], v[193:194], v[161:162]
	v_add_f64 v[193:194], v[195:196], v[163:164]
	ds_read_b128 v[161:164], v155 offset:48
	s_waitcnt lgkmcnt(0)
	v_add_f64 v[167:168], v[167:168], v[171:172]
	v_add_f64 v[171:172], v[179:180], v[187:188]
	s_barrier
	v_add_f64 v[177:178], v[183:184], v[90:91]
	v_add_f64 v[179:180], v[193:194], v[92:93]
	;; [unrolled: 1-line block ×8, first 2 shown]
	ds_write_b128 v160, v[86:89]
	ds_write_b128 v160, v[90:93] offset:256
	ds_write_b128 v160, v[165:168] offset:512
	;; [unrolled: 1-line block ×3, first 2 shown]
	s_waitcnt lgkmcnt(0)
	s_barrier
	s_and_saveexec_b64 s[12:13], s[4:5]
	s_cbranch_execz .LBB192_97
; %bb.101:                              ;   in Loop: Header=BB192_98 Depth=1
	ds_read_b128 v[86:89], v156
	ds_read_b128 v[90:93], v156 offset:16
	v_add_u32_e32 v144, s17, v0
	s_waitcnt lgkmcnt(0)
	v_add_f64 v[161:162], v[90:91], v[86:87]
	v_add_f64 v[163:164], v[92:93], v[88:89]
	ds_read_b128 v[86:89], v156 offset:32
	ds_read_b128 v[90:93], v156 offset:48
	s_waitcnt lgkmcnt(1)
	v_add_f64 v[86:87], v[161:162], v[86:87]
	v_add_f64 v[88:89], v[163:164], v[88:89]
	s_waitcnt lgkmcnt(0)
	v_add_f64 v[161:162], v[86:87], v[90:91]
	v_add_f64 v[163:164], v[88:89], v[92:93]
	ds_read_b128 v[86:89], v156 offset:64
	ds_read_b128 v[90:93], v156 offset:80
	s_waitcnt lgkmcnt(1)
	v_add_f64 v[86:87], v[161:162], v[86:87]
	v_add_f64 v[88:89], v[163:164], v[88:89]
	;; [unrolled: 8-line block ×6, first 2 shown]
	s_waitcnt lgkmcnt(0)
	v_add_f64 v[161:162], v[86:87], v[90:91]
	v_add_f64 v[163:164], v[88:89], v[92:93]
	ds_read_b128 v[86:89], v156 offset:224
	ds_read_b128 v[90:93], v157
	s_waitcnt lgkmcnt(1)
	v_add_f64 v[86:87], v[161:162], v[86:87]
	v_add_f64 v[88:89], v[163:164], v[88:89]
	s_waitcnt lgkmcnt(0)
	v_add_f64 v[86:87], v[86:87], v[90:91]
	v_add_f64 v[88:89], v[88:89], v[92:93]
	v_lshlrev_b64 v[90:91], 4, v[144:145]
	v_mov_b32_e32 v92, s14
	v_add_co_u32_e64 v90, s[8:9], s7, v90
	v_addc_co_u32_e64 v91, s[8:9], v92, v91, s[8:9]
	global_store_dwordx4 v[90:91], v[86:89], off
	s_branch .LBB192_97
.LBB192_102:
	s_movk_i32 s2, 0x430
	v_mad_u32_u24 v0, v1, s2, v148
	s_nor_b64 s[0:1], s[0:1], vcc
	ds_write_b128 v0, v[2:5]
	s_waitcnt lgkmcnt(0)
	s_barrier
	s_and_saveexec_b64 s[2:3], s[0:1]
	s_cbranch_execz .LBB192_104
; %bb.103:
	ds_read_b128 v[0:3], v148 offset:1072
	ds_read_b128 v[4:7], v148
	s_waitcnt lgkmcnt(0)
	v_add_f64 v[8:9], v[0:1], v[4:5]
	v_add_f64 v[10:11], v[2:3], v[6:7]
	ds_read_b128 v[0:3], v148 offset:2144
	ds_read_b128 v[4:7], v148 offset:3216
	s_waitcnt lgkmcnt(1)
	v_add_f64 v[0:1], v[8:9], v[0:1]
	v_add_f64 v[2:3], v[10:11], v[2:3]
	s_waitcnt lgkmcnt(0)
	v_add_f64 v[0:1], v[0:1], v[4:5]
	v_add_f64 v[2:3], v[2:3], v[6:7]
	v_lshlrev_b64 v[4:5], 4, v[142:143]
	v_mov_b32_e32 v6, s14
	v_add_co_u32_e32 v4, vcc, s7, v4
	v_addc_co_u32_e32 v5, vcc, v6, v5, vcc
	global_store_dwordx4 v[4:5], v[0:3], off
.LBB192_104:
	s_endpgm
	.section	.rodata,"a",@progbits
	.p2align	6, 0x0
	.amdhsa_kernel _ZL26rocblas_hemvn_kernel_lowerILb0ELi64ELi4ELi33ELi32ELi16ElPK19rocblas_complex_numIdEPKS3_PS1_EviT6_lT7_lT5_lS8_lS9_lS7_lT8_i
		.amdhsa_group_segment_fixed_size 19200
		.amdhsa_private_segment_fixed_size 0
		.amdhsa_kernarg_size 376
		.amdhsa_user_sgpr_count 6
		.amdhsa_user_sgpr_private_segment_buffer 1
		.amdhsa_user_sgpr_dispatch_ptr 0
		.amdhsa_user_sgpr_queue_ptr 0
		.amdhsa_user_sgpr_kernarg_segment_ptr 1
		.amdhsa_user_sgpr_dispatch_id 0
		.amdhsa_user_sgpr_flat_scratch_init 0
		.amdhsa_user_sgpr_private_segment_size 0
		.amdhsa_uses_dynamic_stack 0
		.amdhsa_system_sgpr_private_segment_wavefront_offset 0
		.amdhsa_system_sgpr_workgroup_id_x 1
		.amdhsa_system_sgpr_workgroup_id_y 0
		.amdhsa_system_sgpr_workgroup_id_z 1
		.amdhsa_system_sgpr_workgroup_info 0
		.amdhsa_system_vgpr_workitem_id 1
		.amdhsa_next_free_vgpr 215
		.amdhsa_next_free_sgpr 98
		.amdhsa_reserve_vcc 1
		.amdhsa_reserve_flat_scratch 0
		.amdhsa_float_round_mode_32 0
		.amdhsa_float_round_mode_16_64 0
		.amdhsa_float_denorm_mode_32 3
		.amdhsa_float_denorm_mode_16_64 3
		.amdhsa_dx10_clamp 1
		.amdhsa_ieee_mode 1
		.amdhsa_fp16_overflow 0
		.amdhsa_exception_fp_ieee_invalid_op 0
		.amdhsa_exception_fp_denorm_src 0
		.amdhsa_exception_fp_ieee_div_zero 0
		.amdhsa_exception_fp_ieee_overflow 0
		.amdhsa_exception_fp_ieee_underflow 0
		.amdhsa_exception_fp_ieee_inexact 0
		.amdhsa_exception_int_div_zero 0
	.end_amdhsa_kernel
	.section	.text._ZL26rocblas_hemvn_kernel_lowerILb0ELi64ELi4ELi33ELi32ELi16ElPK19rocblas_complex_numIdEPKS3_PS1_EviT6_lT7_lT5_lS8_lS9_lS7_lT8_i,"axG",@progbits,_ZL26rocblas_hemvn_kernel_lowerILb0ELi64ELi4ELi33ELi32ELi16ElPK19rocblas_complex_numIdEPKS3_PS1_EviT6_lT7_lT5_lS8_lS9_lS7_lT8_i,comdat
.Lfunc_end192:
	.size	_ZL26rocblas_hemvn_kernel_lowerILb0ELi64ELi4ELi33ELi32ELi16ElPK19rocblas_complex_numIdEPKS3_PS1_EviT6_lT7_lT5_lS8_lS9_lS7_lT8_i, .Lfunc_end192-_ZL26rocblas_hemvn_kernel_lowerILb0ELi64ELi4ELi33ELi32ELi16ElPK19rocblas_complex_numIdEPKS3_PS1_EviT6_lT7_lT5_lS8_lS9_lS7_lT8_i
                                        ; -- End function
	.set _ZL26rocblas_hemvn_kernel_lowerILb0ELi64ELi4ELi33ELi32ELi16ElPK19rocblas_complex_numIdEPKS3_PS1_EviT6_lT7_lT5_lS8_lS9_lS7_lT8_i.num_vgpr, 215
	.set _ZL26rocblas_hemvn_kernel_lowerILb0ELi64ELi4ELi33ELi32ELi16ElPK19rocblas_complex_numIdEPKS3_PS1_EviT6_lT7_lT5_lS8_lS9_lS7_lT8_i.num_agpr, 0
	.set _ZL26rocblas_hemvn_kernel_lowerILb0ELi64ELi4ELi33ELi32ELi16ElPK19rocblas_complex_numIdEPKS3_PS1_EviT6_lT7_lT5_lS8_lS9_lS7_lT8_i.numbered_sgpr, 44
	.set _ZL26rocblas_hemvn_kernel_lowerILb0ELi64ELi4ELi33ELi32ELi16ElPK19rocblas_complex_numIdEPKS3_PS1_EviT6_lT7_lT5_lS8_lS9_lS7_lT8_i.num_named_barrier, 0
	.set _ZL26rocblas_hemvn_kernel_lowerILb0ELi64ELi4ELi33ELi32ELi16ElPK19rocblas_complex_numIdEPKS3_PS1_EviT6_lT7_lT5_lS8_lS9_lS7_lT8_i.private_seg_size, 0
	.set _ZL26rocblas_hemvn_kernel_lowerILb0ELi64ELi4ELi33ELi32ELi16ElPK19rocblas_complex_numIdEPKS3_PS1_EviT6_lT7_lT5_lS8_lS9_lS7_lT8_i.uses_vcc, 1
	.set _ZL26rocblas_hemvn_kernel_lowerILb0ELi64ELi4ELi33ELi32ELi16ElPK19rocblas_complex_numIdEPKS3_PS1_EviT6_lT7_lT5_lS8_lS9_lS7_lT8_i.uses_flat_scratch, 0
	.set _ZL26rocblas_hemvn_kernel_lowerILb0ELi64ELi4ELi33ELi32ELi16ElPK19rocblas_complex_numIdEPKS3_PS1_EviT6_lT7_lT5_lS8_lS9_lS7_lT8_i.has_dyn_sized_stack, 0
	.set _ZL26rocblas_hemvn_kernel_lowerILb0ELi64ELi4ELi33ELi32ELi16ElPK19rocblas_complex_numIdEPKS3_PS1_EviT6_lT7_lT5_lS8_lS9_lS7_lT8_i.has_recursion, 0
	.set _ZL26rocblas_hemvn_kernel_lowerILb0ELi64ELi4ELi33ELi32ELi16ElPK19rocblas_complex_numIdEPKS3_PS1_EviT6_lT7_lT5_lS8_lS9_lS7_lT8_i.has_indirect_call, 0
	.section	.AMDGPU.csdata,"",@progbits
; Kernel info:
; codeLenInByte = 9444
; TotalNumSgprs: 48
; NumVgprs: 215
; ScratchSize: 0
; MemoryBound: 0
; FloatMode: 240
; IeeeMode: 1
; LDSByteSize: 19200 bytes/workgroup (compile time only)
; SGPRBlocks: 12
; VGPRBlocks: 53
; NumSGPRsForWavesPerEU: 102
; NumVGPRsForWavesPerEU: 215
; Occupancy: 1
; WaveLimiterHint : 1
; COMPUTE_PGM_RSRC2:SCRATCH_EN: 0
; COMPUTE_PGM_RSRC2:USER_SGPR: 6
; COMPUTE_PGM_RSRC2:TRAP_HANDLER: 0
; COMPUTE_PGM_RSRC2:TGID_X_EN: 1
; COMPUTE_PGM_RSRC2:TGID_Y_EN: 0
; COMPUTE_PGM_RSRC2:TGID_Z_EN: 1
; COMPUTE_PGM_RSRC2:TIDIG_COMP_CNT: 1
	.section	.text._ZL26rocblas_hemvn_kernel_lowerILb0ELi64ELi4ELi33ELi32ELi16EiPK19rocblas_complex_numIdEPKS3_PS1_EviT6_lT7_lT5_lS8_lS9_lS7_lT8_i,"axG",@progbits,_ZL26rocblas_hemvn_kernel_lowerILb0ELi64ELi4ELi33ELi32ELi16EiPK19rocblas_complex_numIdEPKS3_PS1_EviT6_lT7_lT5_lS8_lS9_lS7_lT8_i,comdat
	.globl	_ZL26rocblas_hemvn_kernel_lowerILb0ELi64ELi4ELi33ELi32ELi16EiPK19rocblas_complex_numIdEPKS3_PS1_EviT6_lT7_lT5_lS8_lS9_lS7_lT8_i ; -- Begin function _ZL26rocblas_hemvn_kernel_lowerILb0ELi64ELi4ELi33ELi32ELi16EiPK19rocblas_complex_numIdEPKS3_PS1_EviT6_lT7_lT5_lS8_lS9_lS7_lT8_i
	.p2align	8
	.type	_ZL26rocblas_hemvn_kernel_lowerILb0ELi64ELi4ELi33ELi32ELi16EiPK19rocblas_complex_numIdEPKS3_PS1_EviT6_lT7_lT5_lS8_lS9_lS7_lT8_i,@function
_ZL26rocblas_hemvn_kernel_lowerILb0ELi64ELi4ELi33ELi32ELi16EiPK19rocblas_complex_numIdEPKS3_PS1_EviT6_lT7_lT5_lS8_lS9_lS7_lT8_i: ; @_ZL26rocblas_hemvn_kernel_lowerILb0ELi64ELi4ELi33ELi32ELi16EiPK19rocblas_complex_numIdEPKS3_PS1_EviT6_lT7_lT5_lS8_lS9_lS7_lT8_i
; %bb.0:
	s_load_dwordx2 s[0:1], s[4:5], 0x84
	s_add_u32 s16, s4, 0x78
	s_addc_u32 s17, s5, 0
	s_waitcnt lgkmcnt(0)
	s_lshr_b32 s2, s0, 16
	s_and_b32 s0, s0, 0xffff
	s_and_b32 s1, s1, 0xffff
	s_mul_i32 s0, s2, s0
	s_mul_i32 s0, s0, s1
	s_cmpk_lg_i32 s0, 0x100
	s_cbranch_scc1 .LBB193_104
; %bb.1:
	s_load_dwordx8 s[8:15], s[4:5], 0x8
	s_mov_b32 s20, s7
	v_mov_b32_e32 v2, v1
	s_mov_b32 s21, 0
	s_waitcnt lgkmcnt(0)
	s_mul_i32 s1, s11, s7
	s_mul_hi_u32 s2, s10, s7
	s_mul_i32 s0, s10, s7
	s_add_i32 s1, s2, s1
	s_lshl_b64 s[0:1], s[0:1], 4
	s_add_u32 s8, s8, s0
	s_addc_u32 s9, s9, s1
	s_load_dwordx4 s[0:3], s[8:9], 0x0
	s_waitcnt lgkmcnt(0)
	v_cmp_neq_f64_e64 s[8:9], s[0:1], 0
	v_cmp_neq_f64_e64 s[10:11], s[2:3], 0
	s_load_dwordx2 s[22:23], s[4:5], 0x68
	s_load_dwordx4 s[0:3], s[4:5], 0x58
	s_or_b64 s[10:11], s[8:9], s[10:11]
	s_mov_b64 s[8:9], -1
	s_and_b64 vcc, exec, s[10:11]
	s_cbranch_vccnz .LBB193_3
; %bb.2:
	s_waitcnt lgkmcnt(0)
	s_mul_i32 s3, s3, s20
	s_mul_hi_u32 s7, s2, s20
	s_add_i32 s3, s7, s3
	s_mul_i32 s2, s2, s20
	s_lshl_b64 s[2:3], s[2:3], 4
	s_add_u32 s8, s0, s2
	s_addc_u32 s9, s1, s3
	s_load_dwordx4 s[0:3], s[8:9], 0x0
	s_mov_b64 s[8:9], 0
	s_waitcnt lgkmcnt(0)
	v_cmp_eq_f64_e64 s[0:1], s[0:1], 1.0
	v_cmp_eq_f64_e64 s[2:3], s[2:3], 0
	s_and_b64 s[0:1], s[0:1], s[2:3]
	s_andn2_b64 vcc, exec, s[0:1]
.LBB193_3:
	s_andn2_b64 vcc, exec, s[8:9]
	s_cbranch_vccnz .LBB193_104
; %bb.4:
	s_waitcnt lgkmcnt(0)
	s_load_dwordx4 s[0:3], s[4:5], 0x38
	s_load_dword s7, s[4:5], 0x48
	s_lshl_b64 s[8:9], s[20:21], 3
	s_add_u32 s10, s12, s8
	s_addc_u32 s11, s13, s9
	s_waitcnt lgkmcnt(0)
	s_add_u32 s0, s0, s8
	s_addc_u32 s1, s1, s9
	s_load_dwordx2 s[12:13], s[0:1], 0x0
	s_load_dword s21, s[4:5], 0x0
	s_load_dword s33, s[16:17], 0x0
	s_load_dwordx2 s[8:9], s[10:11], 0x0
	s_lshl_b64 s[0:1], s[2:3], 4
	s_waitcnt lgkmcnt(0)
	s_add_u32 s0, s12, s0
	s_addc_u32 s1, s13, s1
	s_lshl_b32 s26, s6, 6
	v_add_u32_e32 v143, s26, v0
	v_mul_lo_u32 v3, s7, v143
	s_ashr_i32 s42, s21, 31
	s_lshr_b32 s3, s42, 26
	s_add_i32 s3, s21, s3
	v_ashrrev_i32_e32 v4, 31, v3
	s_andn2_b32 s3, s3, 63
	v_lshlrev_b64 v[3:4], 4, v[3:4]
	s_add_i32 s2, s33, -1
	s_sub_i32 s3, s21, s3
	s_cmp_eq_u32 s6, s2
	v_mov_b32_e32 v1, s1
	v_add_co_u32_e32 v39, vcc, s0, v3
	s_cselect_b32 s24, s3, 0
	v_addc_co_u32_e32 v40, vcc, v1, v4, vcc
	v_cmp_ne_u32_e64 s[0:1], 0, v2
	v_cmp_eq_u32_e64 s[2:3], 0, v2
	s_and_saveexec_b64 s[10:11], s[2:3]
	s_cbranch_execz .LBB193_9
; %bb.5:
	s_cmp_lg_u32 s24, 0
	s_cselect_b64 s[12:13], -1, 0
	v_cmp_le_i32_e32 vcc, s24, v0
	v_mov_b32_e32 v1, 0x4700
	s_and_b64 s[12:13], s[12:13], vcc
	v_lshl_add_u32 v1, v0, 4, v1
	s_and_saveexec_b64 s[16:17], s[12:13]
	s_xor_b64 s[12:13], exec, s[16:17]
; %bb.6:
	v_mov_b32_e32 v3, 0
	v_mov_b32_e32 v4, v3
	;; [unrolled: 1-line block ×4, first 2 shown]
	ds_write_b128 v1, v[3:6]
                                        ; implicit-def: $vgpr1
; %bb.7:
	s_andn2_saveexec_b64 s[12:13], s[12:13]
	s_cbranch_execz .LBB193_9
; %bb.8:
	flat_load_dwordx4 v[3:6], v[39:40]
	s_waitcnt vmcnt(0) lgkmcnt(0)
	ds_write2_b64 v1, v[3:4], v[5:6] offset1:1
.LBB193_9:
	s_or_b64 exec, exec, s[10:11]
	s_load_dword s28, s[4:5], 0x28
	v_lshl_add_u32 v45, v2, 6, v0
	v_and_b32_e32 v1, 31, v0
	v_lshrrev_b32_e32 v11, 5, v45
	s_lshl_b64 s[10:11], s[14:15], 4
	s_waitcnt lgkmcnt(0)
	v_mad_u64_u32 v[3:4], s[4:5], s28, v11, v[1:2]
	s_add_u32 s8, s8, s10
	s_addc_u32 s9, s9, s11
	s_ashr_i32 s27, s26, 31
	v_ashrrev_i32_e32 v4, 31, v3
	s_lshl_b64 s[4:5], s[26:27], 4
	v_lshlrev_b64 v[41:42], 4, v[3:4]
	s_add_u32 s4, s8, s4
	s_addc_u32 s5, s9, s5
	v_add_co_u32_e32 v4, vcc, s4, v41
	s_mul_i32 s4, s28, s26
	v_mov_b32_e32 v3, s5
	s_ashr_i32 s5, s4, 31
	v_addc_co_u32_e32 v3, vcc, v3, v42, vcc
	s_lshl_b64 s[30:31], s[4:5], 4
	v_mov_b32_e32 v5, s31
	v_add_co_u32_e32 v7, vcc, s30, v4
	s_cmp_lg_u32 s24, 0
	v_addc_co_u32_e32 v8, vcc, v3, v5, vcc
	s_cselect_b64 s[34:35], -1, 0
	s_cmp_eq_u32 s24, 0
	s_cselect_b64 s[16:17], -1, 0
	s_mov_b64 s[4:5], -1
	s_and_b64 vcc, exec, s[34:35]
	s_cbranch_vccnz .LBB193_11
; %bb.10:
	flat_load_dwordx4 v[3:6], v[7:8]
	s_lshl_b32 s4, s28, 3
	s_ashr_i32 s5, s4, 31
	v_mul_u32_u24_e32 v9, 0x210, v11
	s_lshl_b64 s[4:5], s[4:5], 4
	v_lshl_add_u32 v12, v1, 4, v9
	v_mov_b32_e32 v10, s5
	v_add_co_u32_e32 v9, vcc, s4, v7
	v_addc_co_u32_e32 v10, vcc, v8, v10, vcc
	s_ashr_i32 s29, s28, 31
	s_lshl_b64 s[4:5], s[28:29], 7
	v_add_u32_e32 v13, 0x1080, v12
	v_mov_b32_e32 v14, s5
	s_waitcnt vmcnt(0) lgkmcnt(0)
	ds_write2_b64 v12, v[3:4], v[5:6] offset1:1
	flat_load_dwordx4 v[3:6], v[9:10]
	v_add_co_u32_e32 v9, vcc, s4, v9
	v_addc_co_u32_e32 v10, vcc, v10, v14, vcc
	s_waitcnt vmcnt(0) lgkmcnt(0)
	ds_write2_b64 v13, v[3:4], v[5:6] offset1:1
	flat_load_dwordx4 v[3:6], v[9:10]
	v_add_u32_e32 v13, 0x2100, v12
	v_add_co_u32_e32 v9, vcc, s4, v9
	v_addc_co_u32_e32 v10, vcc, v10, v14, vcc
	s_mov_b64 s[4:5], 0
	s_waitcnt vmcnt(0) lgkmcnt(0)
	ds_write2_b64 v13, v[3:4], v[5:6] offset1:1
	flat_load_dwordx4 v[3:6], v[9:10]
	v_add_u32_e32 v9, 0x3180, v12
	s_waitcnt vmcnt(0) lgkmcnt(0)
	ds_write2_b64 v9, v[3:4], v[5:6] offset1:1
.LBB193_11:
	s_andn2_b64 vcc, exec, s[4:5]
	v_lshlrev_b32_e32 v12, 4, v1
	s_cbranch_vccnz .LBB193_29
; %bb.12:
	v_sub_co_u32_e32 v3, vcc, v7, v12
	s_ashr_i32 s25, s24, 31
	v_subbrev_co_u32_e32 v4, vcc, 0, v8, vcc
	s_lshl_b64 s[8:9], s[24:25], 4
	v_mov_b32_e32 v5, s9
	v_add_co_u32_e32 v3, vcc, s8, v3
	v_addc_co_u32_e32 v4, vcc, v4, v5, vcc
	v_add_co_u32_e32 v3, vcc, -16, v3
	v_addc_co_u32_e32 v4, vcc, -1, v4, vcc
	v_cmp_gt_i32_e32 vcc, s24, v1
	s_movk_i32 s10, 0x210
	v_cndmask_b32_e32 v4, v4, v8, vcc
	v_cndmask_b32_e32 v3, v3, v7, vcc
	v_cmp_le_i32_e64 s[4:5], s24, v11
	v_mad_u32_u24 v5, v11, s10, v12
	s_and_saveexec_b64 s[10:11], s[4:5]
	s_xor_b64 s[4:5], exec, s[10:11]
; %bb.13:
	v_mov_b32_e32 v13, 0
	v_mov_b32_e32 v14, v13
	;; [unrolled: 1-line block ×4, first 2 shown]
	ds_write_b128 v5, v[13:16]
                                        ; implicit-def: $vgpr5
; %bb.14:
	s_andn2_saveexec_b64 s[4:5], s[4:5]
	s_cbranch_execz .LBB193_16
; %bb.15:
	flat_load_dwordx4 v[13:16], v[3:4]
	s_waitcnt vmcnt(0) lgkmcnt(0)
	ds_write2_b64 v5, v[13:14], v[15:16] offset1:1
.LBB193_16:
	s_or_b64 exec, exec, s[4:5]
	v_add_u32_e32 v6, 8, v11
	v_mul_u32_u24_e32 v5, 0x210, v11
	v_cmp_le_i32_e64 s[4:5], s24, v6
	s_and_saveexec_b64 s[10:11], s[4:5]
	s_xor_b64 s[4:5], exec, s[10:11]
	s_cbranch_execz .LBB193_18
; %bb.17:
	v_mov_b32_e32 v13, 0
	v_add_u32_e32 v6, v5, v12
	v_mov_b32_e32 v14, v13
	v_mov_b32_e32 v15, v13
	;; [unrolled: 1-line block ×3, first 2 shown]
	ds_write_b128 v6, v[13:16] offset:4224
.LBB193_18:
	s_andn2_saveexec_b64 s[10:11], s[4:5]
	s_cbranch_execz .LBB193_20
; %bb.19:
	s_lshl_b32 s4, s28, 3
	s_ashr_i32 s5, s4, 31
	s_lshl_b64 s[4:5], s[4:5], 4
	v_mov_b32_e32 v6, s5
	v_add_co_u32_e64 v9, s[4:5], s4, v3
	v_addc_co_u32_e64 v10, s[4:5], v4, v6, s[4:5]
	flat_load_dwordx4 v[13:16], v[9:10]
	s_movk_i32 s4, 0x1080
	v_add3_u32 v6, v5, v12, s4
	s_waitcnt vmcnt(0) lgkmcnt(0)
	ds_write2_b64 v6, v[13:14], v[15:16] offset1:1
.LBB193_20:
	s_or_b64 exec, exec, s[10:11]
	v_add_u32_e32 v6, 16, v11
	v_cmp_le_i32_e64 s[4:5], s24, v6
	s_and_saveexec_b64 s[10:11], s[4:5]
	s_xor_b64 s[4:5], exec, s[10:11]
	s_cbranch_execz .LBB193_22
; %bb.21:
	v_mov_b32_e32 v13, 0
	v_add_u32_e32 v6, v5, v12
	v_mov_b32_e32 v14, v13
	v_mov_b32_e32 v15, v13
	;; [unrolled: 1-line block ×3, first 2 shown]
	ds_write_b128 v6, v[13:16] offset:8448
.LBB193_22:
	s_andn2_saveexec_b64 s[10:11], s[4:5]
	s_cbranch_execz .LBB193_24
; %bb.23:
	s_lshl_b32 s4, s28, 4
	s_ashr_i32 s5, s4, 31
	s_lshl_b64 s[4:5], s[4:5], 4
	v_mov_b32_e32 v6, s5
	v_add_co_u32_e64 v9, s[4:5], s4, v3
	v_addc_co_u32_e64 v10, s[4:5], v4, v6, s[4:5]
	flat_load_dwordx4 v[13:16], v[9:10]
	s_movk_i32 s4, 0x2100
	v_add3_u32 v6, v5, v12, s4
	s_waitcnt vmcnt(0) lgkmcnt(0)
	ds_write2_b64 v6, v[13:14], v[15:16] offset1:1
.LBB193_24:
	s_or_b64 exec, exec, s[10:11]
	v_add_u32_e32 v6, 24, v11
	v_cmp_le_i32_e64 s[4:5], s24, v6
	s_and_saveexec_b64 s[10:11], s[4:5]
	s_xor_b64 s[4:5], exec, s[10:11]
	s_cbranch_execz .LBB193_26
; %bb.25:
	v_mov_b32_e32 v13, 0
	v_add_u32_e32 v5, v5, v12
	v_mov_b32_e32 v14, v13
	v_mov_b32_e32 v15, v13
	;; [unrolled: 1-line block ×3, first 2 shown]
	ds_write_b128 v5, v[13:16] offset:12672
                                        ; implicit-def: $vgpr5
.LBB193_26:
	s_andn2_saveexec_b64 s[10:11], s[4:5]
	s_cbranch_execz .LBB193_28
; %bb.27:
	s_mul_i32 s4, s28, 24
	s_ashr_i32 s5, s4, 31
	s_lshl_b64 s[4:5], s[4:5], 4
	v_mov_b32_e32 v6, s5
	v_add_co_u32_e64 v9, s[4:5], s4, v3
	v_addc_co_u32_e64 v10, s[4:5], v4, v6, s[4:5]
	flat_load_dwordx4 v[13:16], v[9:10]
	s_movk_i32 s4, 0x3180
	v_add3_u32 v5, v5, v12, s4
	s_waitcnt vmcnt(0) lgkmcnt(0)
	ds_write2_b64 v5, v[13:14], v[15:16] offset1:1
.LBB193_28:
	s_or_b64 exec, exec, s[10:11]
	v_add_co_u32_e64 v3, s[4:5], v3, v12
	v_addc_co_u32_e64 v4, s[4:5], 0, v4, s[4:5]
	v_mov_b32_e32 v5, s9
	v_subrev_co_u32_e64 v3, s[4:5], s8, v3
	v_subb_co_u32_e64 v4, s[4:5], v4, v5, s[4:5]
	v_add_co_u32_e64 v3, s[4:5], 16, v3
	v_addc_co_u32_e64 v4, s[4:5], 0, v4, s[4:5]
	v_cndmask_b32_e32 v8, v4, v8, vcc
	v_cndmask_b32_e32 v7, v3, v7, vcc
.LBB193_29:
	v_lshlrev_b32_e32 v13, 2, v11
	v_lshl_or_b32 v5, v1, 9, v12
	v_cmp_lt_u32_e64 s[18:19], v13, v1
	s_waitcnt lgkmcnt(0)
	s_barrier
	s_and_saveexec_b64 s[4:5], s[18:19]
	s_cbranch_execz .LBB193_31
; %bb.30:
	s_movk_i32 s8, 0x840
	v_mad_u32_u24 v3, v11, s8, v12
	ds_read_b128 v[14:17], v3
	v_lshl_add_u32 v3, v13, 4, v5
	s_waitcnt lgkmcnt(0)
	ds_write_b128 v3, v[14:17]
.LBB193_31:
	s_or_b64 exec, exec, s[4:5]
	v_or_b32_e32 v3, 1, v13
	v_cmp_lt_u32_e64 s[8:9], v3, v1
	s_and_saveexec_b64 s[4:5], s[8:9]
	s_cbranch_execz .LBB193_33
; %bb.32:
	s_movk_i32 s10, 0x210
	v_mad_u32_u24 v4, v3, s10, v12
	ds_read_b128 v[14:17], v4
	v_lshl_add_u32 v4, v13, 4, v5
	s_waitcnt lgkmcnt(0)
	ds_write_b128 v4, v[14:17] offset:16
.LBB193_33:
	s_or_b64 exec, exec, s[4:5]
	v_or_b32_e32 v4, 2, v13
	v_cmp_lt_u32_e64 s[10:11], v4, v1
	s_and_saveexec_b64 s[4:5], s[10:11]
	s_cbranch_execz .LBB193_35
; %bb.34:
	s_movk_i32 s12, 0x210
	v_mad_u32_u24 v4, v4, s12, v12
	ds_read_b128 v[14:17], v4
	v_lshl_add_u32 v4, v13, 4, v5
	s_waitcnt lgkmcnt(0)
	ds_write_b128 v4, v[14:17] offset:32
.LBB193_35:
	s_or_b64 exec, exec, s[4:5]
	v_or_b32_e32 v6, 3, v13
	v_cmp_lt_u32_e64 s[12:13], v6, v1
	v_cmp_ge_u32_e32 vcc, v6, v1
                                        ; implicit-def: $vgpr4
	s_and_saveexec_b64 s[4:5], vcc
	s_xor_b64 s[4:5], exec, s[4:5]
; %bb.36:
	v_mul_u32_u24_e32 v4, 0x210, v6
                                        ; implicit-def: $vgpr5
                                        ; implicit-def: $vgpr6
; %bb.37:
	s_andn2_saveexec_b64 s[4:5], s[4:5]
	s_cbranch_execz .LBB193_39
; %bb.38:
	s_movk_i32 s14, 0x210
	v_mad_u32_u24 v4, v6, s14, v12
	ds_read_b128 v[14:17], v4
	v_lshl_add_u32 v5, v13, 4, v5
	v_mul_u32_u24_e32 v4, 0x210, v6
	s_waitcnt lgkmcnt(0)
	ds_write_b128 v5, v[14:17] offset:48
.LBB193_39:
	s_or_b64 exec, exec, s[4:5]
	s_movk_i32 s4, 0x840
	v_mad_u32_u24 v14, v11, s4, v12
	s_waitcnt lgkmcnt(0)
	s_barrier
	v_lshlrev_b32_e32 v15, 4, v13
	ds_read_b128 v[18:21], v14
	ds_read_b128 v[22:25], v15 offset:18176
	ds_read_b128 v[26:29], v15 offset:18192
	s_movk_i32 s4, 0x210
	v_mad_u32_u24 v17, v3, s4, v12
	ds_read_b128 v[30:33], v17
	s_waitcnt lgkmcnt(2)
	v_mul_f64 v[5:6], v[24:25], v[20:21]
	v_mul_f64 v[9:10], v[22:23], v[20:21]
	v_add_u32_e32 v16, v12, v4
	v_cmp_gt_u32_e64 s[4:5], 32, v45
	v_fma_f64 v[36:37], v[22:23], v[18:19], -v[5:6]
	ds_read_b128 v[3:6], v15 offset:18208
	s_waitcnt lgkmcnt(1)
	v_mul_f64 v[43:44], v[28:29], v[32:33]
	v_mul_f64 v[50:51], v[26:27], v[32:33]
	v_fma_f64 v[9:10], v[24:25], v[18:19], v[9:10]
	ds_read_b128 v[20:23], v17 offset:528
	ds_read_b128 v[32:35], v15 offset:18224
	ds_read_b128 v[46:49], v16
	s_waitcnt lgkmcnt(0)
	v_add_f64 v[18:19], v[36:37], 0
	s_barrier
	v_mul_f64 v[24:25], v[5:6], v[22:23]
	v_fma_f64 v[26:27], v[26:27], v[30:31], -v[43:44]
	v_fma_f64 v[28:29], v[28:29], v[30:31], v[50:51]
	v_mul_f64 v[22:23], v[3:4], v[22:23]
	v_add_f64 v[9:10], v[9:10], 0
	v_mul_f64 v[30:31], v[34:35], v[48:49]
	v_fma_f64 v[3:4], v[3:4], v[20:21], -v[24:25]
	v_add_f64 v[18:19], v[18:19], v[26:27]
	v_mul_f64 v[24:25], v[32:33], v[48:49]
	v_fma_f64 v[5:6], v[5:6], v[20:21], v[22:23]
	v_add_f64 v[9:10], v[9:10], v[28:29]
	v_fma_f64 v[20:21], v[32:33], v[46:47], -v[30:31]
	v_add_f64 v[18:19], v[18:19], v[3:4]
	v_fma_f64 v[22:23], v[34:35], v[46:47], v[24:25]
	v_mov_b32_e32 v3, 0
	v_add_f64 v[5:6], v[9:10], v[5:6]
	v_mul_u32_u24_e32 v9, 33, v1
	v_lshlrev_b32_e32 v46, 4, v9
	v_mov_b32_e32 v4, 0
	v_lshl_add_u32 v47, v11, 4, v46
	v_add_f64 v[18:19], v[18:19], v[20:21]
	v_add_f64 v[20:21], v[5:6], v[22:23]
	v_mov_b32_e32 v5, 0
	v_mov_b32_e32 v6, 0
	ds_write_b128 v47, v[18:21]
	s_waitcnt lgkmcnt(0)
	s_barrier
	s_and_saveexec_b64 s[14:15], s[4:5]
	s_cbranch_execz .LBB193_41
; %bb.40:
	ds_read_b128 v[3:6], v46
	ds_read_b128 v[18:21], v46 offset:16
	s_waitcnt lgkmcnt(0)
	v_add_f64 v[9:10], v[18:19], v[3:4]
	v_add_f64 v[22:23], v[20:21], v[5:6]
	ds_read_b128 v[3:6], v46 offset:32
	ds_read_b128 v[18:21], v46 offset:48
	s_waitcnt lgkmcnt(1)
	v_add_f64 v[3:4], v[9:10], v[3:4]
	v_add_f64 v[5:6], v[22:23], v[5:6]
	s_waitcnt lgkmcnt(0)
	v_add_f64 v[9:10], v[3:4], v[18:19]
	v_add_f64 v[22:23], v[5:6], v[20:21]
	ds_read_b128 v[3:6], v46 offset:64
	ds_read_b128 v[18:21], v46 offset:80
	s_waitcnt lgkmcnt(1)
	v_add_f64 v[3:4], v[9:10], v[3:4]
	v_add_f64 v[5:6], v[22:23], v[5:6]
	;; [unrolled: 8-line block ×3, first 2 shown]
	s_waitcnt lgkmcnt(0)
	v_add_f64 v[3:4], v[3:4], v[18:19]
	v_add_f64 v[5:6], v[5:6], v[20:21]
.LBB193_41:
	s_or_b64 exec, exec, s[14:15]
	s_lshl_b32 s14, s28, 5
	s_ashr_i32 s15, s14, 31
	s_lshl_b64 s[36:37], s[14:15], 4
	v_mov_b32_e32 v10, s37
	v_add_co_u32_e32 v9, vcc, s36, v7
	v_addc_co_u32_e32 v10, vcc, v8, v10, vcc
	v_add_co_u32_e32 v7, vcc, 0x200, v9
	v_addc_co_u32_e32 v8, vcc, 0, v10, vcc
	v_cndmask_b32_e64 v18, 0, 1, s[16:17]
	v_cmp_ne_u32_e64 s[14:15], 1, v18
	s_andn2_b64 vcc, exec, s[16:17]
	s_mov_b64 s[16:17], -1
	s_barrier
	s_cbranch_vccnz .LBB193_43
; %bb.42:
	flat_load_dwordx4 v[18:21], v[7:8]
	s_movk_i32 s17, 0x210
	s_lshl_b32 s16, s28, 3
	v_mad_u32_u24 v24, v11, s17, v12
	s_ashr_i32 s17, s16, 31
	s_lshl_b64 s[16:17], s[16:17], 4
	v_mov_b32_e32 v23, s17
	v_add_co_u32_e32 v22, vcc, s16, v9
	v_addc_co_u32_e32 v23, vcc, v10, v23, vcc
	s_ashr_i32 s29, s28, 31
	s_lshl_b64 s[16:17], s[28:29], 7
	v_add_u32_e32 v25, 0x1080, v24
	v_mov_b32_e32 v26, s17
	s_waitcnt vmcnt(0) lgkmcnt(0)
	ds_write2_b64 v24, v[18:19], v[20:21] offset1:1
	flat_load_dwordx4 v[18:21], v[22:23] offset:512
	v_add_co_u32_e32 v22, vcc, s16, v22
	v_addc_co_u32_e32 v23, vcc, v23, v26, vcc
	s_waitcnt vmcnt(0) lgkmcnt(0)
	ds_write2_b64 v25, v[18:19], v[20:21] offset1:1
	flat_load_dwordx4 v[18:21], v[22:23] offset:512
	v_add_u32_e32 v25, 0x2100, v24
	v_add_co_u32_e32 v22, vcc, s16, v22
	v_addc_co_u32_e32 v23, vcc, v23, v26, vcc
	s_mov_b64 s[16:17], 0
	s_waitcnt vmcnt(0) lgkmcnt(0)
	ds_write2_b64 v25, v[18:19], v[20:21] offset1:1
	flat_load_dwordx4 v[18:21], v[22:23] offset:512
	v_add_u32_e32 v22, 0x3180, v24
	s_waitcnt vmcnt(0) lgkmcnt(0)
	ds_write2_b64 v22, v[18:19], v[20:21] offset1:1
.LBB193_43:
	s_andn2_b64 vcc, exec, s[16:17]
	s_cbranch_vccnz .LBB193_61
; %bb.44:
	v_sub_co_u32_e32 v9, vcc, v9, v12
	s_ashr_i32 s25, s24, 31
	v_subbrev_co_u32_e32 v10, vcc, 0, v10, vcc
	s_lshl_b64 s[38:39], s[24:25], 4
	v_mov_b32_e32 v19, s39
	v_add_co_u32_e32 v9, vcc, s38, v9
	v_addc_co_u32_e32 v10, vcc, v10, v19, vcc
	v_or_b32_e32 v18, 32, v1
	v_add_co_u32_e32 v9, vcc, -16, v9
	v_addc_co_u32_e32 v10, vcc, -1, v10, vcc
	v_cmp_gt_i32_e64 s[16:17], s24, v18
	s_sub_i32 s25, s24, 32
	s_movk_i32 s27, 0x210
	v_cndmask_b32_e64 v10, v10, v8, s[16:17]
	v_cndmask_b32_e64 v9, v9, v7, s[16:17]
	v_cmp_le_i32_e32 vcc, s25, v11
	v_mad_u32_u24 v18, v11, s27, v12
	s_and_saveexec_b64 s[40:41], vcc
	s_xor_b64 s[40:41], exec, s[40:41]
; %bb.45:
	v_mov_b32_e32 v19, 0
	v_mov_b32_e32 v20, v19
	;; [unrolled: 1-line block ×4, first 2 shown]
	ds_write_b128 v18, v[19:22]
                                        ; implicit-def: $vgpr18
; %bb.46:
	s_andn2_saveexec_b64 s[40:41], s[40:41]
	s_cbranch_execz .LBB193_48
; %bb.47:
	flat_load_dwordx4 v[19:22], v[9:10]
	s_waitcnt vmcnt(0) lgkmcnt(0)
	ds_write2_b64 v18, v[19:20], v[21:22] offset1:1
.LBB193_48:
	s_or_b64 exec, exec, s[40:41]
	v_add_u32_e32 v19, 8, v11
	v_mul_u32_u24_e32 v18, 0x210, v11
	v_cmp_le_i32_e32 vcc, s25, v19
	s_and_saveexec_b64 s[40:41], vcc
	s_xor_b64 s[40:41], exec, s[40:41]
	s_cbranch_execz .LBB193_50
; %bb.49:
	v_mov_b32_e32 v19, 0
	v_add_u32_e32 v23, v18, v12
	v_mov_b32_e32 v20, v19
	v_mov_b32_e32 v21, v19
	;; [unrolled: 1-line block ×3, first 2 shown]
	ds_write_b128 v23, v[19:22] offset:4224
.LBB193_50:
	s_andn2_saveexec_b64 s[40:41], s[40:41]
	s_cbranch_execz .LBB193_52
; %bb.51:
	s_lshl_b32 s44, s28, 3
	s_ashr_i32 s45, s44, 31
	s_lshl_b64 s[44:45], s[44:45], 4
	v_mov_b32_e32 v20, s45
	v_add_co_u32_e32 v19, vcc, s44, v9
	v_addc_co_u32_e32 v20, vcc, v10, v20, vcc
	flat_load_dwordx4 v[19:22], v[19:20]
	s_movk_i32 s27, 0x1080
	v_add3_u32 v23, v18, v12, s27
	s_waitcnt vmcnt(0) lgkmcnt(0)
	ds_write2_b64 v23, v[19:20], v[21:22] offset1:1
.LBB193_52:
	s_or_b64 exec, exec, s[40:41]
	v_add_u32_e32 v19, 16, v11
	v_cmp_le_i32_e32 vcc, s25, v19
	s_and_saveexec_b64 s[40:41], vcc
	s_xor_b64 s[40:41], exec, s[40:41]
	s_cbranch_execz .LBB193_54
; %bb.53:
	v_mov_b32_e32 v19, 0
	v_add_u32_e32 v23, v18, v12
	v_mov_b32_e32 v20, v19
	v_mov_b32_e32 v21, v19
	;; [unrolled: 1-line block ×3, first 2 shown]
	ds_write_b128 v23, v[19:22] offset:8448
.LBB193_54:
	s_andn2_saveexec_b64 s[40:41], s[40:41]
	s_cbranch_execz .LBB193_56
; %bb.55:
	s_lshl_b32 s44, s28, 4
	s_ashr_i32 s45, s44, 31
	s_lshl_b64 s[44:45], s[44:45], 4
	v_mov_b32_e32 v20, s45
	v_add_co_u32_e32 v19, vcc, s44, v9
	v_addc_co_u32_e32 v20, vcc, v10, v20, vcc
	flat_load_dwordx4 v[19:22], v[19:20]
	s_movk_i32 s27, 0x2100
	v_add3_u32 v23, v18, v12, s27
	s_waitcnt vmcnt(0) lgkmcnt(0)
	ds_write2_b64 v23, v[19:20], v[21:22] offset1:1
.LBB193_56:
	s_or_b64 exec, exec, s[40:41]
	v_add_u32_e32 v19, 24, v11
	v_cmp_le_i32_e32 vcc, s25, v19
	s_and_saveexec_b64 s[40:41], vcc
	s_xor_b64 s[40:41], exec, s[40:41]
	s_cbranch_execz .LBB193_58
; %bb.57:
	v_add_u32_e32 v22, v18, v12
	v_mov_b32_e32 v18, 0
	v_mov_b32_e32 v19, v18
	v_mov_b32_e32 v20, v18
	v_mov_b32_e32 v21, v18
	ds_write_b128 v22, v[18:21] offset:12672
                                        ; implicit-def: $vgpr18
.LBB193_58:
	s_andn2_saveexec_b64 s[40:41], s[40:41]
	s_cbranch_execz .LBB193_60
; %bb.59:
	s_mul_i32 s44, s28, 24
	s_ashr_i32 s45, s44, 31
	s_lshl_b64 s[44:45], s[44:45], 4
	v_mov_b32_e32 v20, s45
	v_add_co_u32_e32 v19, vcc, s44, v9
	v_addc_co_u32_e32 v20, vcc, v10, v20, vcc
	flat_load_dwordx4 v[19:22], v[19:20]
	s_movk_i32 s25, 0x3180
	v_add3_u32 v18, v18, v12, s25
	s_waitcnt vmcnt(0) lgkmcnt(0)
	ds_write2_b64 v18, v[19:20], v[21:22] offset1:1
.LBB193_60:
	s_or_b64 exec, exec, s[40:41]
	v_add_co_u32_e32 v9, vcc, v9, v12
	v_addc_co_u32_e32 v10, vcc, 0, v10, vcc
	v_mov_b32_e32 v18, s39
	v_subrev_co_u32_e32 v9, vcc, s38, v9
	v_subb_co_u32_e32 v10, vcc, v10, v18, vcc
	v_add_co_u32_e32 v9, vcc, 0x210, v9
	v_addc_co_u32_e32 v10, vcc, 0, v10, vcc
	v_cndmask_b32_e64 v8, v10, v8, s[16:17]
	v_cndmask_b32_e64 v7, v9, v7, s[16:17]
.LBB193_61:
	v_add_u32_e32 v15, 0x4700, v15
	v_add_u32_e32 v9, 0x210, v17
	s_waitcnt lgkmcnt(0)
	s_barrier
	s_and_saveexec_b64 s[16:17], s[18:19]
	s_cbranch_execnz .LBB193_70
; %bb.62:
	s_or_b64 exec, exec, s[16:17]
	s_and_saveexec_b64 s[16:17], s[8:9]
	s_cbranch_execnz .LBB193_71
.LBB193_63:
	s_or_b64 exec, exec, s[16:17]
	s_and_saveexec_b64 s[8:9], s[10:11]
	s_cbranch_execnz .LBB193_72
.LBB193_64:
	s_or_b64 exec, exec, s[8:9]
	s_and_saveexec_b64 s[8:9], s[12:13]
	s_cbranch_execz .LBB193_66
.LBB193_65:
	ds_read_b128 v[18:21], v16
	v_lshl_add_u32 v10, v13, 4, v46
	s_waitcnt lgkmcnt(0)
	ds_write_b128 v10, v[18:21] offset:48
.LBB193_66:
	s_or_b64 exec, exec, s[8:9]
	s_waitcnt lgkmcnt(0)
	s_barrier
	ds_read_b128 v[18:21], v15 offset:512
	ds_read_b128 v[22:25], v14
	v_cmp_eq_u32_e64 s[10:11], 1, v11
	s_waitcnt lgkmcnt(0)
	v_mul_f64 v[36:37], v[20:21], v[24:25]
	v_mul_f64 v[43:44], v[18:19], v[24:25]
	ds_read_b128 v[24:27], v17
	ds_read_b128 v[28:31], v15 offset:528
	ds_read_b128 v[32:35], v15 offset:544
	ds_read_b128 v[48:51], v9
	s_waitcnt lgkmcnt(2)
	v_mul_f64 v[9:10], v[30:31], v[26:27]
	v_mul_f64 v[26:27], v[28:29], v[26:27]
	v_fma_f64 v[36:37], v[18:19], v[22:23], -v[36:37]
	v_fma_f64 v[21:22], v[20:21], v[22:23], v[43:44]
	s_waitcnt lgkmcnt(0)
	v_mul_f64 v[43:44], v[34:35], v[50:51]
	v_mul_f64 v[50:51], v[32:33], v[50:51]
	ds_read_b128 v[17:20], v15 offset:560
	ds_read_b128 v[52:55], v16
	v_fma_f64 v[9:10], v[28:29], v[24:25], -v[9:10]
	v_fma_f64 v[23:24], v[30:31], v[24:25], v[26:27]
	s_waitcnt lgkmcnt(0)
	v_add_f64 v[25:26], v[36:37], 0
	v_add_f64 v[21:22], v[21:22], 0
	v_mul_f64 v[27:28], v[19:20], v[54:55]
	v_mul_f64 v[29:30], v[17:18], v[54:55]
	v_fma_f64 v[31:32], v[32:33], v[48:49], -v[43:44]
	v_fma_f64 v[33:34], v[34:35], v[48:49], v[50:51]
	s_barrier
	v_add_f64 v[9:10], v[25:26], v[9:10]
	v_add_f64 v[21:22], v[21:22], v[23:24]
	v_fma_f64 v[16:17], v[17:18], v[52:53], -v[27:28]
	v_fma_f64 v[18:19], v[19:20], v[52:53], v[29:30]
	v_add_f64 v[9:10], v[9:10], v[31:32]
	v_add_f64 v[20:21], v[21:22], v[33:34]
	;; [unrolled: 1-line block ×4, first 2 shown]
	ds_write_b128 v47, v[16:19]
	s_waitcnt lgkmcnt(0)
	s_barrier
	s_and_saveexec_b64 s[8:9], s[10:11]
	s_cbranch_execz .LBB193_68
; %bb.67:
	ds_read_b128 v[3:6], v46
	ds_read_b128 v[16:19], v46 offset:16
	s_waitcnt lgkmcnt(0)
	v_add_f64 v[9:10], v[16:17], v[3:4]
	v_add_f64 v[20:21], v[18:19], v[5:6]
	ds_read_b128 v[3:6], v46 offset:32
	ds_read_b128 v[16:19], v46 offset:48
	s_waitcnt lgkmcnt(1)
	v_add_f64 v[3:4], v[9:10], v[3:4]
	v_add_f64 v[5:6], v[20:21], v[5:6]
	s_waitcnt lgkmcnt(0)
	v_add_f64 v[9:10], v[3:4], v[16:17]
	v_add_f64 v[20:21], v[5:6], v[18:19]
	ds_read_b128 v[3:6], v46 offset:64
	ds_read_b128 v[16:19], v46 offset:80
	s_waitcnt lgkmcnt(1)
	v_add_f64 v[3:4], v[9:10], v[3:4]
	v_add_f64 v[5:6], v[20:21], v[5:6]
	;; [unrolled: 8-line block ×3, first 2 shown]
	s_waitcnt lgkmcnt(0)
	v_add_f64 v[3:4], v[3:4], v[16:17]
	v_add_f64 v[5:6], v[5:6], v[18:19]
.LBB193_68:
	s_or_b64 exec, exec, s[8:9]
	v_mov_b32_e32 v9, s37
	v_subrev_co_u32_e64 v43, s[8:9], s36, v7
	s_and_b64 vcc, exec, s[14:15]
	v_subb_co_u32_e64 v44, s[8:9], v8, v9, s[8:9]
	s_barrier
	s_cbranch_vccnz .LBB193_73
; %bb.69:
	flat_load_dwordx4 v[7:10], v[43:44]
	s_lshl_b32 s8, s28, 3
	s_ashr_i32 s9, s8, 31
	s_movk_i32 s12, 0x210
	s_lshl_b64 s[8:9], s[8:9], 4
	v_mad_u32_u24 v14, v11, s12, v12
	v_mov_b32_e32 v16, s9
	v_add_co_u32_e32 v20, vcc, s8, v43
	v_addc_co_u32_e32 v21, vcc, v44, v16, vcc
	s_ashr_i32 s29, s28, 31
	s_lshl_b64 s[8:9], s[28:29], 7
	s_waitcnt vmcnt(0) lgkmcnt(0)
	ds_write2_b64 v14, v[7:8], v[9:10] offset1:1
	flat_load_dwordx4 v[16:19], v[20:21]
	v_mov_b32_e32 v7, 0x1080
	v_mad_u32_u24 v8, v11, s12, v7
	v_add_u32_e32 v7, v12, v8
	v_mov_b32_e32 v14, s9
	v_add_co_u32_e32 v9, vcc, s8, v20
	v_addc_co_u32_e32 v10, vcc, v21, v14, vcc
	s_waitcnt vmcnt(0) lgkmcnt(0)
	ds_write2_b64 v7, v[16:17], v[18:19] offset1:1
	flat_load_dwordx4 v[16:19], v[9:10]
	v_mov_b32_e32 v7, 0x2100
	v_mad_u32_u24 v7, v11, s12, v7
	v_add_u32_e32 v20, v12, v7
	v_add_co_u32_e32 v9, vcc, s8, v9
	v_addc_co_u32_e32 v10, vcc, v10, v14, vcc
	v_mul_u32_u24_e32 v14, 0x210, v11
	s_waitcnt vmcnt(0) lgkmcnt(0)
	ds_write2_b64 v20, v[16:17], v[18:19] offset1:1
	flat_load_dwordx4 v[18:21], v[9:10]
	v_mov_b32_e32 v17, 0x3180
	v_mad_u32_u24 v17, v11, s12, v17
	v_add_u32_e32 v10, 8, v11
	v_add_u32_e32 v9, 16, v11
	;; [unrolled: 1-line block ×4, first 2 shown]
	s_waitcnt vmcnt(0) lgkmcnt(0)
	ds_write2_b64 v22, v[18:19], v[20:21] offset1:1
	s_cbranch_execz .LBB193_74
	s_branch .LBB193_91
.LBB193_70:
	ds_read_b128 v[18:21], v14
	v_lshl_add_u32 v10, v13, 4, v46
	s_waitcnt lgkmcnt(0)
	ds_write_b128 v10, v[18:21]
	s_or_b64 exec, exec, s[16:17]
	s_and_saveexec_b64 s[16:17], s[8:9]
	s_cbranch_execz .LBB193_63
.LBB193_71:
	ds_read_b128 v[18:21], v17
	v_lshl_add_u32 v10, v13, 4, v46
	s_waitcnt lgkmcnt(0)
	ds_write_b128 v10, v[18:21] offset:16
	s_or_b64 exec, exec, s[16:17]
	s_and_saveexec_b64 s[8:9], s[10:11]
	s_cbranch_execz .LBB193_64
.LBB193_72:
	ds_read_b128 v[18:21], v9
	v_lshl_add_u32 v10, v13, 4, v46
	s_waitcnt lgkmcnt(0)
	ds_write_b128 v10, v[18:21] offset:32
	s_or_b64 exec, exec, s[8:9]
	s_and_saveexec_b64 s[8:9], s[12:13]
	s_cbranch_execnz .LBB193_65
	s_branch .LBB193_66
.LBB193_73:
                                        ; implicit-def: $vgpr14
                                        ; implicit-def: $vgpr10
                                        ; implicit-def: $vgpr8
                                        ; implicit-def: $vgpr9
                                        ; implicit-def: $vgpr7
                                        ; implicit-def: $vgpr16
                                        ; implicit-def: $vgpr17
.LBB193_74:
	v_or_b32_e32 v1, 32, v1
	v_lshlrev_b32_e32 v7, 4, v1
	v_sub_co_u32_e32 v7, vcc, v43, v7
	s_ashr_i32 s25, s24, 31
	v_subbrev_co_u32_e32 v8, vcc, 0, v44, vcc
	s_lshl_b64 s[12:13], s[24:25], 4
	v_mov_b32_e32 v9, s13
	v_add_co_u32_e32 v7, vcc, s12, v7
	v_addc_co_u32_e32 v8, vcc, v8, v9, vcc
	v_add_co_u32_e32 v7, vcc, -16, v7
	v_addc_co_u32_e32 v8, vcc, -1, v8, vcc
	v_cmp_gt_i32_e64 s[8:9], s24, v1
	s_movk_i32 s14, 0x210
	v_cndmask_b32_e64 v8, v8, v44, s[8:9]
	v_cndmask_b32_e64 v7, v7, v43, s[8:9]
	v_cmp_le_i32_e32 vcc, s24, v11
	v_mad_u32_u24 v1, v11, s14, v12
	s_and_saveexec_b64 s[14:15], vcc
	s_xor_b64 s[14:15], exec, s[14:15]
; %bb.75:
	v_mov_b32_e32 v16, 0
	v_mov_b32_e32 v17, v16
	v_mov_b32_e32 v18, v16
	v_mov_b32_e32 v19, v16
	ds_write_b128 v1, v[16:19]
                                        ; implicit-def: $vgpr1
; %bb.76:
	s_andn2_saveexec_b64 s[14:15], s[14:15]
	s_cbranch_execz .LBB193_78
; %bb.77:
	flat_load_dwordx4 v[16:19], v[7:8]
	s_waitcnt vmcnt(0) lgkmcnt(0)
	ds_write2_b64 v1, v[16:17], v[18:19] offset1:1
.LBB193_78:
	s_or_b64 exec, exec, s[14:15]
	v_add_u32_e32 v10, 8, v11
	v_mul_u32_u24_e32 v14, 0x210, v11
	v_cmp_le_i32_e32 vcc, s24, v10
	s_and_saveexec_b64 s[14:15], vcc
	s_xor_b64 s[14:15], exec, s[14:15]
	s_cbranch_execz .LBB193_80
; %bb.79:
	v_mov_b32_e32 v16, 0
	v_add_u32_e32 v1, v14, v12
	v_mov_b32_e32 v17, v16
	v_mov_b32_e32 v18, v16
	;; [unrolled: 1-line block ×3, first 2 shown]
	ds_write_b128 v1, v[16:19] offset:4224
.LBB193_80:
	s_andn2_saveexec_b64 s[14:15], s[14:15]
	s_cbranch_execz .LBB193_82
; %bb.81:
	s_lshl_b32 s16, s28, 3
	s_ashr_i32 s17, s16, 31
	s_lshl_b64 s[16:17], s[16:17], 4
	v_mov_b32_e32 v1, s17
	v_add_co_u32_e32 v16, vcc, s16, v7
	v_addc_co_u32_e32 v17, vcc, v8, v1, vcc
	flat_load_dwordx4 v[16:19], v[16:17]
	s_movk_i32 s16, 0x1080
	v_add3_u32 v1, v14, v12, s16
	s_waitcnt vmcnt(0) lgkmcnt(0)
	ds_write2_b64 v1, v[16:17], v[18:19] offset1:1
.LBB193_82:
	s_or_b64 exec, exec, s[14:15]
	v_add_u32_e32 v9, 16, v11
	v_cmp_le_i32_e32 vcc, s24, v9
	s_and_saveexec_b64 s[14:15], vcc
	s_xor_b64 s[14:15], exec, s[14:15]
	s_cbranch_execz .LBB193_84
; %bb.83:
	v_mov_b32_e32 v16, 0
	v_add_u32_e32 v1, v14, v12
	v_mov_b32_e32 v17, v16
	v_mov_b32_e32 v18, v16
	v_mov_b32_e32 v19, v16
	ds_write_b128 v1, v[16:19] offset:8448
.LBB193_84:
	s_andn2_saveexec_b64 s[14:15], s[14:15]
	s_cbranch_execz .LBB193_86
; %bb.85:
	s_lshl_b32 s16, s28, 4
	s_ashr_i32 s17, s16, 31
	s_lshl_b64 s[16:17], s[16:17], 4
	v_mov_b32_e32 v1, s17
	v_add_co_u32_e32 v16, vcc, s16, v7
	v_addc_co_u32_e32 v17, vcc, v8, v1, vcc
	flat_load_dwordx4 v[16:19], v[16:17]
	s_movk_i32 s16, 0x2100
	v_add3_u32 v1, v14, v12, s16
	s_waitcnt vmcnt(0) lgkmcnt(0)
	ds_write2_b64 v1, v[16:17], v[18:19] offset1:1
.LBB193_86:
	s_or_b64 exec, exec, s[14:15]
	v_add_u32_e32 v16, 24, v11
	v_cmp_le_i32_e32 vcc, s24, v16
                                        ; implicit-def: $vgpr17
	s_and_saveexec_b64 s[14:15], vcc
	s_xor_b64 s[14:15], exec, s[14:15]
	s_cbranch_execz .LBB193_88
; %bb.87:
	v_add_u32_e32 v17, 0x3180, v14
	v_mov_b32_e32 v18, 0
	v_add_u32_e32 v1, v12, v17
	v_mov_b32_e32 v19, v18
	v_mov_b32_e32 v20, v18
	;; [unrolled: 1-line block ×3, first 2 shown]
	ds_write_b128 v1, v[18:21]
.LBB193_88:
	s_andn2_saveexec_b64 s[14:15], s[14:15]
	s_cbranch_execz .LBB193_90
; %bb.89:
	s_mul_i32 s16, s28, 24
	s_ashr_i32 s17, s16, 31
	s_lshl_b64 s[16:17], s[16:17], 4
	v_mov_b32_e32 v1, s17
	v_add_co_u32_e32 v17, vcc, s16, v7
	v_addc_co_u32_e32 v18, vcc, v8, v1, vcc
	flat_load_dwordx4 v[18:21], v[17:18]
	v_add_u32_e32 v17, 0x3180, v14
	v_add_u32_e32 v1, v12, v17
	s_waitcnt vmcnt(0) lgkmcnt(0)
	ds_write2_b64 v1, v[18:19], v[20:21] offset1:1
.LBB193_90:
	s_or_b64 exec, exec, s[14:15]
	v_add_co_u32_e32 v1, vcc, v7, v12
	v_addc_co_u32_e32 v7, vcc, 0, v8, vcc
	v_mov_b32_e32 v8, s13
	v_subrev_co_u32_e32 v1, vcc, s12, v1
	v_subb_co_u32_e32 v7, vcc, v7, v8, vcc
	v_add_co_u32_e32 v1, vcc, 0x210, v1
	v_addc_co_u32_e32 v7, vcc, 0, v7, vcc
	v_cndmask_b32_e64 v44, v7, v44, s[8:9]
	v_cndmask_b32_e64 v43, v1, v43, s[8:9]
	v_add_u32_e32 v8, 0x1080, v14
	v_add_u32_e32 v7, 0x2100, v14
.LBB193_91:
	v_lshlrev_b32_e32 v11, 4, v11
	s_waitcnt lgkmcnt(0)
	s_barrier
	v_add_u32_e32 v1, v12, v14
	ds_read_b128 v[18:21], v11 offset:18176
	ds_read_b128 v[22:25], v1
	v_add_u32_e32 v1, v12, v8
	v_lshlrev_b32_e32 v8, 4, v10
	ds_read_b128 v[26:29], v8 offset:18176
	ds_read_b128 v[30:33], v1
	v_add_u32_e32 v1, v12, v7
	s_waitcnt lgkmcnt(2)
	v_mul_f64 v[34:35], v[20:21], v[24:25]
	v_mul_f64 v[24:25], v[18:19], v[24:25]
	v_lshlrev_b32_e32 v7, 4, v9
	s_waitcnt lgkmcnt(0)
	v_mul_f64 v[48:49], v[28:29], v[32:33]
	v_mul_f64 v[32:33], v[26:27], v[32:33]
	v_lshlrev_b32_e32 v11, 4, v16
	v_fma_f64 v[18:19], v[18:19], v[22:23], -v[34:35]
	v_fma_f64 v[24:25], v[20:21], v[22:23], v[24:25]
	ds_read_b128 v[7:10], v7 offset:18176
	ds_read_b128 v[34:37], v1
	v_fma_f64 v[26:27], v[26:27], v[30:31], -v[48:49]
	v_add_u32_e32 v1, v12, v17
	v_fma_f64 v[28:29], v[28:29], v[30:31], v[32:33]
	s_waitcnt lgkmcnt(0)
	v_mul_f64 v[50:51], v[9:10], v[36:37]
	v_add_f64 v[48:49], v[18:19], 0
	ds_read_b128 v[16:19], v11 offset:18176
	ds_read2_b64 v[20:23], v1 offset1:1
	v_mul_f64 v[11:12], v[7:8], v[36:37]
	v_add_f64 v[24:25], v[24:25], 0
	v_lshl_add_u32 v1, v13, 4, v46
	s_waitcnt lgkmcnt(0)
	v_mul_f64 v[30:31], v[18:19], v[22:23]
	v_fma_f64 v[7:8], v[7:8], v[34:35], -v[50:51]
	v_add_f64 v[26:27], v[48:49], v[26:27]
	v_fma_f64 v[9:10], v[9:10], v[34:35], v[11:12]
	v_mul_f64 v[11:12], v[16:17], v[22:23]
	v_add_f64 v[22:23], v[24:25], v[28:29]
	v_fma_f64 v[16:17], v[16:17], v[20:21], -v[30:31]
	v_add_f64 v[27:28], v[26:27], v[7:8]
	v_fma_f64 v[18:19], v[18:19], v[20:21], v[11:12]
	v_add_f64 v[20:21], v[22:23], v[9:10]
	ds_read_b128 v[31:34], v1
	ds_read_b128 v[23:26], v1 offset:16
	ds_read_b128 v[11:14], v1 offset:32
	;; [unrolled: 1-line block ×3, first 2 shown]
	v_add_f64 v[48:49], v[27:28], v[16:17]
	v_add_f64 v[50:51], v[20:21], v[18:19]
	ds_read_b128 v[35:38], v15 offset:512
	ds_read_b128 v[27:30], v15 offset:528
	;; [unrolled: 1-line block ×4, first 2 shown]
	s_waitcnt lgkmcnt(0)
	s_barrier
	ds_write_b128 v47, v[48:51]
	s_waitcnt lgkmcnt(0)
	s_barrier
	s_and_saveexec_b64 s[8:9], s[10:11]
	s_cbranch_execz .LBB193_93
; %bb.92:
	ds_read_b128 v[48:51], v46
	ds_read_b128 v[52:55], v46 offset:16
	s_waitcnt lgkmcnt(1)
	v_add_f64 v[3:4], v[3:4], v[48:49]
	v_add_f64 v[5:6], v[5:6], v[50:51]
	s_waitcnt lgkmcnt(0)
	v_add_f64 v[52:53], v[3:4], v[52:53]
	v_add_f64 v[54:55], v[5:6], v[54:55]
	ds_read_b128 v[3:6], v46 offset:32
	ds_read_b128 v[48:51], v46 offset:48
	s_waitcnt lgkmcnt(1)
	v_add_f64 v[3:4], v[52:53], v[3:4]
	v_add_f64 v[5:6], v[54:55], v[5:6]
	s_waitcnt lgkmcnt(0)
	v_add_f64 v[52:53], v[3:4], v[48:49]
	v_add_f64 v[54:55], v[5:6], v[50:51]
	ds_read_b128 v[3:6], v46 offset:64
	;; [unrolled: 8-line block ×3, first 2 shown]
	ds_read_b128 v[48:51], v46 offset:112
	s_waitcnt lgkmcnt(1)
	v_add_f64 v[3:4], v[52:53], v[3:4]
	v_add_f64 v[5:6], v[54:55], v[5:6]
	s_waitcnt lgkmcnt(0)
	v_add_f64 v[3:4], v[3:4], v[48:49]
	v_add_f64 v[5:6], v[5:6], v[50:51]
.LBB193_93:
	s_or_b64 exec, exec, s[8:9]
	v_mul_f64 v[48:49], v[33:34], v[37:38]
	v_mul_f64 v[37:38], v[31:32], v[37:38]
	v_mul_f64 v[50:51], v[25:26], v[29:30]
	v_mul_f64 v[29:30], v[23:24], v[29:30]
	s_barrier
	v_fma_f64 v[31:32], v[31:32], v[35:36], -v[48:49]
	v_fma_f64 v[33:34], v[33:34], v[35:36], v[37:38]
	v_mul_f64 v[35:36], v[13:14], v[21:22]
	v_mul_f64 v[21:22], v[11:12], v[21:22]
	v_fma_f64 v[23:24], v[23:24], v[27:28], -v[50:51]
	v_fma_f64 v[25:26], v[25:26], v[27:28], v[29:30]
	v_add_f64 v[27:28], v[31:32], 0
	v_add_f64 v[29:30], v[33:34], 0
	v_mul_f64 v[31:32], v[9:10], v[17:18]
	v_mul_f64 v[17:18], v[7:8], v[17:18]
	v_fma_f64 v[11:12], v[11:12], v[19:20], -v[35:36]
	v_fma_f64 v[13:14], v[13:14], v[19:20], v[21:22]
	v_add_f64 v[19:20], v[27:28], v[23:24]
	v_add_f64 v[21:22], v[29:30], v[25:26]
	v_fma_f64 v[7:8], v[7:8], v[15:16], -v[31:32]
	v_fma_f64 v[9:10], v[9:10], v[15:16], v[17:18]
	v_add_f64 v[11:12], v[19:20], v[11:12]
	v_add_f64 v[13:14], v[21:22], v[13:14]
	;; [unrolled: 1-line block ×4, first 2 shown]
	ds_write_b128 v47, v[7:10]
	s_waitcnt lgkmcnt(0)
	s_barrier
	s_and_saveexec_b64 s[8:9], s[4:5]
	s_cbranch_execz .LBB193_95
; %bb.94:
	ds_read_b128 v[7:10], v46
	ds_read_b128 v[11:14], v46 offset:16
	s_waitcnt lgkmcnt(1)
	v_add_f64 v[3:4], v[3:4], v[7:8]
	v_add_f64 v[5:6], v[5:6], v[9:10]
	s_waitcnt lgkmcnt(0)
	v_add_f64 v[11:12], v[3:4], v[11:12]
	v_add_f64 v[13:14], v[5:6], v[13:14]
	ds_read_b128 v[3:6], v46 offset:32
	ds_read_b128 v[7:10], v46 offset:48
	s_waitcnt lgkmcnt(1)
	v_add_f64 v[3:4], v[11:12], v[3:4]
	v_add_f64 v[5:6], v[13:14], v[5:6]
	s_waitcnt lgkmcnt(0)
	v_add_f64 v[11:12], v[3:4], v[7:8]
	v_add_f64 v[13:14], v[5:6], v[9:10]
	ds_read_b128 v[3:6], v46 offset:64
	;; [unrolled: 8-line block ×3, first 2 shown]
	ds_read_b128 v[7:10], v46 offset:112
	s_waitcnt lgkmcnt(1)
	v_add_f64 v[3:4], v[11:12], v[3:4]
	v_add_f64 v[5:6], v[13:14], v[5:6]
	s_waitcnt lgkmcnt(0)
	v_add_f64 v[3:4], v[3:4], v[7:8]
	v_add_f64 v[5:6], v[5:6], v[9:10]
.LBB193_95:
	s_or_b64 exec, exec, s[8:9]
	s_mul_hi_u32 s4, s21, s20
	s_mul_i32 s42, s42, s20
	s_add_i32 s4, s4, s42
	s_mul_i32 s8, s21, s20
	s_mul_i32 s4, s4, s33
	s_mul_hi_u32 s5, s8, s33
	s_add_i32 s5, s5, s4
	s_mul_i32 s4, s8, s33
	s_lshl_b64 s[4:5], s[4:5], 4
	s_add_u32 s8, s22, s4
	s_mul_i32 s4, s21, s6
	s_addc_u32 s9, s23, s5
	s_ashr_i32 s5, s4, 31
	s_lshl_b64 s[4:5], s[4:5], 4
	s_add_u32 s16, s8, s4
	v_cmp_le_i32_e32 vcc, s24, v0
	s_addc_u32 s17, s9, s5
	s_and_b64 s[4:5], s[34:35], vcc
	s_cmp_lt_i32 s6, 1
	v_lshlrev_b32_e32 v146, 4, v0
	s_barrier
	s_cbranch_scc1 .LBB193_102
; %bb.96:
	s_mul_i32 s8, s7, s26
	s_ashr_i32 s9, s8, 31
	s_lshl_b64 s[8:9], s[8:9], 4
	v_mov_b32_e32 v1, s9
	v_subrev_co_u32_e32 v147, vcc, s8, v39
	v_subb_co_u32_e32 v148, vcc, v40, v1, vcc
	v_mov_b32_e32 v1, s31
	v_subrev_co_u32_e32 v7, vcc, s30, v43
	v_mul_lo_u32 v8, v2, s28
	v_subb_co_u32_e32 v1, vcc, v44, v1, vcc
	v_add_co_u32_e32 v7, vcc, 0xfffffe00, v7
	v_addc_co_u32_e32 v1, vcc, -1, v1, vcc
	v_sub_co_u32_e32 v11, vcc, v7, v41
	v_lshl_add_u32 v7, v8, 2, v0
	v_ashrrev_i32_e32 v8, 31, v7
	v_lshlrev_b64 v[7:8], 4, v[7:8]
	v_subb_co_u32_e32 v1, vcc, v1, v42, vcc
	v_add_co_u32_e32 v7, vcc, v11, v7
	v_addc_co_u32_e32 v8, vcc, v1, v8, vcc
	v_sub_co_u32_e32 v11, vcc, v7, v146
	s_ashr_i32 s25, s24, 31
	v_subbrev_co_u32_e32 v12, vcc, 0, v8, vcc
	s_lshl_b64 s[8:9], s[24:25], 4
	v_mov_b32_e32 v13, s9
	v_add_co_u32_e32 v11, vcc, s8, v11
	v_addc_co_u32_e32 v12, vcc, v12, v13, vcc
	v_add_co_u32_e32 v11, vcc, -16, v11
	v_addc_co_u32_e32 v12, vcc, -1, v12, vcc
	v_lshrrev_b32_e32 v9, 4, v45
	v_cndmask_b32_e64 v12, v8, v12, s[4:5]
	v_cndmask_b32_e64 v11, v7, v11, s[4:5]
	v_mov_b32_e32 v7, 0x4300
	s_movk_i32 s8, 0x10c0
	v_and_b32_e32 v8, 48, v0
	v_and_b32_e32 v10, 15, v0
	v_lshl_add_u32 v150, v2, 6, v7
	v_mad_u32_u24 v152, v2, s8, v146
	v_lshlrev_b32_e32 v7, 6, v9
	s_movk_i32 s8, 0x430
	v_lshlrev_b32_e32 v8, 4, v8
	s_ashr_i32 s29, s28, 31
	v_mad_u32_u24 v153, v10, s8, v7
	v_mul_i32_i24_e32 v7, 0xffffffd0, v9
	v_mad_u32_u24 v154, v10, s8, v8
	v_or_b32_e32 v8, 0xf0, v146
	s_lshl_b64 s[10:11], s[28:29], 4
	s_mul_hi_i32 s18, s28, 0xd0
	v_mov_b32_e32 v1, 0
	s_lshl_b32 s7, s7, 6
	v_add_u32_e32 v149, 0x4300, v146
	v_add_u32_e32 v151, 0x4700, v146
	v_cmp_gt_u32_e32 vcc, 64, v45
	v_mad_u32_u24 v155, v10, s8, v8
	s_mul_i32 s19, s28, 0xd0
	s_mov_b32 s12, 0
	v_mov_b32_e32 v156, s11
	v_mov_b32_e32 v157, s18
	v_add_u32_e32 v158, v153, v7
	s_branch .LBB193_98
.LBB193_97:                             ;   in Loop: Header=BB193_98 Depth=1
	s_or_b64 exec, exec, s[14:15]
	v_mul_f64 v[87:88], v[9:10], v[37:38]
	v_mul_f64 v[37:38], v[7:8], v[37:38]
	;; [unrolled: 1-line block ×4, first 2 shown]
	s_add_i32 s6, s6, -1
	s_add_i32 s12, s12, s7
	v_add_u32_e32 v0, 64, v0
	s_cmp_eq_u32 s6, 0
	v_fma_f64 v[7:8], v[7:8], v[35:36], -v[87:88]
	v_fma_f64 v[9:10], v[9:10], v[35:36], v[37:38]
	v_mul_f64 v[35:36], v[17:18], v[29:30]
	v_mul_f64 v[29:30], v[15:16], v[29:30]
	v_fma_f64 v[19:20], v[19:20], v[31:32], -v[89:90]
	v_fma_f64 v[21:22], v[21:22], v[31:32], v[33:34]
	s_waitcnt vmcnt(0)
	s_barrier
	v_add_f64 v[3:4], v[3:4], v[7:8]
	v_add_f64 v[5:6], v[5:6], v[9:10]
	v_mul_f64 v[7:8], v[13:14], v[25:26]
	v_mul_f64 v[9:10], v[11:12], v[25:26]
	v_fma_f64 v[15:16], v[15:16], v[27:28], -v[35:36]
	v_fma_f64 v[17:18], v[17:18], v[27:28], v[29:30]
	v_add_f64 v[3:4], v[3:4], v[19:20]
	v_add_f64 v[5:6], v[5:6], v[21:22]
	v_mul_f64 v[19:20], v[49:50], v[85:86]
	v_mul_f64 v[21:22], v[47:48], v[85:86]
	v_fma_f64 v[7:8], v[11:12], v[23:24], -v[7:8]
	v_fma_f64 v[9:10], v[13:14], v[23:24], v[9:10]
	v_mul_f64 v[11:12], v[53:54], v[81:82]
	v_mul_f64 v[13:14], v[51:52], v[81:82]
	v_add_f64 v[3:4], v[3:4], v[15:16]
	v_add_f64 v[5:6], v[5:6], v[17:18]
	v_fma_f64 v[15:16], v[47:48], v[83:84], -v[19:20]
	v_fma_f64 v[17:18], v[49:50], v[83:84], v[21:22]
	v_fma_f64 v[11:12], v[51:52], v[79:80], -v[11:12]
	v_fma_f64 v[13:14], v[53:54], v[79:80], v[13:14]
	v_add_f64 v[3:4], v[3:4], v[7:8]
	v_add_f64 v[5:6], v[5:6], v[9:10]
	v_mul_f64 v[7:8], v[45:46], v[77:78]
	v_mul_f64 v[9:10], v[43:44], v[77:78]
	v_add_f64 v[3:4], v[3:4], v[15:16]
	v_add_f64 v[5:6], v[5:6], v[17:18]
	v_mul_f64 v[15:16], v[41:42], v[73:74]
	v_mul_f64 v[17:18], v[39:40], v[73:74]
	v_fma_f64 v[7:8], v[43:44], v[75:76], -v[7:8]
	v_fma_f64 v[9:10], v[45:46], v[75:76], v[9:10]
	v_add_f64 v[3:4], v[3:4], v[11:12]
	v_add_f64 v[5:6], v[5:6], v[13:14]
	v_mul_f64 v[11:12], v[65:66], v[125:126]
	v_mul_f64 v[13:14], v[63:64], v[125:126]
	v_fma_f64 v[15:16], v[39:40], v[71:72], -v[15:16]
	v_fma_f64 v[17:18], v[41:42], v[71:72], v[17:18]
	;; [unrolled: 6-line block ×9, first 2 shown]
	v_add_f64 v[3:4], v[3:4], v[15:16]
	v_add_f64 v[5:6], v[5:6], v[17:18]
	v_fma_f64 v[7:8], v[107:108], v[127:128], -v[7:8]
	v_fma_f64 v[9:10], v[109:110], v[127:128], v[9:10]
	v_add_f64 v[3:4], v[3:4], v[11:12]
	v_add_f64 v[5:6], v[5:6], v[13:14]
	v_add_co_u32_e64 v11, s[8:9], s19, v144
	v_add_f64 v[3:4], v[3:4], v[7:8]
	v_add_f64 v[5:6], v[5:6], v[9:10]
	v_mov_b32_e32 v7, s18
	v_addc_co_u32_e64 v12, s[8:9], v145, v7, s[8:9]
	s_cbranch_scc1 .LBB193_102
.LBB193_98:                             ; =>This Inner Loop Header: Depth=1
	s_and_saveexec_b64 s[14:15], s[2:3]
	s_cbranch_execz .LBB193_100
; %bb.99:                               ;   in Loop: Header=BB193_98 Depth=1
	s_ashr_i32 s13, s12, 31
	s_lshl_b64 s[8:9], s[12:13], 4
	v_mov_b32_e32 v8, s9
	v_add_co_u32_e64 v7, s[8:9], s8, v147
	v_addc_co_u32_e64 v8, s[8:9], v148, v8, s[8:9]
	flat_load_dwordx4 v[7:10], v[7:8]
	s_waitcnt vmcnt(0) lgkmcnt(0)
	ds_write2_b64 v149, v[7:8], v[9:10] offset1:1
.LBB193_100:                            ;   in Loop: Header=BB193_98 Depth=1
	s_or_b64 exec, exec, s[14:15]
	s_waitcnt lgkmcnt(0)
	s_barrier
	flat_load_dwordx4 v[7:10], v[11:12]
	v_add_co_u32_e64 v11, s[8:9], s10, v11
	v_addc_co_u32_e64 v12, s[8:9], v12, v156, s[8:9]
	v_add_co_u32_e64 v13, s[8:9], s10, v11
	v_addc_co_u32_e64 v14, s[8:9], v12, v156, s[8:9]
	v_add_co_u32_e64 v43, s[8:9], s10, v13
	flat_load_dwordx4 v[19:22], v[11:12]
	flat_load_dwordx4 v[15:18], v[13:14]
	v_addc_co_u32_e64 v44, s[8:9], v14, v156, s[8:9]
	flat_load_dwordx4 v[11:14], v[43:44]
	ds_read_b128 v[39:42], v151
	ds_read_b128 v[35:38], v150
	ds_read_b128 v[31:34], v150 offset:16
	ds_read_b128 v[27:30], v150 offset:32
	;; [unrolled: 1-line block ×3, first 2 shown]
	v_add_co_u32_e64 v57, s[8:9], s19, v43
	v_addc_co_u32_e64 v58, s[8:9], v44, v157, s[8:9]
	v_add_co_u32_e64 v59, s[8:9], s10, v57
	v_addc_co_u32_e64 v60, s[8:9], v58, v156, s[8:9]
	s_waitcnt vmcnt(0) lgkmcnt(0)
	v_mul_f64 v[43:44], v[9:10], v[41:42]
	v_mul_f64 v[45:46], v[7:8], v[41:42]
	;; [unrolled: 1-line block ×8, first 2 shown]
	v_fma_f64 v[41:42], v[7:8], v[39:40], -v[43:44]
	v_fma_f64 v[43:44], v[9:10], v[39:40], v[45:46]
	v_fma_f64 v[45:46], v[19:20], v[39:40], -v[47:48]
	v_fma_f64 v[47:48], v[21:22], v[39:40], v[49:50]
	;; [unrolled: 2-line block ×4, first 2 shown]
	v_add_co_u32_e64 v39, s[8:9], s10, v59
	v_addc_co_u32_e64 v40, s[8:9], v60, v156, s[8:9]
	ds_write_b128 v152, v[41:44]
	ds_write_b128 v152, v[45:48] offset:1072
	ds_write_b128 v152, v[49:52] offset:2144
	;; [unrolled: 1-line block ×3, first 2 shown]
	v_add_co_u32_e64 v55, s[8:9], s10, v39
	s_waitcnt lgkmcnt(0)
	s_barrier
	ds_read_b128 v[127:130], v153
	ds_read_b128 v[131:134], v153 offset:16
	ds_read_b128 v[91:94], v153 offset:32
	;; [unrolled: 1-line block ×3, first 2 shown]
	s_waitcnt lgkmcnt(0)
	s_barrier
	flat_load_dwordx4 v[47:50], v[57:58]
	flat_load_dwordx4 v[51:54], v[59:60]
	;; [unrolled: 1-line block ×3, first 2 shown]
	v_addc_co_u32_e64 v56, s[8:9], v40, v156, s[8:9]
	flat_load_dwordx4 v[39:42], v[55:56]
	v_add_co_u32_e64 v69, s[8:9], s19, v55
	v_addc_co_u32_e64 v70, s[8:9], v56, v157, s[8:9]
	ds_read_b128 v[55:58], v151
	v_add_co_u32_e64 v99, s[8:9], s10, v69
	v_addc_co_u32_e64 v100, s[8:9], v70, v156, s[8:9]
	v_add_co_u32_e64 v101, s[8:9], s10, v99
	v_addc_co_u32_e64 v102, s[8:9], v100, v156, s[8:9]
	s_waitcnt vmcnt(0) lgkmcnt(0)
	v_mul_f64 v[59:60], v[49:50], v[57:58]
	v_mul_f64 v[61:62], v[47:48], v[57:58]
	;; [unrolled: 1-line block ×8, first 2 shown]
	v_fma_f64 v[57:58], v[47:48], v[55:56], -v[59:60]
	v_fma_f64 v[59:60], v[49:50], v[55:56], v[61:62]
	v_fma_f64 v[61:62], v[51:52], v[55:56], -v[63:64]
	v_fma_f64 v[63:64], v[53:54], v[55:56], v[65:66]
	;; [unrolled: 2-line block ×4, first 2 shown]
	ds_read_b128 v[83:86], v150 offset:256
	ds_read_b128 v[79:82], v150 offset:272
	;; [unrolled: 1-line block ×4, first 2 shown]
	ds_write_b128 v152, v[57:60]
	ds_write_b128 v152, v[61:64] offset:1072
	ds_write_b128 v152, v[65:68] offset:2144
	ds_write_b128 v152, v[95:98] offset:3216
	v_add_co_u32_e64 v95, s[8:9], s10, v101
	s_waitcnt lgkmcnt(0)
	s_barrier
	ds_read_b128 v[159:162], v153
	ds_read_b128 v[163:166], v153 offset:16
	ds_read_b128 v[167:170], v153 offset:32
	;; [unrolled: 1-line block ×3, first 2 shown]
	s_waitcnt lgkmcnt(0)
	s_barrier
	flat_load_dwordx4 v[63:66], v[69:70]
	flat_load_dwordx4 v[59:62], v[99:100]
	;; [unrolled: 1-line block ×3, first 2 shown]
	v_addc_co_u32_e64 v96, s[8:9], v102, v156, s[8:9]
	flat_load_dwordx4 v[67:70], v[95:96]
	v_add_co_u32_e64 v109, s[8:9], s19, v95
	v_addc_co_u32_e64 v110, s[8:9], v96, v157, s[8:9]
	ds_read_b128 v[95:98], v151
	v_add_co_u32_e64 v139, s[8:9], s10, v109
	v_addc_co_u32_e64 v140, s[8:9], v110, v156, s[8:9]
	v_add_co_u32_e64 v141, s[8:9], s10, v139
	v_addc_co_u32_e64 v142, s[8:9], v140, v156, s[8:9]
	v_add_co_u32_e64 v144, s[8:9], s10, v141
	v_addc_co_u32_e64 v145, s[8:9], v142, v156, s[8:9]
	v_add_f64 v[211:212], v[159:160], 0
	v_add_f64 v[163:164], v[211:212], v[163:164]
	;; [unrolled: 1-line block ×3, first 2 shown]
	s_waitcnt vmcnt(0) lgkmcnt(0)
	v_mul_f64 v[99:100], v[65:66], v[97:98]
	v_mul_f64 v[101:102], v[63:64], v[97:98]
	;; [unrolled: 1-line block ×8, first 2 shown]
	v_fma_f64 v[97:98], v[63:64], v[95:96], -v[99:100]
	v_fma_f64 v[99:100], v[65:66], v[95:96], v[101:102]
	v_fma_f64 v[101:102], v[59:60], v[95:96], -v[103:104]
	v_fma_f64 v[103:104], v[61:62], v[95:96], v[105:106]
	;; [unrolled: 2-line block ×4, first 2 shown]
	ds_read_b128 v[123:126], v150 offset:512
	ds_read_b128 v[119:122], v150 offset:528
	;; [unrolled: 1-line block ×4, first 2 shown]
	ds_write_b128 v152, v[97:100]
	ds_write_b128 v152, v[101:104] offset:1072
	ds_write_b128 v152, v[105:108] offset:2144
	;; [unrolled: 1-line block ×3, first 2 shown]
	s_waitcnt lgkmcnt(0)
	s_barrier
	ds_read_b128 v[175:178], v153
	ds_read_b128 v[179:182], v153 offset:16
	ds_read_b128 v[183:186], v153 offset:32
	;; [unrolled: 1-line block ×3, first 2 shown]
	s_waitcnt lgkmcnt(0)
	s_barrier
	flat_load_dwordx4 v[99:102], v[109:110]
	flat_load_dwordx4 v[95:98], v[139:140]
	flat_load_dwordx4 v[103:106], v[141:142]
	v_add_f64 v[135:136], v[127:128], 0
	flat_load_dwordx4 v[107:110], v[144:145]
	v_add_f64 v[137:138], v[129:130], 0
	ds_read_b128 v[127:130], v151
	v_add_f64 v[175:176], v[175:176], 0
	v_add_f64 v[177:178], v[177:178], 0
	;; [unrolled: 1-line block ×9, first 2 shown]
	s_waitcnt vmcnt(0) lgkmcnt(0)
	v_mul_f64 v[131:132], v[101:102], v[129:130]
	v_mul_f64 v[133:134], v[99:100], v[129:130]
	v_mul_f64 v[135:136], v[97:98], v[129:130]
	v_mul_f64 v[137:138], v[95:96], v[129:130]
	v_mul_f64 v[139:140], v[105:106], v[129:130]
	v_mul_f64 v[141:142], v[103:104], v[129:130]
	v_mul_f64 v[159:160], v[109:110], v[129:130]
	v_mul_f64 v[129:130], v[107:108], v[129:130]
	v_fma_f64 v[191:192], v[99:100], v[127:128], -v[131:132]
	v_fma_f64 v[193:194], v[101:102], v[127:128], v[133:134]
	v_fma_f64 v[195:196], v[95:96], v[127:128], -v[135:136]
	v_fma_f64 v[197:198], v[97:98], v[127:128], v[137:138]
	v_fma_f64 v[199:200], v[103:104], v[127:128], -v[139:140]
	v_fma_f64 v[201:202], v[105:106], v[127:128], v[141:142]
	v_fma_f64 v[203:204], v[107:108], v[127:128], -v[159:160]
	v_fma_f64 v[205:206], v[109:110], v[127:128], v[129:130]
	ds_read_b128 v[139:142], v150 offset:768
	ds_read_b128 v[135:138], v150 offset:784
	;; [unrolled: 1-line block ×4, first 2 shown]
	ds_write_b128 v152, v[191:194]
	ds_write_b128 v152, v[195:198] offset:1072
	ds_write_b128 v152, v[199:202] offset:2144
	;; [unrolled: 1-line block ×3, first 2 shown]
	s_waitcnt lgkmcnt(0)
	s_barrier
	ds_read_b128 v[191:194], v153
	v_add_f64 v[195:196], v[161:162], 0
	ds_read_b128 v[159:162], v153 offset:16
	v_add_f64 v[197:198], v[207:208], v[91:92]
	ds_read_b128 v[91:94], v153 offset:32
	s_waitcnt lgkmcnt(2)
	v_add_f64 v[191:192], v[191:192], 0
	v_add_f64 v[193:194], v[193:194], 0
	;; [unrolled: 1-line block ×4, first 2 shown]
	s_waitcnt lgkmcnt(1)
	v_add_f64 v[181:182], v[191:192], v[159:160]
	v_add_f64 v[191:192], v[193:194], v[161:162]
	ds_read_b128 v[159:162], v153 offset:48
	s_waitcnt lgkmcnt(0)
	v_add_f64 v[165:166], v[165:166], v[169:170]
	v_add_f64 v[169:170], v[177:178], v[185:186]
	s_barrier
	v_add_f64 v[175:176], v[181:182], v[91:92]
	v_add_f64 v[177:178], v[191:192], v[93:94]
	;; [unrolled: 1-line block ×8, first 2 shown]
	ds_write_b128 v158, v[87:90]
	ds_write_b128 v158, v[91:94] offset:256
	ds_write_b128 v158, v[163:166] offset:512
	;; [unrolled: 1-line block ×3, first 2 shown]
	s_waitcnt lgkmcnt(0)
	s_barrier
	s_and_saveexec_b64 s[14:15], vcc
	s_cbranch_execz .LBB193_97
; %bb.101:                              ;   in Loop: Header=BB193_98 Depth=1
	ds_read_b128 v[87:90], v154
	ds_read_b128 v[91:94], v154 offset:16
	s_waitcnt lgkmcnt(0)
	v_add_f64 v[159:160], v[91:92], v[87:88]
	v_add_f64 v[161:162], v[93:94], v[89:90]
	ds_read_b128 v[87:90], v154 offset:32
	ds_read_b128 v[91:94], v154 offset:48
	s_waitcnt lgkmcnt(1)
	v_add_f64 v[87:88], v[159:160], v[87:88]
	v_add_f64 v[89:90], v[161:162], v[89:90]
	s_waitcnt lgkmcnt(0)
	v_add_f64 v[159:160], v[87:88], v[91:92]
	v_add_f64 v[161:162], v[89:90], v[93:94]
	ds_read_b128 v[87:90], v154 offset:64
	ds_read_b128 v[91:94], v154 offset:80
	s_waitcnt lgkmcnt(1)
	v_add_f64 v[87:88], v[159:160], v[87:88]
	v_add_f64 v[89:90], v[161:162], v[89:90]
	;; [unrolled: 8-line block ×6, first 2 shown]
	s_waitcnt lgkmcnt(0)
	v_add_f64 v[159:160], v[87:88], v[91:92]
	v_add_f64 v[161:162], v[89:90], v[93:94]
	ds_read_b128 v[87:90], v154 offset:224
	ds_read_b128 v[91:94], v155
	s_waitcnt lgkmcnt(1)
	v_add_f64 v[87:88], v[159:160], v[87:88]
	v_add_f64 v[89:90], v[161:162], v[89:90]
	s_waitcnt lgkmcnt(0)
	v_add_f64 v[87:88], v[87:88], v[91:92]
	v_add_f64 v[89:90], v[89:90], v[93:94]
	v_lshlrev_b64 v[91:92], 4, v[0:1]
	v_mov_b32_e32 v93, s17
	v_add_co_u32_e64 v91, s[8:9], s16, v91
	v_addc_co_u32_e64 v92, s[8:9], v93, v92, s[8:9]
	global_store_dwordx4 v[91:92], v[87:90], off
	s_branch .LBB193_97
.LBB193_102:
	s_movk_i32 s2, 0x430
	v_mad_u32_u24 v0, v2, s2, v146
	s_nor_b64 s[0:1], s[0:1], s[4:5]
	ds_write_b128 v0, v[3:6]
	s_waitcnt lgkmcnt(0)
	s_barrier
	s_and_saveexec_b64 s[2:3], s[0:1]
	s_cbranch_execz .LBB193_104
; %bb.103:
	ds_read_b128 v[0:3], v146 offset:1072
	ds_read_b128 v[4:7], v146
	v_ashrrev_i32_e32 v144, 31, v143
	s_waitcnt lgkmcnt(0)
	v_add_f64 v[8:9], v[0:1], v[4:5]
	v_add_f64 v[10:11], v[2:3], v[6:7]
	ds_read_b128 v[0:3], v146 offset:2144
	ds_read_b128 v[4:7], v146 offset:3216
	s_waitcnt lgkmcnt(1)
	v_add_f64 v[0:1], v[8:9], v[0:1]
	v_add_f64 v[2:3], v[10:11], v[2:3]
	s_waitcnt lgkmcnt(0)
	v_add_f64 v[0:1], v[0:1], v[4:5]
	v_add_f64 v[2:3], v[2:3], v[6:7]
	v_lshlrev_b64 v[4:5], 4, v[143:144]
	v_mov_b32_e32 v6, s17
	v_add_co_u32_e32 v4, vcc, s16, v4
	v_addc_co_u32_e32 v5, vcc, v6, v5, vcc
	global_store_dwordx4 v[4:5], v[0:3], off
.LBB193_104:
	s_endpgm
	.section	.rodata,"a",@progbits
	.p2align	6, 0x0
	.amdhsa_kernel _ZL26rocblas_hemvn_kernel_lowerILb0ELi64ELi4ELi33ELi32ELi16EiPK19rocblas_complex_numIdEPKS3_PS1_EviT6_lT7_lT5_lS8_lS9_lS7_lT8_i
		.amdhsa_group_segment_fixed_size 19200
		.amdhsa_private_segment_fixed_size 0
		.amdhsa_kernarg_size 376
		.amdhsa_user_sgpr_count 6
		.amdhsa_user_sgpr_private_segment_buffer 1
		.amdhsa_user_sgpr_dispatch_ptr 0
		.amdhsa_user_sgpr_queue_ptr 0
		.amdhsa_user_sgpr_kernarg_segment_ptr 1
		.amdhsa_user_sgpr_dispatch_id 0
		.amdhsa_user_sgpr_flat_scratch_init 0
		.amdhsa_user_sgpr_private_segment_size 0
		.amdhsa_uses_dynamic_stack 0
		.amdhsa_system_sgpr_private_segment_wavefront_offset 0
		.amdhsa_system_sgpr_workgroup_id_x 1
		.amdhsa_system_sgpr_workgroup_id_y 0
		.amdhsa_system_sgpr_workgroup_id_z 1
		.amdhsa_system_sgpr_workgroup_info 0
		.amdhsa_system_vgpr_workitem_id 1
		.amdhsa_next_free_vgpr 213
		.amdhsa_next_free_sgpr 98
		.amdhsa_reserve_vcc 1
		.amdhsa_reserve_flat_scratch 0
		.amdhsa_float_round_mode_32 0
		.amdhsa_float_round_mode_16_64 0
		.amdhsa_float_denorm_mode_32 3
		.amdhsa_float_denorm_mode_16_64 3
		.amdhsa_dx10_clamp 1
		.amdhsa_ieee_mode 1
		.amdhsa_fp16_overflow 0
		.amdhsa_exception_fp_ieee_invalid_op 0
		.amdhsa_exception_fp_denorm_src 0
		.amdhsa_exception_fp_ieee_div_zero 0
		.amdhsa_exception_fp_ieee_overflow 0
		.amdhsa_exception_fp_ieee_underflow 0
		.amdhsa_exception_fp_ieee_inexact 0
		.amdhsa_exception_int_div_zero 0
	.end_amdhsa_kernel
	.section	.text._ZL26rocblas_hemvn_kernel_lowerILb0ELi64ELi4ELi33ELi32ELi16EiPK19rocblas_complex_numIdEPKS3_PS1_EviT6_lT7_lT5_lS8_lS9_lS7_lT8_i,"axG",@progbits,_ZL26rocblas_hemvn_kernel_lowerILb0ELi64ELi4ELi33ELi32ELi16EiPK19rocblas_complex_numIdEPKS3_PS1_EviT6_lT7_lT5_lS8_lS9_lS7_lT8_i,comdat
.Lfunc_end193:
	.size	_ZL26rocblas_hemvn_kernel_lowerILb0ELi64ELi4ELi33ELi32ELi16EiPK19rocblas_complex_numIdEPKS3_PS1_EviT6_lT7_lT5_lS8_lS9_lS7_lT8_i, .Lfunc_end193-_ZL26rocblas_hemvn_kernel_lowerILb0ELi64ELi4ELi33ELi32ELi16EiPK19rocblas_complex_numIdEPKS3_PS1_EviT6_lT7_lT5_lS8_lS9_lS7_lT8_i
                                        ; -- End function
	.set _ZL26rocblas_hemvn_kernel_lowerILb0ELi64ELi4ELi33ELi32ELi16EiPK19rocblas_complex_numIdEPKS3_PS1_EviT6_lT7_lT5_lS8_lS9_lS7_lT8_i.num_vgpr, 213
	.set _ZL26rocblas_hemvn_kernel_lowerILb0ELi64ELi4ELi33ELi32ELi16EiPK19rocblas_complex_numIdEPKS3_PS1_EviT6_lT7_lT5_lS8_lS9_lS7_lT8_i.num_agpr, 0
	.set _ZL26rocblas_hemvn_kernel_lowerILb0ELi64ELi4ELi33ELi32ELi16EiPK19rocblas_complex_numIdEPKS3_PS1_EviT6_lT7_lT5_lS8_lS9_lS7_lT8_i.numbered_sgpr, 46
	.set _ZL26rocblas_hemvn_kernel_lowerILb0ELi64ELi4ELi33ELi32ELi16EiPK19rocblas_complex_numIdEPKS3_PS1_EviT6_lT7_lT5_lS8_lS9_lS7_lT8_i.num_named_barrier, 0
	.set _ZL26rocblas_hemvn_kernel_lowerILb0ELi64ELi4ELi33ELi32ELi16EiPK19rocblas_complex_numIdEPKS3_PS1_EviT6_lT7_lT5_lS8_lS9_lS7_lT8_i.private_seg_size, 0
	.set _ZL26rocblas_hemvn_kernel_lowerILb0ELi64ELi4ELi33ELi32ELi16EiPK19rocblas_complex_numIdEPKS3_PS1_EviT6_lT7_lT5_lS8_lS9_lS7_lT8_i.uses_vcc, 1
	.set _ZL26rocblas_hemvn_kernel_lowerILb0ELi64ELi4ELi33ELi32ELi16EiPK19rocblas_complex_numIdEPKS3_PS1_EviT6_lT7_lT5_lS8_lS9_lS7_lT8_i.uses_flat_scratch, 0
	.set _ZL26rocblas_hemvn_kernel_lowerILb0ELi64ELi4ELi33ELi32ELi16EiPK19rocblas_complex_numIdEPKS3_PS1_EviT6_lT7_lT5_lS8_lS9_lS7_lT8_i.has_dyn_sized_stack, 0
	.set _ZL26rocblas_hemvn_kernel_lowerILb0ELi64ELi4ELi33ELi32ELi16EiPK19rocblas_complex_numIdEPKS3_PS1_EviT6_lT7_lT5_lS8_lS9_lS7_lT8_i.has_recursion, 0
	.set _ZL26rocblas_hemvn_kernel_lowerILb0ELi64ELi4ELi33ELi32ELi16EiPK19rocblas_complex_numIdEPKS3_PS1_EviT6_lT7_lT5_lS8_lS9_lS7_lT8_i.has_indirect_call, 0
	.section	.AMDGPU.csdata,"",@progbits
; Kernel info:
; codeLenInByte = 9420
; TotalNumSgprs: 50
; NumVgprs: 213
; ScratchSize: 0
; MemoryBound: 0
; FloatMode: 240
; IeeeMode: 1
; LDSByteSize: 19200 bytes/workgroup (compile time only)
; SGPRBlocks: 12
; VGPRBlocks: 53
; NumSGPRsForWavesPerEU: 102
; NumVGPRsForWavesPerEU: 213
; Occupancy: 1
; WaveLimiterHint : 1
; COMPUTE_PGM_RSRC2:SCRATCH_EN: 0
; COMPUTE_PGM_RSRC2:USER_SGPR: 6
; COMPUTE_PGM_RSRC2:TRAP_HANDLER: 0
; COMPUTE_PGM_RSRC2:TGID_X_EN: 1
; COMPUTE_PGM_RSRC2:TGID_Y_EN: 0
; COMPUTE_PGM_RSRC2:TGID_Z_EN: 1
; COMPUTE_PGM_RSRC2:TIDIG_COMP_CNT: 1
	.section	.text._ZL26rocblas_hemvn_kernel_lowerILb0ELi64ELi4ELi33ELi32ELi16El19rocblas_complex_numIdEPKPKS1_PS1_EviT6_lT7_lT5_lS8_lS9_lS7_lT8_i,"axG",@progbits,_ZL26rocblas_hemvn_kernel_lowerILb0ELi64ELi4ELi33ELi32ELi16El19rocblas_complex_numIdEPKPKS1_PS1_EviT6_lT7_lT5_lS8_lS9_lS7_lT8_i,comdat
	.globl	_ZL26rocblas_hemvn_kernel_lowerILb0ELi64ELi4ELi33ELi32ELi16El19rocblas_complex_numIdEPKPKS1_PS1_EviT6_lT7_lT5_lS8_lS9_lS7_lT8_i ; -- Begin function _ZL26rocblas_hemvn_kernel_lowerILb0ELi64ELi4ELi33ELi32ELi16El19rocblas_complex_numIdEPKPKS1_PS1_EviT6_lT7_lT5_lS8_lS9_lS7_lT8_i
	.p2align	8
	.type	_ZL26rocblas_hemvn_kernel_lowerILb0ELi64ELi4ELi33ELi32ELi16El19rocblas_complex_numIdEPKPKS1_PS1_EviT6_lT7_lT5_lS8_lS9_lS7_lT8_i,@function
_ZL26rocblas_hemvn_kernel_lowerILb0ELi64ELi4ELi33ELi32ELi16El19rocblas_complex_numIdEPKPKS1_PS1_EviT6_lT7_lT5_lS8_lS9_lS7_lT8_i: ; @_ZL26rocblas_hemvn_kernel_lowerILb0ELi64ELi4ELi33ELi32ELi16El19rocblas_complex_numIdEPKPKS1_PS1_EviT6_lT7_lT5_lS8_lS9_lS7_lT8_i
; %bb.0:
	s_load_dwordx2 s[2:3], s[4:5], 0x94
	s_add_u32 s0, s4, 0x88
	s_mov_b32 s26, s7
	s_addc_u32 s1, s5, 0
	s_waitcnt lgkmcnt(0)
	s_lshr_b32 s7, s2, 16
	s_and_b32 s2, s2, 0xffff
	s_and_b32 s3, s3, 0xffff
	s_mul_i32 s2, s7, s2
	s_mul_i32 s2, s2, s3
	s_cmpk_lg_i32 s2, 0x100
	s_cbranch_scc1 .LBB194_104
; %bb.1:
	s_load_dwordx4 s[8:11], s[4:5], 0x8
	s_waitcnt lgkmcnt(0)
	v_cmp_neq_f64_e64 s[2:3], s[8:9], 0
	v_cmp_neq_f64_e64 s[8:9], s[10:11], 0
	s_or_b64 s[8:9], s[2:3], s[8:9]
	s_mov_b64 s[2:3], -1
	s_and_b64 vcc, exec, s[8:9]
	s_cbranch_vccnz .LBB194_3
; %bb.2:
	s_load_dwordx4 s[8:11], s[4:5], 0x60
	s_waitcnt lgkmcnt(0)
	v_cmp_eq_f64_e64 s[2:3], s[8:9], 1.0
	v_cmp_eq_f64_e64 s[8:9], s[10:11], 0
	s_and_b64 s[2:3], s[2:3], s[8:9]
	s_andn2_b64 vcc, exec, s[2:3]
	s_mov_b64 s[2:3], 0
.LBB194_3:
	s_andn2_b64 vcc, exec, s[2:3]
	s_cbranch_vccnz .LBB194_104
; %bb.4:
	s_load_dword s7, s[4:5], 0x0
	s_load_dwordx4 s[8:11], s[4:5], 0x20
	s_load_dwordx2 s[24:25], s[4:5], 0x30
	s_load_dwordx4 s[12:15], s[4:5], 0x40
	s_mov_b32 s27, 0
	s_lshl_b64 s[2:3], s[26:27], 3
	s_waitcnt lgkmcnt(0)
	s_add_u32 s16, s8, s2
	s_addc_u32 s17, s9, s3
	s_add_u32 s2, s12, s2
	s_addc_u32 s3, s13, s3
	s_load_dwordx2 s[12:13], s[2:3], 0x0
	s_load_dword s27, s[0:1], 0x0
	s_load_dwordx2 s[22:23], s[4:5], 0x50
	s_load_dwordx2 s[8:9], s[16:17], 0x0
	s_lshl_b64 s[0:1], s[14:15], 4
	s_waitcnt lgkmcnt(0)
	s_add_u32 s2, s12, s0
	s_addc_u32 s3, s13, s1
	s_lshl_b32 s30, s6, 6
	s_ashr_i32 s33, s7, 31
	s_lshr_b32 s0, s33, 26
	v_add_u32_e32 v142, s30, v0
	s_add_i32 s0, s7, s0
	v_ashrrev_i32_e32 v143, 31, v142
	s_and_b32 s13, s0, 0xffffffc0
	v_mul_lo_u32 v4, s22, v143
	v_mul_lo_u32 v5, s23, v142
	v_mad_u64_u32 v[2:3], s[0:1], s22, v142, 0
	s_add_i32 s12, s27, -1
	s_sub_i32 s0, s7, s13
	v_add3_u32 v3, v3, v4, v5
	v_lshlrev_b64 v[2:3], 4, v[2:3]
	s_cmp_eq_u32 s6, s12
	v_mov_b32_e32 v4, s3
	v_add_co_u32_e32 v38, vcc, s2, v2
	s_cselect_b32 s28, s0, 0
	v_addc_co_u32_e32 v39, vcc, v4, v3, vcc
	v_cmp_ne_u32_e64 s[0:1], 0, v1
	v_cmp_eq_u32_e64 s[2:3], 0, v1
	s_and_saveexec_b64 s[12:13], s[2:3]
	s_cbranch_execz .LBB194_9
; %bb.5:
	s_cmp_lg_u32 s28, 0
	s_cselect_b64 s[14:15], -1, 0
	v_cmp_le_i32_e32 vcc, s28, v0
	v_mov_b32_e32 v2, 0x4700
	s_and_b64 s[14:15], s[14:15], vcc
	v_lshl_add_u32 v2, v0, 4, v2
	s_and_saveexec_b64 s[16:17], s[14:15]
	s_xor_b64 s[14:15], exec, s[16:17]
; %bb.6:
	v_mov_b32_e32 v3, 0
	v_mov_b32_e32 v4, v3
	;; [unrolled: 1-line block ×4, first 2 shown]
	ds_write_b128 v2, v[3:6]
                                        ; implicit-def: $vgpr2
; %bb.7:
	s_andn2_saveexec_b64 s[14:15], s[14:15]
	s_cbranch_execz .LBB194_9
; %bb.8:
	flat_load_dwordx4 v[3:6], v[38:39]
	s_waitcnt vmcnt(0) lgkmcnt(0)
	ds_write2_b64 v2, v[3:4], v[5:6] offset1:1
.LBB194_9:
	s_or_b64 exec, exec, s[12:13]
	v_lshl_add_u32 v44, v1, 6, v0
	v_and_b32_e32 v6, 31, v0
	v_lshrrev_b32_e32 v11, 5, v44
	v_mov_b32_e32 v7, 0
	v_mad_u64_u32 v[2:3], s[12:13], s24, v11, v[6:7]
	s_lshl_b64 s[10:11], s[10:11], 4
	s_add_u32 s10, s8, s10
	s_addc_u32 s11, s9, s11
	v_mad_u64_u32 v[3:4], s[8:9], s25, v11, v[3:4]
	s_ashr_i32 s31, s30, 31
	s_lshl_b64 s[8:9], s[30:31], 4
	s_add_u32 s8, s10, s8
	v_lshlrev_b64 v[40:41], 4, v[2:3]
	s_addc_u32 s9, s11, s9
	v_mov_b32_e32 v2, s9
	v_add_co_u32_e32 v3, vcc, s8, v40
	s_mul_hi_u32 s8, s24, s30
	s_mul_i32 s9, s24, s31
	s_add_i32 s8, s8, s9
	s_mul_i32 s9, s25, s30
	s_add_i32 s9, s8, s9
	s_mul_i32 s8, s24, s30
	v_addc_co_u32_e32 v2, vcc, v2, v41, vcc
	s_lshl_b64 s[34:35], s[8:9], 4
	v_mov_b32_e32 v4, s35
	v_add_co_u32_e32 v7, vcc, s34, v3
	s_cmp_lg_u32 s28, 0
	v_addc_co_u32_e32 v8, vcc, v2, v4, vcc
	s_cselect_b64 s[36:37], -1, 0
	s_cmp_eq_u32 s28, 0
	s_cselect_b64 s[18:19], -1, 0
	s_mov_b64 s[8:9], -1
	s_and_b64 vcc, exec, s[36:37]
	s_cbranch_vccnz .LBB194_11
; %bb.10:
	flat_load_dwordx4 v[2:5], v[7:8]
	v_mul_u32_u24_e32 v9, 0x210, v11
	s_lshl_b64 s[8:9], s[24:25], 7
	v_lshl_add_u32 v12, v6, 4, v9
	v_mov_b32_e32 v13, s9
	v_add_co_u32_e32 v9, vcc, s8, v7
	v_addc_co_u32_e32 v10, vcc, v8, v13, vcc
	v_add_u32_e32 v14, 0x1080, v12
	s_waitcnt vmcnt(0) lgkmcnt(0)
	ds_write2_b64 v12, v[2:3], v[4:5] offset1:1
	flat_load_dwordx4 v[2:5], v[9:10]
	v_add_co_u32_e32 v9, vcc, s8, v9
	v_addc_co_u32_e32 v10, vcc, v10, v13, vcc
	s_waitcnt vmcnt(0) lgkmcnt(0)
	ds_write2_b64 v14, v[2:3], v[4:5] offset1:1
	flat_load_dwordx4 v[2:5], v[9:10]
	v_add_u32_e32 v14, 0x2100, v12
	v_add_co_u32_e32 v9, vcc, s8, v9
	v_addc_co_u32_e32 v10, vcc, v10, v13, vcc
	s_mov_b64 s[8:9], 0
	s_waitcnt vmcnt(0) lgkmcnt(0)
	ds_write2_b64 v14, v[2:3], v[4:5] offset1:1
	flat_load_dwordx4 v[2:5], v[9:10]
	v_add_u32_e32 v9, 0x3180, v12
	s_waitcnt vmcnt(0) lgkmcnt(0)
	ds_write2_b64 v9, v[2:3], v[4:5] offset1:1
.LBB194_11:
	s_andn2_b64 vcc, exec, s[8:9]
	v_lshlrev_b32_e32 v12, 4, v6
	s_cbranch_vccnz .LBB194_29
; %bb.12:
	v_lshlrev_b32_e32 v4, 4, v6
	v_sub_co_u32_e32 v2, vcc, v7, v4
	s_ashr_i32 s29, s28, 31
	v_subbrev_co_u32_e32 v3, vcc, 0, v8, vcc
	s_lshl_b64 s[10:11], s[28:29], 4
	v_mov_b32_e32 v5, s11
	v_add_co_u32_e32 v2, vcc, s10, v2
	v_addc_co_u32_e32 v3, vcc, v3, v5, vcc
	v_add_co_u32_e32 v2, vcc, -16, v2
	v_addc_co_u32_e32 v3, vcc, -1, v3, vcc
	v_cmp_gt_i32_e32 vcc, s28, v6
	s_movk_i32 s12, 0x210
	v_cndmask_b32_e32 v3, v3, v8, vcc
	v_cndmask_b32_e32 v2, v2, v7, vcc
	v_cmp_le_i32_e64 s[8:9], s28, v11
	v_mad_u32_u24 v5, v11, s12, v12
	s_and_saveexec_b64 s[12:13], s[8:9]
	s_xor_b64 s[8:9], exec, s[12:13]
; %bb.13:
	v_mov_b32_e32 v13, 0
	v_mov_b32_e32 v14, v13
	;; [unrolled: 1-line block ×4, first 2 shown]
	ds_write_b128 v5, v[13:16]
                                        ; implicit-def: $vgpr5
; %bb.14:
	s_andn2_saveexec_b64 s[8:9], s[8:9]
	s_cbranch_execz .LBB194_16
; %bb.15:
	flat_load_dwordx4 v[13:16], v[2:3]
	s_waitcnt vmcnt(0) lgkmcnt(0)
	ds_write2_b64 v5, v[13:14], v[15:16] offset1:1
.LBB194_16:
	s_or_b64 exec, exec, s[8:9]
	v_add_u32_e32 v9, 8, v11
	v_mul_u32_u24_e32 v5, 0x210, v11
	v_cmp_le_i32_e64 s[8:9], s28, v9
	s_and_saveexec_b64 s[12:13], s[8:9]
	s_xor_b64 s[8:9], exec, s[12:13]
	s_cbranch_execz .LBB194_18
; %bb.17:
	v_mov_b32_e32 v13, 0
	v_add_u32_e32 v9, v5, v12
	v_mov_b32_e32 v14, v13
	v_mov_b32_e32 v15, v13
	;; [unrolled: 1-line block ×3, first 2 shown]
	ds_write_b128 v9, v[13:16] offset:4224
.LBB194_18:
	s_andn2_saveexec_b64 s[12:13], s[8:9]
	s_cbranch_execz .LBB194_20
; %bb.19:
	s_lshl_b64 s[8:9], s[24:25], 7
	v_mov_b32_e32 v10, s9
	v_add_co_u32_e64 v9, s[8:9], s8, v2
	v_addc_co_u32_e64 v10, s[8:9], v3, v10, s[8:9]
	flat_load_dwordx4 v[13:16], v[9:10]
	s_movk_i32 s8, 0x1080
	v_add3_u32 v9, v5, v12, s8
	s_waitcnt vmcnt(0) lgkmcnt(0)
	ds_write2_b64 v9, v[13:14], v[15:16] offset1:1
.LBB194_20:
	s_or_b64 exec, exec, s[12:13]
	v_add_u32_e32 v9, 16, v11
	v_cmp_le_i32_e64 s[8:9], s28, v9
	s_and_saveexec_b64 s[12:13], s[8:9]
	s_xor_b64 s[8:9], exec, s[12:13]
	s_cbranch_execz .LBB194_22
; %bb.21:
	v_mov_b32_e32 v13, 0
	v_add_u32_e32 v9, v5, v12
	v_mov_b32_e32 v14, v13
	v_mov_b32_e32 v15, v13
	;; [unrolled: 1-line block ×3, first 2 shown]
	ds_write_b128 v9, v[13:16] offset:8448
.LBB194_22:
	s_andn2_saveexec_b64 s[12:13], s[8:9]
	s_cbranch_execz .LBB194_24
; %bb.23:
	s_lshl_b64 s[8:9], s[24:25], 8
	v_mov_b32_e32 v10, s9
	v_add_co_u32_e64 v9, s[8:9], s8, v2
	v_addc_co_u32_e64 v10, s[8:9], v3, v10, s[8:9]
	flat_load_dwordx4 v[13:16], v[9:10]
	s_movk_i32 s8, 0x2100
	v_add3_u32 v9, v5, v12, s8
	s_waitcnt vmcnt(0) lgkmcnt(0)
	ds_write2_b64 v9, v[13:14], v[15:16] offset1:1
.LBB194_24:
	s_or_b64 exec, exec, s[12:13]
	v_add_u32_e32 v9, 24, v11
	v_cmp_le_i32_e64 s[8:9], s28, v9
	s_and_saveexec_b64 s[12:13], s[8:9]
	s_xor_b64 s[8:9], exec, s[12:13]
	s_cbranch_execz .LBB194_26
; %bb.25:
	v_mov_b32_e32 v13, 0
	v_add_u32_e32 v5, v5, v12
	v_mov_b32_e32 v14, v13
	v_mov_b32_e32 v15, v13
	;; [unrolled: 1-line block ×3, first 2 shown]
	ds_write_b128 v5, v[13:16] offset:12672
                                        ; implicit-def: $vgpr5
.LBB194_26:
	s_andn2_saveexec_b64 s[8:9], s[8:9]
	s_cbranch_execz .LBB194_28
; %bb.27:
	v_mov_b32_e32 v9, 0x180
	v_mad_u64_u32 v[9:10], s[12:13], s24, v9, v[2:3]
	s_mul_i32 s12, s25, 0x180
	v_add_u32_e32 v10, s12, v10
	flat_load_dwordx4 v[13:16], v[9:10]
	s_movk_i32 s12, 0x3180
	v_add3_u32 v5, v5, v12, s12
	s_waitcnt vmcnt(0) lgkmcnt(0)
	ds_write2_b64 v5, v[13:14], v[15:16] offset1:1
.LBB194_28:
	s_or_b64 exec, exec, s[8:9]
	v_add_co_u32_e64 v2, s[8:9], v2, v4
	v_addc_co_u32_e64 v3, s[8:9], 0, v3, s[8:9]
	v_mov_b32_e32 v4, s11
	v_subrev_co_u32_e64 v2, s[8:9], s10, v2
	v_subb_co_u32_e64 v3, s[8:9], v3, v4, s[8:9]
	v_add_co_u32_e64 v2, s[8:9], 16, v2
	v_addc_co_u32_e64 v3, s[8:9], 0, v3, s[8:9]
	v_cndmask_b32_e32 v8, v3, v8, vcc
	v_cndmask_b32_e32 v7, v2, v7, vcc
.LBB194_29:
	v_lshlrev_b32_e32 v13, 2, v11
	v_lshl_or_b32 v4, v6, 9, v12
	v_cmp_lt_u32_e64 s[8:9], v13, v6
	s_waitcnt lgkmcnt(0)
	s_barrier
	s_and_saveexec_b64 s[10:11], s[8:9]
	s_cbranch_execz .LBB194_31
; %bb.30:
	s_movk_i32 s12, 0x840
	v_mad_u32_u24 v2, v11, s12, v12
	ds_read_b128 v[14:17], v2
	v_lshl_add_u32 v2, v13, 4, v4
	s_waitcnt lgkmcnt(0)
	ds_write_b128 v2, v[14:17]
.LBB194_31:
	s_or_b64 exec, exec, s[10:11]
	v_or_b32_e32 v2, 1, v13
	v_cmp_lt_u32_e64 s[10:11], v2, v6
	s_and_saveexec_b64 s[12:13], s[10:11]
	s_cbranch_execz .LBB194_33
; %bb.32:
	s_movk_i32 s14, 0x210
	v_mad_u32_u24 v3, v2, s14, v12
	ds_read_b128 v[14:17], v3
	v_lshl_add_u32 v3, v13, 4, v4
	s_waitcnt lgkmcnt(0)
	ds_write_b128 v3, v[14:17] offset:16
.LBB194_33:
	s_or_b64 exec, exec, s[12:13]
	v_or_b32_e32 v3, 2, v13
	v_cmp_lt_u32_e64 s[12:13], v3, v6
	s_and_saveexec_b64 s[14:15], s[12:13]
	s_cbranch_execz .LBB194_35
; %bb.34:
	s_movk_i32 s16, 0x210
	v_mad_u32_u24 v3, v3, s16, v12
	ds_read_b128 v[14:17], v3
	v_lshl_add_u32 v3, v13, 4, v4
	s_waitcnt lgkmcnt(0)
	ds_write_b128 v3, v[14:17] offset:32
.LBB194_35:
	s_or_b64 exec, exec, s[14:15]
	v_or_b32_e32 v5, 3, v13
	v_cmp_lt_u32_e64 s[14:15], v5, v6
	v_cmp_ge_u32_e32 vcc, v5, v6
                                        ; implicit-def: $vgpr3
	s_and_saveexec_b64 s[16:17], vcc
	s_xor_b64 s[16:17], exec, s[16:17]
; %bb.36:
	v_mul_u32_u24_e32 v3, 0x210, v5
                                        ; implicit-def: $vgpr4
                                        ; implicit-def: $vgpr5
; %bb.37:
	s_andn2_saveexec_b64 s[16:17], s[16:17]
	s_cbranch_execz .LBB194_39
; %bb.38:
	s_movk_i32 s20, 0x210
	v_mad_u32_u24 v3, v5, s20, v12
	ds_read_b128 v[14:17], v3
	v_lshl_add_u32 v4, v13, 4, v4
	v_mul_u32_u24_e32 v3, 0x210, v5
	s_waitcnt lgkmcnt(0)
	ds_write_b128 v4, v[14:17] offset:48
.LBB194_39:
	s_or_b64 exec, exec, s[16:17]
	s_movk_i32 s16, 0x840
	v_mad_u32_u24 v15, v11, s16, v12
	s_waitcnt lgkmcnt(0)
	s_barrier
	v_lshlrev_b32_e32 v18, 4, v13
	ds_read_b128 v[19:22], v15
	ds_read_b128 v[23:26], v18 offset:18176
	ds_read_b128 v[27:30], v18 offset:18192
	s_movk_i32 s29, 0x210
	v_mad_u32_u24 v17, v2, s29, v12
	ds_read_b128 v[31:34], v17
	s_waitcnt lgkmcnt(2)
	v_mul_f64 v[4:5], v[25:26], v[21:22]
	v_mul_f64 v[9:10], v[23:24], v[21:22]
	v_add_u32_e32 v16, v12, v3
	v_cmp_gt_u32_e64 s[20:21], 32, v44
	v_fma_f64 v[42:43], v[23:24], v[19:20], -v[4:5]
	ds_read_b128 v[21:24], v17 offset:528
	s_waitcnt lgkmcnt(1)
	v_mul_f64 v[49:50], v[29:30], v[33:34]
	v_mul_f64 v[51:52], v[27:28], v[33:34]
	v_fma_f64 v[9:10], v[25:26], v[19:20], v[9:10]
	ds_read_b128 v[2:5], v18 offset:18208
	ds_read_b128 v[33:36], v18 offset:18224
	ds_read_b128 v[45:48], v16
	s_waitcnt lgkmcnt(0)
	v_add_f64 v[19:20], v[42:43], 0
	s_barrier
	v_mul_f64 v[25:26], v[4:5], v[23:24]
	v_fma_f64 v[27:28], v[27:28], v[31:32], -v[49:50]
	v_fma_f64 v[29:30], v[29:30], v[31:32], v[51:52]
	v_mul_f64 v[23:24], v[2:3], v[23:24]
	v_add_f64 v[9:10], v[9:10], 0
	v_mul_f64 v[31:32], v[35:36], v[47:48]
	v_fma_f64 v[2:3], v[2:3], v[21:22], -v[25:26]
	v_add_f64 v[19:20], v[19:20], v[27:28]
	v_mul_f64 v[25:26], v[33:34], v[47:48]
	v_fma_f64 v[4:5], v[4:5], v[21:22], v[23:24]
	v_add_f64 v[9:10], v[9:10], v[29:30]
	v_fma_f64 v[21:22], v[33:34], v[45:46], -v[31:32]
	v_add_f64 v[19:20], v[19:20], v[2:3]
	v_fma_f64 v[23:24], v[35:36], v[45:46], v[25:26]
	v_mov_b32_e32 v2, 0
	v_add_f64 v[4:5], v[9:10], v[4:5]
	v_mul_u32_u24_e32 v9, 33, v6
	v_lshlrev_b32_e32 v45, 4, v9
	v_mov_b32_e32 v3, 0
	v_lshl_add_u32 v46, v11, 4, v45
	v_add_f64 v[19:20], v[19:20], v[21:22]
	v_add_f64 v[21:22], v[4:5], v[23:24]
	v_mov_b32_e32 v4, 0
	v_mov_b32_e32 v5, 0
	ds_write_b128 v46, v[19:22]
	s_waitcnt lgkmcnt(0)
	s_barrier
	s_and_saveexec_b64 s[16:17], s[20:21]
	s_cbranch_execz .LBB194_41
; %bb.40:
	ds_read_b128 v[2:5], v45
	ds_read_b128 v[19:22], v45 offset:16
	s_waitcnt lgkmcnt(0)
	v_add_f64 v[9:10], v[19:20], v[2:3]
	v_add_f64 v[23:24], v[21:22], v[4:5]
	ds_read_b128 v[2:5], v45 offset:32
	ds_read_b128 v[19:22], v45 offset:48
	s_waitcnt lgkmcnt(1)
	v_add_f64 v[2:3], v[9:10], v[2:3]
	v_add_f64 v[4:5], v[23:24], v[4:5]
	s_waitcnt lgkmcnt(0)
	v_add_f64 v[9:10], v[2:3], v[19:20]
	v_add_f64 v[23:24], v[4:5], v[21:22]
	ds_read_b128 v[2:5], v45 offset:64
	ds_read_b128 v[19:22], v45 offset:80
	s_waitcnt lgkmcnt(1)
	v_add_f64 v[2:3], v[9:10], v[2:3]
	v_add_f64 v[4:5], v[23:24], v[4:5]
	;; [unrolled: 8-line block ×3, first 2 shown]
	s_waitcnt lgkmcnt(0)
	v_add_f64 v[2:3], v[2:3], v[19:20]
	v_add_f64 v[4:5], v[4:5], v[21:22]
.LBB194_41:
	s_or_b64 exec, exec, s[16:17]
	s_lshl_b64 s[16:17], s[24:25], 9
	v_mov_b32_e32 v10, s17
	v_add_co_u32_e32 v9, vcc, s16, v7
	v_addc_co_u32_e32 v10, vcc, v8, v10, vcc
	v_add_co_u32_e32 v7, vcc, 0x200, v9
	v_addc_co_u32_e32 v8, vcc, 0, v10, vcc
	v_cndmask_b32_e64 v19, 0, 1, s[18:19]
	v_mad_u32_u24 v14, v11, s29, v12
	v_cmp_ne_u32_e64 s[16:17], 1, v19
	s_andn2_b64 vcc, exec, s[18:19]
	s_mov_b64 s[18:19], -1
	s_barrier
	s_cbranch_vccnz .LBB194_43
; %bb.42:
	flat_load_dwordx4 v[19:22], v[7:8]
	s_lshl_b64 s[18:19], s[24:25], 7
	v_mov_b32_e32 v25, s19
	v_add_co_u32_e32 v23, vcc, s18, v9
	v_addc_co_u32_e32 v24, vcc, v10, v25, vcc
	v_add_u32_e32 v26, 0x1080, v14
	s_waitcnt vmcnt(0) lgkmcnt(0)
	ds_write2_b64 v14, v[19:20], v[21:22] offset1:1
	flat_load_dwordx4 v[19:22], v[23:24] offset:512
	v_add_co_u32_e32 v23, vcc, s18, v23
	v_addc_co_u32_e32 v24, vcc, v24, v25, vcc
	s_waitcnt vmcnt(0) lgkmcnt(0)
	ds_write2_b64 v26, v[19:20], v[21:22] offset1:1
	flat_load_dwordx4 v[19:22], v[23:24] offset:512
	v_add_u32_e32 v26, 0x2100, v14
	v_add_co_u32_e32 v23, vcc, s18, v23
	v_addc_co_u32_e32 v24, vcc, v24, v25, vcc
	s_mov_b64 s[18:19], 0
	s_waitcnt vmcnt(0) lgkmcnt(0)
	ds_write2_b64 v26, v[19:20], v[21:22] offset1:1
	flat_load_dwordx4 v[19:22], v[23:24] offset:512
	v_add_u32_e32 v23, 0x3180, v14
	s_waitcnt vmcnt(0) lgkmcnt(0)
	ds_write2_b64 v23, v[19:20], v[21:22] offset1:1
.LBB194_43:
	s_andn2_b64 vcc, exec, s[18:19]
	s_cbranch_vccnz .LBB194_61
; %bb.44:
	v_lshlrev_b32_e32 v19, 4, v6
	v_sub_co_u32_e32 v9, vcc, v9, v19
	s_ashr_i32 s29, s28, 31
	v_subbrev_co_u32_e32 v10, vcc, 0, v10, vcc
	s_lshl_b64 s[38:39], s[28:29], 4
	v_mov_b32_e32 v21, s39
	v_add_co_u32_e32 v9, vcc, s38, v9
	v_addc_co_u32_e32 v10, vcc, v10, v21, vcc
	v_or_b32_e32 v20, 32, v6
	v_add_co_u32_e32 v9, vcc, -16, v9
	v_addc_co_u32_e32 v10, vcc, -1, v10, vcc
	v_cmp_gt_i32_e64 s[18:19], s28, v20
	s_sub_i32 s29, s28, 32
	v_cndmask_b32_e64 v10, v10, v8, s[18:19]
	v_cndmask_b32_e64 v9, v9, v7, s[18:19]
	v_cmp_le_i32_e32 vcc, s29, v11
	s_and_saveexec_b64 s[40:41], vcc
	s_xor_b64 s[40:41], exec, s[40:41]
; %bb.45:
	v_mov_b32_e32 v20, 0
	v_mov_b32_e32 v21, v20
	;; [unrolled: 1-line block ×4, first 2 shown]
	ds_write_b128 v14, v[20:23]
; %bb.46:
	s_andn2_saveexec_b64 s[40:41], s[40:41]
	s_cbranch_execz .LBB194_48
; %bb.47:
	flat_load_dwordx4 v[20:23], v[9:10]
	s_waitcnt vmcnt(0) lgkmcnt(0)
	ds_write2_b64 v14, v[20:21], v[22:23] offset1:1
.LBB194_48:
	s_or_b64 exec, exec, s[40:41]
	v_add_u32_e32 v21, 8, v11
	v_mul_u32_u24_e32 v20, 0x210, v11
	v_cmp_le_i32_e32 vcc, s29, v21
	s_and_saveexec_b64 s[40:41], vcc
	s_xor_b64 s[40:41], exec, s[40:41]
	s_cbranch_execz .LBB194_50
; %bb.49:
	v_mov_b32_e32 v21, 0
	v_add_u32_e32 v25, v20, v12
	v_mov_b32_e32 v22, v21
	v_mov_b32_e32 v23, v21
	;; [unrolled: 1-line block ×3, first 2 shown]
	ds_write_b128 v25, v[21:24] offset:4224
.LBB194_50:
	s_andn2_saveexec_b64 s[40:41], s[40:41]
	s_cbranch_execz .LBB194_52
; %bb.51:
	s_lshl_b64 s[42:43], s[24:25], 7
	v_mov_b32_e32 v22, s43
	v_add_co_u32_e32 v21, vcc, s42, v9
	v_addc_co_u32_e32 v22, vcc, v10, v22, vcc
	flat_load_dwordx4 v[21:24], v[21:22]
	s_movk_i32 s42, 0x1080
	v_add3_u32 v25, v20, v12, s42
	s_waitcnt vmcnt(0) lgkmcnt(0)
	ds_write2_b64 v25, v[21:22], v[23:24] offset1:1
.LBB194_52:
	s_or_b64 exec, exec, s[40:41]
	v_add_u32_e32 v21, 16, v11
	v_cmp_le_i32_e32 vcc, s29, v21
	s_and_saveexec_b64 s[40:41], vcc
	s_xor_b64 s[40:41], exec, s[40:41]
	s_cbranch_execz .LBB194_54
; %bb.53:
	v_mov_b32_e32 v21, 0
	v_add_u32_e32 v25, v20, v12
	v_mov_b32_e32 v22, v21
	v_mov_b32_e32 v23, v21
	;; [unrolled: 1-line block ×3, first 2 shown]
	ds_write_b128 v25, v[21:24] offset:8448
.LBB194_54:
	s_andn2_saveexec_b64 s[40:41], s[40:41]
	s_cbranch_execz .LBB194_56
; %bb.55:
	s_lshl_b64 s[42:43], s[24:25], 8
	v_mov_b32_e32 v22, s43
	v_add_co_u32_e32 v21, vcc, s42, v9
	v_addc_co_u32_e32 v22, vcc, v10, v22, vcc
	flat_load_dwordx4 v[21:24], v[21:22]
	s_movk_i32 s42, 0x2100
	v_add3_u32 v25, v20, v12, s42
	s_waitcnt vmcnt(0) lgkmcnt(0)
	ds_write2_b64 v25, v[21:22], v[23:24] offset1:1
.LBB194_56:
	s_or_b64 exec, exec, s[40:41]
	v_add_u32_e32 v21, 24, v11
	v_cmp_le_i32_e32 vcc, s29, v21
	s_and_saveexec_b64 s[40:41], vcc
	s_xor_b64 s[40:41], exec, s[40:41]
	s_cbranch_execz .LBB194_58
; %bb.57:
	v_add_u32_e32 v24, v20, v12
	v_mov_b32_e32 v20, 0
	v_mov_b32_e32 v21, v20
	;; [unrolled: 1-line block ×4, first 2 shown]
	ds_write_b128 v24, v[20:23] offset:12672
                                        ; implicit-def: $vgpr20
.LBB194_58:
	s_andn2_saveexec_b64 s[40:41], s[40:41]
	s_cbranch_execz .LBB194_60
; %bb.59:
	v_mov_b32_e32 v21, 0x180
	v_mad_u64_u32 v[21:22], s[42:43], s24, v21, v[9:10]
	s_mul_i32 s29, s25, 0x180
	v_add_u32_e32 v22, s29, v22
	flat_load_dwordx4 v[21:24], v[21:22]
	s_movk_i32 s29, 0x3180
	v_add3_u32 v20, v20, v12, s29
	s_waitcnt vmcnt(0) lgkmcnt(0)
	ds_write2_b64 v20, v[21:22], v[23:24] offset1:1
.LBB194_60:
	s_or_b64 exec, exec, s[40:41]
	v_add_co_u32_e32 v9, vcc, v9, v19
	v_addc_co_u32_e32 v10, vcc, 0, v10, vcc
	v_mov_b32_e32 v19, s39
	v_subrev_co_u32_e32 v9, vcc, s38, v9
	v_subb_co_u32_e32 v10, vcc, v10, v19, vcc
	v_add_co_u32_e32 v9, vcc, 0x210, v9
	v_addc_co_u32_e32 v10, vcc, 0, v10, vcc
	v_cndmask_b32_e64 v8, v10, v8, s[18:19]
	v_cndmask_b32_e64 v7, v9, v7, s[18:19]
.LBB194_61:
	v_add_u32_e32 v9, 0x4700, v18
	v_add_u32_e32 v10, 0x210, v17
	s_lshl_b64 s[18:19], s[24:25], 5
	s_waitcnt lgkmcnt(0)
	s_barrier
	s_and_saveexec_b64 s[38:39], s[8:9]
	s_cbranch_execnz .LBB194_70
; %bb.62:
	s_or_b64 exec, exec, s[38:39]
	s_and_saveexec_b64 s[8:9], s[10:11]
	s_cbranch_execnz .LBB194_71
.LBB194_63:
	s_or_b64 exec, exec, s[8:9]
	s_and_saveexec_b64 s[8:9], s[12:13]
	s_cbranch_execnz .LBB194_72
.LBB194_64:
	s_or_b64 exec, exec, s[8:9]
	s_and_saveexec_b64 s[8:9], s[14:15]
	s_cbranch_execz .LBB194_66
.LBB194_65:
	ds_read_b128 v[18:21], v16
	v_lshl_add_u32 v22, v13, 4, v45
	s_waitcnt lgkmcnt(0)
	ds_write_b128 v22, v[18:21] offset:48
.LBB194_66:
	s_or_b64 exec, exec, s[8:9]
	s_waitcnt lgkmcnt(0)
	s_barrier
	ds_read_b128 v[18:21], v9 offset:512
	ds_read_b128 v[22:25], v15
	v_cmp_eq_u32_e64 s[8:9], 1, v11
	s_waitcnt lgkmcnt(0)
	v_mul_f64 v[36:37], v[20:21], v[24:25]
	v_mul_f64 v[42:43], v[18:19], v[24:25]
	ds_read_b128 v[24:27], v17
	ds_read_b128 v[28:31], v9 offset:528
	ds_read_b128 v[32:35], v9 offset:544
	ds_read_b128 v[47:50], v10
	s_waitcnt lgkmcnt(2)
	v_mul_f64 v[55:56], v[30:31], v[26:27]
	v_mul_f64 v[26:27], v[28:29], v[26:27]
	v_fma_f64 v[36:37], v[18:19], v[22:23], -v[36:37]
	v_fma_f64 v[21:22], v[20:21], v[22:23], v[42:43]
	ds_read_b128 v[17:20], v9 offset:560
	ds_read_b128 v[51:54], v16
	s_waitcnt lgkmcnt(2)
	v_mul_f64 v[15:16], v[34:35], v[49:50]
	v_mul_f64 v[42:43], v[32:33], v[49:50]
	v_fma_f64 v[28:29], v[28:29], v[24:25], -v[55:56]
	v_fma_f64 v[23:24], v[30:31], v[24:25], v[26:27]
	s_waitcnt lgkmcnt(0)
	v_mul_f64 v[30:31], v[19:20], v[53:54]
	v_add_f64 v[25:26], v[36:37], 0
	v_add_f64 v[21:22], v[21:22], 0
	v_mul_f64 v[36:37], v[17:18], v[53:54]
	v_fma_f64 v[15:16], v[32:33], v[47:48], -v[15:16]
	v_fma_f64 v[32:33], v[34:35], v[47:48], v[42:43]
	s_barrier
	v_fma_f64 v[17:18], v[17:18], v[51:52], -v[30:31]
	v_add_f64 v[25:26], v[25:26], v[28:29]
	v_add_f64 v[21:22], v[21:22], v[23:24]
	v_fma_f64 v[19:20], v[19:20], v[51:52], v[36:37]
	v_add_f64 v[15:16], v[25:26], v[15:16]
	v_add_f64 v[21:22], v[21:22], v[32:33]
	;; [unrolled: 1-line block ×4, first 2 shown]
	ds_write_b128 v46, v[15:18]
	s_waitcnt lgkmcnt(0)
	s_barrier
	s_and_saveexec_b64 s[10:11], s[8:9]
	s_cbranch_execz .LBB194_68
; %bb.67:
	ds_read_b128 v[2:5], v45
	ds_read_b128 v[15:18], v45 offset:16
	s_waitcnt lgkmcnt(0)
	v_add_f64 v[19:20], v[15:16], v[2:3]
	v_add_f64 v[21:22], v[17:18], v[4:5]
	ds_read_b128 v[2:5], v45 offset:32
	ds_read_b128 v[15:18], v45 offset:48
	s_waitcnt lgkmcnt(1)
	v_add_f64 v[2:3], v[19:20], v[2:3]
	v_add_f64 v[4:5], v[21:22], v[4:5]
	s_waitcnt lgkmcnt(0)
	v_add_f64 v[19:20], v[2:3], v[15:16]
	v_add_f64 v[21:22], v[4:5], v[17:18]
	ds_read_b128 v[2:5], v45 offset:64
	ds_read_b128 v[15:18], v45 offset:80
	s_waitcnt lgkmcnt(1)
	v_add_f64 v[2:3], v[19:20], v[2:3]
	v_add_f64 v[4:5], v[21:22], v[4:5]
	;; [unrolled: 8-line block ×3, first 2 shown]
	s_waitcnt lgkmcnt(0)
	v_add_f64 v[2:3], v[2:3], v[15:16]
	v_add_f64 v[4:5], v[4:5], v[17:18]
.LBB194_68:
	s_or_b64 exec, exec, s[10:11]
	s_lshl_b64 s[10:11], s[18:19], 4
	v_mov_b32_e32 v10, s11
	v_subrev_co_u32_e64 v42, s[10:11], s10, v7
	s_and_b64 vcc, exec, s[16:17]
	v_subb_co_u32_e64 v43, s[10:11], v8, v10, s[10:11]
	s_barrier
	s_cbranch_vccnz .LBB194_73
; %bb.69:
	flat_load_dwordx4 v[15:18], v[42:43]
	s_lshl_b64 s[10:11], s[24:25], 7
	v_mov_b32_e32 v21, s11
	v_add_co_u32_e32 v7, vcc, s10, v42
	v_addc_co_u32_e32 v8, vcc, v43, v21, vcc
	v_add_u32_e32 v10, 8, v11
	s_movk_i32 s11, 0x210
	v_mad_u32_u24 v22, v10, s11, v12
	v_add_co_u32_e32 v19, vcc, s10, v7
	v_addc_co_u32_e32 v20, vcc, v8, v21, vcc
	s_waitcnt vmcnt(0) lgkmcnt(0)
	ds_write2_b64 v14, v[15:16], v[17:18] offset1:1
	flat_load_dwordx4 v[15:18], v[7:8]
	v_mov_b32_e32 v7, 0x1080
	v_mad_u32_u24 v7, v10, s11, v7
	v_add_u32_e32 v8, v12, v7
	s_waitcnt vmcnt(0) lgkmcnt(0)
	ds_write2_b64 v22, v[15:16], v[17:18] offset1:1
	flat_load_dwordx4 v[15:18], v[19:20]
	v_add_co_u32_e32 v19, vcc, s10, v19
	v_addc_co_u32_e32 v20, vcc, v20, v21, vcc
	s_waitcnt vmcnt(0) lgkmcnt(0)
	ds_write2_b64 v8, v[15:16], v[17:18] offset1:1
	flat_load_dwordx4 v[18:21], v[19:20]
	v_mov_b32_e32 v17, 0x2100
	v_mad_u32_u24 v17, v10, s11, v17
	v_add_u32_e32 v16, 16, v11
	v_add_u32_e32 v15, 24, v11
	v_mul_u32_u24_e32 v8, 0x210, v10
	v_add_u32_e32 v22, v12, v17
	s_waitcnt vmcnt(0) lgkmcnt(0)
	ds_write2_b64 v22, v[18:19], v[20:21] offset1:1
	s_cbranch_execz .LBB194_74
	s_branch .LBB194_91
.LBB194_70:
	ds_read_b128 v[18:21], v15
	v_lshl_add_u32 v22, v13, 4, v45
	s_waitcnt lgkmcnt(0)
	ds_write_b128 v22, v[18:21]
	s_or_b64 exec, exec, s[38:39]
	s_and_saveexec_b64 s[8:9], s[10:11]
	s_cbranch_execz .LBB194_63
.LBB194_71:
	ds_read_b128 v[18:21], v17
	v_lshl_add_u32 v22, v13, 4, v45
	s_waitcnt lgkmcnt(0)
	ds_write_b128 v22, v[18:21] offset:16
	s_or_b64 exec, exec, s[8:9]
	s_and_saveexec_b64 s[8:9], s[12:13]
	s_cbranch_execz .LBB194_64
.LBB194_72:
	ds_read_b128 v[18:21], v10
	v_lshl_add_u32 v22, v13, 4, v45
	s_waitcnt lgkmcnt(0)
	ds_write_b128 v22, v[18:21] offset:32
	s_or_b64 exec, exec, s[8:9]
	s_and_saveexec_b64 s[8:9], s[14:15]
	s_cbranch_execnz .LBB194_65
	s_branch .LBB194_66
.LBB194_73:
                                        ; implicit-def: $vgpr10
                                        ; implicit-def: $vgpr8
                                        ; implicit-def: $vgpr16
                                        ; implicit-def: $vgpr7
                                        ; implicit-def: $vgpr15
                                        ; implicit-def: $vgpr17
.LBB194_74:
	v_or_b32_e32 v7, 32, v6
	v_lshlrev_b32_e32 v8, 4, v7
	v_sub_co_u32_e32 v8, vcc, v42, v8
	s_ashr_i32 s29, s28, 31
	v_subbrev_co_u32_e32 v10, vcc, 0, v43, vcc
	s_lshl_b64 s[12:13], s[28:29], 4
	v_mov_b32_e32 v15, s13
	v_add_co_u32_e32 v8, vcc, s12, v8
	v_addc_co_u32_e32 v10, vcc, v10, v15, vcc
	v_add_co_u32_e32 v15, vcc, -16, v8
	v_addc_co_u32_e32 v8, vcc, -1, v10, vcc
	v_cmp_gt_i32_e64 s[10:11], s28, v7
	v_cndmask_b32_e64 v8, v8, v43, s[10:11]
	v_cndmask_b32_e64 v7, v15, v42, s[10:11]
	v_cmp_le_i32_e32 vcc, s28, v11
	s_and_saveexec_b64 s[14:15], vcc
	s_xor_b64 s[14:15], exec, s[14:15]
; %bb.75:
	v_mov_b32_e32 v15, 0
	v_mov_b32_e32 v16, v15
	;; [unrolled: 1-line block ×4, first 2 shown]
	ds_write_b128 v14, v[15:18]
; %bb.76:
	s_andn2_saveexec_b64 s[14:15], s[14:15]
	s_cbranch_execz .LBB194_78
; %bb.77:
	flat_load_dwordx4 v[15:18], v[7:8]
	s_waitcnt vmcnt(0) lgkmcnt(0)
	ds_write2_b64 v14, v[15:16], v[17:18] offset1:1
.LBB194_78:
	s_or_b64 exec, exec, s[14:15]
	v_add_u32_e32 v10, 8, v11
	v_cmp_le_i32_e32 vcc, s28, v10
	s_and_saveexec_b64 s[14:15], vcc
	s_xor_b64 s[14:15], exec, s[14:15]
	s_cbranch_execz .LBB194_80
; %bb.79:
	s_movk_i32 s16, 0x210
	v_mov_b32_e32 v15, 0
	v_mad_u32_u24 v19, v10, s16, v12
	v_mov_b32_e32 v16, v15
	v_mov_b32_e32 v17, v15
	v_mov_b32_e32 v18, v15
	ds_write_b128 v19, v[15:18]
.LBB194_80:
	s_andn2_saveexec_b64 s[14:15], s[14:15]
	s_cbranch_execz .LBB194_82
; %bb.81:
	s_lshl_b64 s[16:17], s[24:25], 7
	v_mov_b32_e32 v16, s17
	v_add_co_u32_e32 v15, vcc, s16, v7
	v_addc_co_u32_e32 v16, vcc, v8, v16, vcc
	flat_load_dwordx4 v[15:18], v[15:16]
	s_movk_i32 s16, 0x210
	v_mad_u32_u24 v19, v10, s16, v12
	s_waitcnt vmcnt(0) lgkmcnt(0)
	ds_write2_b64 v19, v[15:16], v[17:18] offset1:1
.LBB194_82:
	s_or_b64 exec, exec, s[14:15]
	v_add_u32_e32 v16, 16, v11
	v_cmp_le_i32_e32 vcc, s28, v16
	s_and_saveexec_b64 s[14:15], vcc
	s_xor_b64 s[14:15], exec, s[14:15]
	s_cbranch_execz .LBB194_84
; %bb.83:
	s_movk_i32 s16, 0x210
	v_mov_b32_e32 v17, 0
	v_mad_u32_u24 v15, v16, s16, v12
	v_mov_b32_e32 v18, v17
	v_mov_b32_e32 v19, v17
	;; [unrolled: 1-line block ×3, first 2 shown]
	ds_write_b128 v15, v[17:20]
.LBB194_84:
	s_andn2_saveexec_b64 s[14:15], s[14:15]
	s_cbranch_execz .LBB194_86
; %bb.85:
	s_lshl_b64 s[16:17], s[24:25], 8
	v_mov_b32_e32 v15, s17
	v_add_co_u32_e32 v17, vcc, s16, v7
	v_addc_co_u32_e32 v18, vcc, v8, v15, vcc
	flat_load_dwordx4 v[17:20], v[17:18]
	s_movk_i32 s16, 0x210
	v_mad_u32_u24 v15, v16, s16, v12
	s_waitcnt vmcnt(0) lgkmcnt(0)
	ds_write2_b64 v15, v[17:18], v[19:20] offset1:1
.LBB194_86:
	s_or_b64 exec, exec, s[14:15]
	v_add_u32_e32 v15, 24, v11
	v_cmp_le_i32_e32 vcc, s28, v15
                                        ; implicit-def: $vgpr17
	s_and_saveexec_b64 s[14:15], vcc
	s_xor_b64 s[14:15], exec, s[14:15]
	s_cbranch_execz .LBB194_88
; %bb.87:
	s_movk_i32 s16, 0x210
	v_mov_b32_e32 v18, 0
	v_mul_u32_u24_e32 v17, 0x210, v15
	v_mad_u32_u24 v22, v15, s16, v12
	v_mov_b32_e32 v19, v18
	v_mov_b32_e32 v20, v18
	;; [unrolled: 1-line block ×3, first 2 shown]
	ds_write_b128 v22, v[18:21]
.LBB194_88:
	s_andn2_saveexec_b64 s[14:15], s[14:15]
	s_cbranch_execz .LBB194_90
; %bb.89:
	v_mov_b32_e32 v17, 0x180
	v_mad_u64_u32 v[17:18], s[16:17], s24, v17, v[7:8]
	s_mul_i32 s16, s25, 0x180
	v_add_u32_e32 v18, s16, v18
	flat_load_dwordx4 v[18:21], v[17:18]
	s_movk_i32 s16, 0x210
	v_mul_u32_u24_e32 v17, 0x210, v15
	v_mad_u32_u24 v22, v15, s16, v12
	s_waitcnt vmcnt(0) lgkmcnt(0)
	ds_write2_b64 v22, v[18:19], v[20:21] offset1:1
.LBB194_90:
	s_or_b64 exec, exec, s[14:15]
	v_lshlrev_b32_e32 v6, 4, v6
	v_add_co_u32_e32 v6, vcc, v7, v6
	v_addc_co_u32_e32 v7, vcc, 0, v8, vcc
	v_mov_b32_e32 v8, s13
	v_subrev_co_u32_e32 v6, vcc, s12, v6
	v_subb_co_u32_e32 v7, vcc, v7, v8, vcc
	v_add_co_u32_e32 v6, vcc, 0x210, v6
	s_movk_i32 s12, 0x210
	v_addc_co_u32_e32 v7, vcc, 0, v7, vcc
	v_cndmask_b32_e64 v42, v6, v42, s[10:11]
	v_mov_b32_e32 v6, 0x1080
	v_cndmask_b32_e64 v43, v7, v43, s[10:11]
	v_mul_u32_u24_e32 v8, 0x210, v10
	v_mad_u32_u24 v7, v10, s12, v6
.LBB194_91:
	v_lshlrev_b32_e32 v6, 4, v11
	s_waitcnt lgkmcnt(0)
	s_barrier
	ds_read_b128 v[18:21], v6 offset:18176
	ds_read_b128 v[22:25], v14
	v_add_u32_e32 v6, v12, v8
	v_lshlrev_b32_e32 v8, 4, v10
	ds_read_b128 v[26:29], v8 offset:18176
	ds_read_b128 v[30:33], v6
	v_add_u32_e32 v6, v12, v7
	v_lshlrev_b32_e32 v7, 4, v16
	s_waitcnt lgkmcnt(2)
	v_mul_f64 v[10:11], v[20:21], v[24:25]
	ds_read_b128 v[34:37], v7 offset:18176
	ds_read_b128 v[47:50], v6
	v_mul_f64 v[6:7], v[18:19], v[24:25]
	s_waitcnt lgkmcnt(2)
	v_mul_f64 v[51:52], v[28:29], v[32:33]
	v_mul_f64 v[32:33], v[26:27], v[32:33]
	v_add_u32_e32 v8, v12, v17
	s_waitcnt lgkmcnt(0)
	v_mul_f64 v[24:25], v[36:37], v[49:50]
	v_lshlrev_b32_e32 v12, 4, v15
	v_fma_f64 v[10:11], v[18:19], v[22:23], -v[10:11]
	v_fma_f64 v[6:7], v[20:21], v[22:23], v[6:7]
	v_fma_f64 v[26:27], v[26:27], v[30:31], -v[51:52]
	v_fma_f64 v[22:23], v[28:29], v[30:31], v[32:33]
	v_mul_f64 v[28:29], v[34:35], v[49:50]
	ds_read_b128 v[14:17], v12 offset:18176
	ds_read2_b64 v[18:21], v8 offset1:1
	v_fma_f64 v[24:25], v[34:35], v[47:48], -v[24:25]
	v_add_f64 v[10:11], v[10:11], 0
	v_lshl_add_u32 v51, v13, 4, v45
	v_add_f64 v[6:7], v[6:7], 0
	v_fma_f64 v[28:29], v[36:37], v[47:48], v[28:29]
	v_add_f64 v[10:11], v[10:11], v[26:27]
	s_waitcnt lgkmcnt(0)
	v_mul_f64 v[26:27], v[16:17], v[20:21]
	v_mul_f64 v[20:21], v[14:15], v[20:21]
	v_add_f64 v[6:7], v[6:7], v[22:23]
	v_fma_f64 v[14:15], v[14:15], v[18:19], -v[26:27]
	v_fma_f64 v[16:17], v[16:17], v[18:19], v[20:21]
	v_add_f64 v[18:19], v[10:11], v[24:25]
	v_add_f64 v[20:21], v[6:7], v[28:29]
	ds_read_b128 v[30:33], v9 offset:512
	ds_read_b128 v[22:25], v9 offset:528
	;; [unrolled: 1-line block ×4, first 2 shown]
	v_add_f64 v[47:48], v[18:19], v[14:15]
	v_add_f64 v[49:50], v[20:21], v[16:17]
	ds_read_b128 v[34:37], v51
	ds_read_b128 v[26:29], v51 offset:16
	ds_read_b128 v[18:21], v51 offset:32
	;; [unrolled: 1-line block ×3, first 2 shown]
	s_waitcnt lgkmcnt(0)
	s_barrier
	ds_write_b128 v46, v[47:50]
	s_waitcnt lgkmcnt(0)
	s_barrier
	s_and_saveexec_b64 s[10:11], s[8:9]
	s_cbranch_execz .LBB194_93
; %bb.92:
	ds_read_b128 v[47:50], v45
	ds_read_b128 v[51:54], v45 offset:16
	s_waitcnt lgkmcnt(1)
	v_add_f64 v[2:3], v[2:3], v[47:48]
	v_add_f64 v[4:5], v[4:5], v[49:50]
	s_waitcnt lgkmcnt(0)
	v_add_f64 v[51:52], v[2:3], v[51:52]
	v_add_f64 v[53:54], v[4:5], v[53:54]
	ds_read_b128 v[2:5], v45 offset:32
	ds_read_b128 v[47:50], v45 offset:48
	s_waitcnt lgkmcnt(1)
	v_add_f64 v[2:3], v[51:52], v[2:3]
	v_add_f64 v[4:5], v[53:54], v[4:5]
	s_waitcnt lgkmcnt(0)
	v_add_f64 v[51:52], v[2:3], v[47:48]
	v_add_f64 v[53:54], v[4:5], v[49:50]
	ds_read_b128 v[2:5], v45 offset:64
	;; [unrolled: 8-line block ×3, first 2 shown]
	ds_read_b128 v[47:50], v45 offset:112
	s_waitcnt lgkmcnt(1)
	v_add_f64 v[2:3], v[51:52], v[2:3]
	v_add_f64 v[4:5], v[53:54], v[4:5]
	s_waitcnt lgkmcnt(0)
	v_add_f64 v[2:3], v[2:3], v[47:48]
	v_add_f64 v[4:5], v[4:5], v[49:50]
.LBB194_93:
	s_or_b64 exec, exec, s[10:11]
	v_mul_f64 v[47:48], v[36:37], v[32:33]
	v_mul_f64 v[32:33], v[34:35], v[32:33]
	;; [unrolled: 1-line block ×4, first 2 shown]
	s_barrier
	v_fma_f64 v[34:35], v[34:35], v[30:31], -v[47:48]
	v_fma_f64 v[30:31], v[36:37], v[30:31], v[32:33]
	v_mul_f64 v[32:33], v[20:21], v[12:13]
	v_mul_f64 v[12:13], v[18:19], v[12:13]
	v_fma_f64 v[26:27], v[26:27], v[22:23], -v[49:50]
	v_fma_f64 v[22:23], v[28:29], v[22:23], v[24:25]
	v_add_f64 v[24:25], v[34:35], 0
	v_add_f64 v[28:29], v[30:31], 0
	v_mul_f64 v[30:31], v[16:17], v[8:9]
	v_mul_f64 v[8:9], v[14:15], v[8:9]
	v_fma_f64 v[18:19], v[18:19], v[10:11], -v[32:33]
	v_fma_f64 v[10:11], v[20:21], v[10:11], v[12:13]
	v_add_f64 v[12:13], v[24:25], v[26:27]
	v_add_f64 v[20:21], v[28:29], v[22:23]
	v_fma_f64 v[14:15], v[14:15], v[6:7], -v[30:31]
	v_fma_f64 v[8:9], v[16:17], v[6:7], v[8:9]
	v_add_f64 v[6:7], v[12:13], v[18:19]
	v_add_f64 v[10:11], v[20:21], v[10:11]
	;; [unrolled: 1-line block ×4, first 2 shown]
	ds_write_b128 v46, v[6:9]
	s_waitcnt lgkmcnt(0)
	s_barrier
	s_and_saveexec_b64 s[8:9], s[20:21]
	s_cbranch_execz .LBB194_95
; %bb.94:
	ds_read_b128 v[6:9], v45
	ds_read_b128 v[10:13], v45 offset:16
	s_waitcnt lgkmcnt(1)
	v_add_f64 v[2:3], v[2:3], v[6:7]
	v_add_f64 v[4:5], v[4:5], v[8:9]
	s_waitcnt lgkmcnt(0)
	v_add_f64 v[10:11], v[2:3], v[10:11]
	v_add_f64 v[12:13], v[4:5], v[12:13]
	ds_read_b128 v[2:5], v45 offset:32
	ds_read_b128 v[6:9], v45 offset:48
	s_waitcnt lgkmcnt(1)
	v_add_f64 v[2:3], v[10:11], v[2:3]
	v_add_f64 v[4:5], v[12:13], v[4:5]
	s_waitcnt lgkmcnt(0)
	v_add_f64 v[10:11], v[2:3], v[6:7]
	v_add_f64 v[12:13], v[4:5], v[8:9]
	ds_read_b128 v[2:5], v45 offset:64
	;; [unrolled: 8-line block ×3, first 2 shown]
	ds_read_b128 v[6:9], v45 offset:112
	s_waitcnt lgkmcnt(1)
	v_add_f64 v[2:3], v[10:11], v[2:3]
	v_add_f64 v[4:5], v[12:13], v[4:5]
	s_waitcnt lgkmcnt(0)
	v_add_f64 v[2:3], v[2:3], v[6:7]
	v_add_f64 v[4:5], v[4:5], v[8:9]
.LBB194_95:
	s_or_b64 exec, exec, s[8:9]
	s_load_dwordx2 s[4:5], s[4:5], 0x78
	s_mul_hi_u32 s8, s7, s26
	s_mul_i32 s33, s33, s26
	s_add_i32 s8, s8, s33
	s_mul_i32 s10, s7, s26
	s_mul_i32 s8, s8, s27
	s_mul_hi_u32 s9, s10, s27
	s_add_i32 s9, s9, s8
	s_mul_i32 s8, s10, s27
	s_lshl_b64 s[8:9], s[8:9], 4
	s_waitcnt lgkmcnt(0)
	s_add_u32 s8, s4, s8
	s_mul_i32 s4, s7, s6
	s_addc_u32 s9, s5, s9
	s_ashr_i32 s5, s4, 31
	s_lshl_b64 s[4:5], s[4:5], 4
	s_add_u32 s7, s8, s4
	v_cmp_le_i32_e32 vcc, s28, v0
	s_addc_u32 s14, s9, s5
	s_and_b64 vcc, s[36:37], vcc
	s_cmp_lt_i32 s6, 1
	v_lshlrev_b32_e32 v148, 4, v0
	s_barrier
	s_cbranch_scc1 .LBB194_102
; %bb.96:
	s_mul_i32 s4, s22, s31
	s_mul_hi_u32 s5, s22, s30
	s_add_i32 s4, s5, s4
	s_mul_i32 s5, s23, s30
	s_add_i32 s5, s4, s5
	s_mul_i32 s4, s22, s30
	s_lshl_b64 s[4:5], s[4:5], 4
	v_mov_b32_e32 v6, s5
	v_subrev_co_u32_e64 v149, s[4:5], s4, v38
	v_subb_co_u32_e64 v150, s[4:5], v39, v6, s[4:5]
	v_mov_b32_e32 v6, s35
	v_subrev_co_u32_e64 v8, s[4:5], s34, v42
	v_lshlrev_b32_e32 v11, 2, v1
	v_subb_co_u32_e64 v10, s[4:5], v43, v6, s[4:5]
	v_mad_u64_u32 v[6:7], s[4:5], s24, v11, 0
	s_movk_i32 s8, 0xfe00
	v_add_co_u32_e64 v13, s[4:5], s8, v8
	v_addc_co_u32_e64 v10, s[4:5], -1, v10, s[4:5]
	v_mad_u64_u32 v[7:8], s[4:5], s25, v11, v[7:8]
	v_sub_co_u32_e64 v8, s[4:5], v13, v40
	v_lshlrev_b64 v[6:7], 4, v[6:7]
	v_subb_co_u32_e64 v10, s[4:5], v10, v41, s[4:5]
	v_add_co_u32_e64 v6, s[4:5], v8, v6
	v_addc_co_u32_e64 v7, s[4:5], v10, v7, s[4:5]
	s_ashr_i32 s29, s28, 31
	s_lshl_b64 s[4:5], s[28:29], 4
	v_mov_b32_e32 v8, s5
	v_add_co_u32_e64 v10, s[4:5], s4, v6
	v_addc_co_u32_e64 v8, s[4:5], v7, v8, s[4:5]
	v_add_co_u32_e64 v10, s[4:5], -16, v10
	v_addc_co_u32_e64 v8, s[4:5], -1, v8, s[4:5]
	v_add_co_u32_e64 v6, s[4:5], v6, v148
	v_addc_co_u32_e64 v7, s[4:5], 0, v7, s[4:5]
	v_cndmask_b32_e32 v11, v7, v8, vcc
	v_and_b32_e32 v7, 48, v0
	v_lshrrev_b32_e32 v9, 4, v44
	v_and_b32_e32 v12, 15, v0
	v_cndmask_b32_e32 v10, v6, v10, vcc
	v_mov_b32_e32 v6, 0x4300
	s_movk_i32 s8, 0x430
	v_lshlrev_b32_e32 v7, 4, v7
	v_lshl_add_u32 v152, v1, 6, v6
	v_lshlrev_b32_e32 v6, 6, v9
	v_mad_u32_u24 v156, v12, s8, v7
	v_or_b32_e32 v7, 0xf0, v148
	v_mad_u32_u24 v155, v12, s8, v6
	v_mad_u32_u24 v157, v12, s8, v7
	s_mul_i32 s8, s25, 0xd0
	s_mul_hi_u32 s9, s24, 0xd0
	s_movk_i32 s4, 0x10c0
	v_mul_i32_i24_e32 v6, 0xffffffd0, v9
	s_lshl_b64 s[10:11], s[24:25], 4
	s_add_i32 s15, s9, s8
	v_mov_b32_e32 v145, 0
	v_add_u32_e32 v151, 0x4300, v148
	v_add_u32_e32 v153, 0x4700, v148
	v_mad_u32_u24 v154, v1, s4, v148
	v_cmp_gt_u32_e64 s[4:5], 64, v44
	s_mul_i32 s16, s24, 0xd0
	s_mov_b32 s17, 0
	v_mov_b32_e32 v158, s11
	v_mov_b32_e32 v159, s15
	v_add_u32_e32 v160, v155, v6
	s_branch .LBB194_98
.LBB194_97:                             ;   in Loop: Header=BB194_98 Depth=1
	s_or_b64 exec, exec, s[12:13]
	v_mul_f64 v[86:87], v[8:9], v[36:37]
	v_mul_f64 v[36:37], v[6:7], v[36:37]
	;; [unrolled: 1-line block ×4, first 2 shown]
	s_add_i32 s17, s17, 64
	s_add_i32 s6, s6, -1
	s_cmp_eq_u32 s6, 0
	v_fma_f64 v[6:7], v[6:7], v[34:35], -v[86:87]
	v_fma_f64 v[8:9], v[8:9], v[34:35], v[36:37]
	v_mul_f64 v[34:35], v[16:17], v[28:29]
	v_mul_f64 v[28:29], v[14:15], v[28:29]
	v_fma_f64 v[18:19], v[18:19], v[30:31], -v[88:89]
	v_fma_f64 v[20:21], v[20:21], v[30:31], v[32:33]
	s_waitcnt vmcnt(0)
	s_barrier
	v_add_f64 v[2:3], v[2:3], v[6:7]
	v_add_f64 v[4:5], v[4:5], v[8:9]
	v_mul_f64 v[6:7], v[12:13], v[24:25]
	v_mul_f64 v[8:9], v[10:11], v[24:25]
	v_fma_f64 v[14:15], v[14:15], v[26:27], -v[34:35]
	v_fma_f64 v[16:17], v[16:17], v[26:27], v[28:29]
	v_add_f64 v[2:3], v[2:3], v[18:19]
	v_add_f64 v[4:5], v[4:5], v[20:21]
	v_mul_f64 v[18:19], v[48:49], v[84:85]
	v_mul_f64 v[20:21], v[46:47], v[84:85]
	v_fma_f64 v[6:7], v[10:11], v[22:23], -v[6:7]
	v_fma_f64 v[8:9], v[12:13], v[22:23], v[8:9]
	v_mul_f64 v[10:11], v[52:53], v[80:81]
	v_mul_f64 v[12:13], v[50:51], v[80:81]
	v_add_f64 v[2:3], v[2:3], v[14:15]
	v_add_f64 v[4:5], v[4:5], v[16:17]
	v_fma_f64 v[14:15], v[46:47], v[82:83], -v[18:19]
	v_fma_f64 v[16:17], v[48:49], v[82:83], v[20:21]
	v_fma_f64 v[10:11], v[50:51], v[78:79], -v[10:11]
	v_fma_f64 v[12:13], v[52:53], v[78:79], v[12:13]
	v_add_f64 v[2:3], v[2:3], v[6:7]
	v_add_f64 v[4:5], v[4:5], v[8:9]
	v_mul_f64 v[6:7], v[44:45], v[76:77]
	v_mul_f64 v[8:9], v[42:43], v[76:77]
	v_add_f64 v[2:3], v[2:3], v[14:15]
	v_add_f64 v[4:5], v[4:5], v[16:17]
	v_mul_f64 v[14:15], v[40:41], v[72:73]
	v_mul_f64 v[16:17], v[38:39], v[72:73]
	v_fma_f64 v[6:7], v[42:43], v[74:75], -v[6:7]
	v_fma_f64 v[8:9], v[44:45], v[74:75], v[8:9]
	v_add_f64 v[2:3], v[2:3], v[10:11]
	v_add_f64 v[4:5], v[4:5], v[12:13]
	v_mul_f64 v[10:11], v[64:65], v[124:125]
	v_mul_f64 v[12:13], v[62:63], v[124:125]
	v_fma_f64 v[14:15], v[38:39], v[70:71], -v[14:15]
	v_fma_f64 v[16:17], v[40:41], v[70:71], v[16:17]
	;; [unrolled: 6-line block ×9, first 2 shown]
	v_add_f64 v[2:3], v[2:3], v[14:15]
	v_add_f64 v[4:5], v[4:5], v[16:17]
	v_fma_f64 v[6:7], v[106:107], v[126:127], -v[6:7]
	v_fma_f64 v[8:9], v[108:109], v[126:127], v[8:9]
	v_add_f64 v[2:3], v[2:3], v[10:11]
	v_add_f64 v[4:5], v[4:5], v[12:13]
	v_add_co_u32_e64 v10, s[8:9], s16, v146
	v_add_f64 v[2:3], v[2:3], v[6:7]
	v_add_f64 v[4:5], v[4:5], v[8:9]
	v_mov_b32_e32 v6, s15
	v_addc_co_u32_e64 v11, s[8:9], v147, v6, s[8:9]
	s_cbranch_scc1 .LBB194_102
.LBB194_98:                             ; =>This Inner Loop Header: Depth=1
	s_and_saveexec_b64 s[12:13], s[2:3]
	s_cbranch_execz .LBB194_100
; %bb.99:                               ;   in Loop: Header=BB194_98 Depth=1
	s_mul_i32 s8, s23, s17
	s_mul_hi_u32 s9, s22, s17
	s_add_i32 s9, s9, s8
	s_mul_i32 s8, s22, s17
	s_lshl_b64 s[8:9], s[8:9], 4
	v_mov_b32_e32 v7, s9
	v_add_co_u32_e64 v6, s[8:9], s8, v149
	v_addc_co_u32_e64 v7, s[8:9], v150, v7, s[8:9]
	flat_load_dwordx4 v[6:9], v[6:7]
	s_waitcnt vmcnt(0) lgkmcnt(0)
	ds_write2_b64 v151, v[6:7], v[8:9] offset1:1
.LBB194_100:                            ;   in Loop: Header=BB194_98 Depth=1
	s_or_b64 exec, exec, s[12:13]
	s_waitcnt lgkmcnt(0)
	s_barrier
	flat_load_dwordx4 v[6:9], v[10:11]
	v_add_co_u32_e64 v10, s[8:9], s10, v10
	v_addc_co_u32_e64 v11, s[8:9], v11, v158, s[8:9]
	v_add_co_u32_e64 v12, s[8:9], s10, v10
	v_addc_co_u32_e64 v13, s[8:9], v11, v158, s[8:9]
	v_add_co_u32_e64 v42, s[8:9], s10, v12
	flat_load_dwordx4 v[18:21], v[10:11]
	flat_load_dwordx4 v[14:17], v[12:13]
	v_addc_co_u32_e64 v43, s[8:9], v13, v158, s[8:9]
	flat_load_dwordx4 v[10:13], v[42:43]
	ds_read_b128 v[38:41], v153
	ds_read_b128 v[34:37], v152
	ds_read_b128 v[30:33], v152 offset:16
	ds_read_b128 v[26:29], v152 offset:32
	;; [unrolled: 1-line block ×3, first 2 shown]
	v_add_co_u32_e64 v56, s[8:9], s16, v42
	v_addc_co_u32_e64 v57, s[8:9], v43, v159, s[8:9]
	v_add_co_u32_e64 v58, s[8:9], s10, v56
	v_addc_co_u32_e64 v59, s[8:9], v57, v158, s[8:9]
	s_waitcnt vmcnt(0) lgkmcnt(0)
	v_mul_f64 v[42:43], v[8:9], v[40:41]
	v_mul_f64 v[44:45], v[6:7], v[40:41]
	;; [unrolled: 1-line block ×8, first 2 shown]
	v_fma_f64 v[40:41], v[6:7], v[38:39], -v[42:43]
	v_fma_f64 v[42:43], v[8:9], v[38:39], v[44:45]
	v_fma_f64 v[44:45], v[18:19], v[38:39], -v[46:47]
	v_fma_f64 v[46:47], v[20:21], v[38:39], v[48:49]
	;; [unrolled: 2-line block ×4, first 2 shown]
	v_add_co_u32_e64 v38, s[8:9], s10, v58
	v_addc_co_u32_e64 v39, s[8:9], v59, v158, s[8:9]
	ds_write_b128 v154, v[40:43]
	ds_write_b128 v154, v[44:47] offset:1072
	ds_write_b128 v154, v[48:51] offset:2144
	;; [unrolled: 1-line block ×3, first 2 shown]
	v_add_co_u32_e64 v54, s[8:9], s10, v38
	s_waitcnt lgkmcnt(0)
	s_barrier
	ds_read_b128 v[126:129], v155
	ds_read_b128 v[130:133], v155 offset:16
	ds_read_b128 v[90:93], v155 offset:32
	ds_read_b128 v[86:89], v155 offset:48
	s_waitcnt lgkmcnt(0)
	s_barrier
	flat_load_dwordx4 v[46:49], v[56:57]
	flat_load_dwordx4 v[50:53], v[58:59]
	;; [unrolled: 1-line block ×3, first 2 shown]
	v_addc_co_u32_e64 v55, s[8:9], v39, v158, s[8:9]
	flat_load_dwordx4 v[38:41], v[54:55]
	v_add_co_u32_e64 v68, s[8:9], s16, v54
	v_addc_co_u32_e64 v69, s[8:9], v55, v159, s[8:9]
	ds_read_b128 v[54:57], v153
	v_add_co_u32_e64 v98, s[8:9], s10, v68
	v_addc_co_u32_e64 v99, s[8:9], v69, v158, s[8:9]
	v_add_co_u32_e64 v100, s[8:9], s10, v98
	v_addc_co_u32_e64 v101, s[8:9], v99, v158, s[8:9]
	s_waitcnt vmcnt(0) lgkmcnt(0)
	v_mul_f64 v[58:59], v[48:49], v[56:57]
	v_mul_f64 v[60:61], v[46:47], v[56:57]
	;; [unrolled: 1-line block ×8, first 2 shown]
	v_fma_f64 v[56:57], v[46:47], v[54:55], -v[58:59]
	v_fma_f64 v[58:59], v[48:49], v[54:55], v[60:61]
	v_fma_f64 v[60:61], v[50:51], v[54:55], -v[62:63]
	v_fma_f64 v[62:63], v[52:53], v[54:55], v[64:65]
	;; [unrolled: 2-line block ×4, first 2 shown]
	ds_read_b128 v[82:85], v152 offset:256
	ds_read_b128 v[78:81], v152 offset:272
	;; [unrolled: 1-line block ×4, first 2 shown]
	ds_write_b128 v154, v[56:59]
	ds_write_b128 v154, v[60:63] offset:1072
	ds_write_b128 v154, v[64:67] offset:2144
	;; [unrolled: 1-line block ×3, first 2 shown]
	v_add_co_u32_e64 v94, s[8:9], s10, v100
	s_waitcnt lgkmcnt(0)
	s_barrier
	ds_read_b128 v[161:164], v155
	ds_read_b128 v[165:168], v155 offset:16
	ds_read_b128 v[169:172], v155 offset:32
	;; [unrolled: 1-line block ×3, first 2 shown]
	s_waitcnt lgkmcnt(0)
	s_barrier
	flat_load_dwordx4 v[62:65], v[68:69]
	flat_load_dwordx4 v[58:61], v[98:99]
	;; [unrolled: 1-line block ×3, first 2 shown]
	v_addc_co_u32_e64 v95, s[8:9], v101, v158, s[8:9]
	flat_load_dwordx4 v[66:69], v[94:95]
	v_add_co_u32_e64 v108, s[8:9], s16, v94
	v_addc_co_u32_e64 v109, s[8:9], v95, v159, s[8:9]
	ds_read_b128 v[94:97], v153
	v_add_co_u32_e64 v138, s[8:9], s10, v108
	v_addc_co_u32_e64 v139, s[8:9], v109, v158, s[8:9]
	v_add_co_u32_e64 v140, s[8:9], s10, v138
	v_addc_co_u32_e64 v141, s[8:9], v139, v158, s[8:9]
	;; [unrolled: 2-line block ×3, first 2 shown]
	v_add_f64 v[213:214], v[161:162], 0
	v_add_f64 v[165:166], v[213:214], v[165:166]
	;; [unrolled: 1-line block ×3, first 2 shown]
	s_waitcnt vmcnt(0) lgkmcnt(0)
	v_mul_f64 v[98:99], v[64:65], v[96:97]
	v_mul_f64 v[100:101], v[62:63], v[96:97]
	;; [unrolled: 1-line block ×8, first 2 shown]
	v_fma_f64 v[96:97], v[62:63], v[94:95], -v[98:99]
	v_fma_f64 v[98:99], v[64:65], v[94:95], v[100:101]
	v_fma_f64 v[100:101], v[58:59], v[94:95], -v[102:103]
	v_fma_f64 v[102:103], v[60:61], v[94:95], v[104:105]
	v_fma_f64 v[104:105], v[54:55], v[94:95], -v[106:107]
	v_fma_f64 v[106:107], v[56:57], v[94:95], v[110:111]
	v_fma_f64 v[134:135], v[66:67], v[94:95], -v[112:113]
	v_fma_f64 v[136:137], v[68:69], v[94:95], v[114:115]
	ds_read_b128 v[122:125], v152 offset:512
	ds_read_b128 v[118:121], v152 offset:528
	;; [unrolled: 1-line block ×4, first 2 shown]
	ds_write_b128 v154, v[96:99]
	ds_write_b128 v154, v[100:103] offset:1072
	ds_write_b128 v154, v[104:107] offset:2144
	;; [unrolled: 1-line block ×3, first 2 shown]
	s_waitcnt lgkmcnt(0)
	s_barrier
	ds_read_b128 v[177:180], v155
	ds_read_b128 v[181:184], v155 offset:16
	ds_read_b128 v[185:188], v155 offset:32
	;; [unrolled: 1-line block ×3, first 2 shown]
	s_waitcnt lgkmcnt(0)
	s_barrier
	flat_load_dwordx4 v[98:101], v[108:109]
	flat_load_dwordx4 v[94:97], v[138:139]
	;; [unrolled: 1-line block ×3, first 2 shown]
	v_add_f64 v[134:135], v[126:127], 0
	flat_load_dwordx4 v[106:109], v[146:147]
	v_add_f64 v[136:137], v[128:129], 0
	ds_read_b128 v[126:129], v153
	v_add_f64 v[177:178], v[177:178], 0
	v_add_f64 v[179:180], v[179:180], 0
	;; [unrolled: 1-line block ×9, first 2 shown]
	s_waitcnt vmcnt(0) lgkmcnt(0)
	v_mul_f64 v[130:131], v[100:101], v[128:129]
	v_mul_f64 v[132:133], v[98:99], v[128:129]
	;; [unrolled: 1-line block ×8, first 2 shown]
	v_fma_f64 v[193:194], v[98:99], v[126:127], -v[130:131]
	v_fma_f64 v[195:196], v[100:101], v[126:127], v[132:133]
	v_fma_f64 v[197:198], v[94:95], v[126:127], -v[134:135]
	v_fma_f64 v[199:200], v[96:97], v[126:127], v[136:137]
	;; [unrolled: 2-line block ×4, first 2 shown]
	ds_read_b128 v[138:141], v152 offset:768
	ds_read_b128 v[134:137], v152 offset:784
	;; [unrolled: 1-line block ×4, first 2 shown]
	ds_write_b128 v154, v[193:196]
	ds_write_b128 v154, v[197:200] offset:1072
	ds_write_b128 v154, v[201:204] offset:2144
	;; [unrolled: 1-line block ×3, first 2 shown]
	s_waitcnt lgkmcnt(0)
	s_barrier
	ds_read_b128 v[193:196], v155
	v_add_f64 v[197:198], v[163:164], 0
	ds_read_b128 v[161:164], v155 offset:16
	v_add_f64 v[199:200], v[209:210], v[90:91]
	ds_read_b128 v[90:93], v155 offset:32
	s_waitcnt lgkmcnt(2)
	v_add_f64 v[193:194], v[193:194], 0
	v_add_f64 v[195:196], v[195:196], 0
	;; [unrolled: 1-line block ×4, first 2 shown]
	s_waitcnt lgkmcnt(1)
	v_add_f64 v[183:184], v[193:194], v[161:162]
	v_add_f64 v[193:194], v[195:196], v[163:164]
	ds_read_b128 v[161:164], v155 offset:48
	s_waitcnt lgkmcnt(0)
	v_add_f64 v[167:168], v[167:168], v[171:172]
	v_add_f64 v[171:172], v[179:180], v[187:188]
	s_barrier
	v_add_f64 v[177:178], v[183:184], v[90:91]
	v_add_f64 v[179:180], v[193:194], v[92:93]
	;; [unrolled: 1-line block ×8, first 2 shown]
	ds_write_b128 v160, v[86:89]
	ds_write_b128 v160, v[90:93] offset:256
	ds_write_b128 v160, v[165:168] offset:512
	;; [unrolled: 1-line block ×3, first 2 shown]
	s_waitcnt lgkmcnt(0)
	s_barrier
	s_and_saveexec_b64 s[12:13], s[4:5]
	s_cbranch_execz .LBB194_97
; %bb.101:                              ;   in Loop: Header=BB194_98 Depth=1
	ds_read_b128 v[86:89], v156
	ds_read_b128 v[90:93], v156 offset:16
	v_add_u32_e32 v144, s17, v0
	s_waitcnt lgkmcnt(0)
	v_add_f64 v[161:162], v[90:91], v[86:87]
	v_add_f64 v[163:164], v[92:93], v[88:89]
	ds_read_b128 v[86:89], v156 offset:32
	ds_read_b128 v[90:93], v156 offset:48
	s_waitcnt lgkmcnt(1)
	v_add_f64 v[86:87], v[161:162], v[86:87]
	v_add_f64 v[88:89], v[163:164], v[88:89]
	s_waitcnt lgkmcnt(0)
	v_add_f64 v[161:162], v[86:87], v[90:91]
	v_add_f64 v[163:164], v[88:89], v[92:93]
	ds_read_b128 v[86:89], v156 offset:64
	ds_read_b128 v[90:93], v156 offset:80
	s_waitcnt lgkmcnt(1)
	v_add_f64 v[86:87], v[161:162], v[86:87]
	v_add_f64 v[88:89], v[163:164], v[88:89]
	;; [unrolled: 8-line block ×6, first 2 shown]
	s_waitcnt lgkmcnt(0)
	v_add_f64 v[161:162], v[86:87], v[90:91]
	v_add_f64 v[163:164], v[88:89], v[92:93]
	ds_read_b128 v[86:89], v156 offset:224
	ds_read_b128 v[90:93], v157
	s_waitcnt lgkmcnt(1)
	v_add_f64 v[86:87], v[161:162], v[86:87]
	v_add_f64 v[88:89], v[163:164], v[88:89]
	s_waitcnt lgkmcnt(0)
	v_add_f64 v[86:87], v[86:87], v[90:91]
	v_add_f64 v[88:89], v[88:89], v[92:93]
	v_lshlrev_b64 v[90:91], 4, v[144:145]
	v_mov_b32_e32 v92, s14
	v_add_co_u32_e64 v90, s[8:9], s7, v90
	v_addc_co_u32_e64 v91, s[8:9], v92, v91, s[8:9]
	global_store_dwordx4 v[90:91], v[86:89], off
	s_branch .LBB194_97
.LBB194_102:
	s_movk_i32 s2, 0x430
	v_mad_u32_u24 v0, v1, s2, v148
	s_nor_b64 s[0:1], s[0:1], vcc
	ds_write_b128 v0, v[2:5]
	s_waitcnt lgkmcnt(0)
	s_barrier
	s_and_saveexec_b64 s[2:3], s[0:1]
	s_cbranch_execz .LBB194_104
; %bb.103:
	ds_read_b128 v[0:3], v148 offset:1072
	ds_read_b128 v[4:7], v148
	s_waitcnt lgkmcnt(0)
	v_add_f64 v[8:9], v[0:1], v[4:5]
	v_add_f64 v[10:11], v[2:3], v[6:7]
	ds_read_b128 v[0:3], v148 offset:2144
	ds_read_b128 v[4:7], v148 offset:3216
	s_waitcnt lgkmcnt(1)
	v_add_f64 v[0:1], v[8:9], v[0:1]
	v_add_f64 v[2:3], v[10:11], v[2:3]
	s_waitcnt lgkmcnt(0)
	v_add_f64 v[0:1], v[0:1], v[4:5]
	v_add_f64 v[2:3], v[2:3], v[6:7]
	v_lshlrev_b64 v[4:5], 4, v[142:143]
	v_mov_b32_e32 v6, s14
	v_add_co_u32_e32 v4, vcc, s7, v4
	v_addc_co_u32_e32 v5, vcc, v6, v5, vcc
	global_store_dwordx4 v[4:5], v[0:3], off
.LBB194_104:
	s_endpgm
	.section	.rodata,"a",@progbits
	.p2align	6, 0x0
	.amdhsa_kernel _ZL26rocblas_hemvn_kernel_lowerILb0ELi64ELi4ELi33ELi32ELi16El19rocblas_complex_numIdEPKPKS1_PS1_EviT6_lT7_lT5_lS8_lS9_lS7_lT8_i
		.amdhsa_group_segment_fixed_size 19200
		.amdhsa_private_segment_fixed_size 0
		.amdhsa_kernarg_size 392
		.amdhsa_user_sgpr_count 6
		.amdhsa_user_sgpr_private_segment_buffer 1
		.amdhsa_user_sgpr_dispatch_ptr 0
		.amdhsa_user_sgpr_queue_ptr 0
		.amdhsa_user_sgpr_kernarg_segment_ptr 1
		.amdhsa_user_sgpr_dispatch_id 0
		.amdhsa_user_sgpr_flat_scratch_init 0
		.amdhsa_user_sgpr_private_segment_size 0
		.amdhsa_uses_dynamic_stack 0
		.amdhsa_system_sgpr_private_segment_wavefront_offset 0
		.amdhsa_system_sgpr_workgroup_id_x 1
		.amdhsa_system_sgpr_workgroup_id_y 0
		.amdhsa_system_sgpr_workgroup_id_z 1
		.amdhsa_system_sgpr_workgroup_info 0
		.amdhsa_system_vgpr_workitem_id 1
		.amdhsa_next_free_vgpr 215
		.amdhsa_next_free_sgpr 98
		.amdhsa_reserve_vcc 1
		.amdhsa_reserve_flat_scratch 0
		.amdhsa_float_round_mode_32 0
		.amdhsa_float_round_mode_16_64 0
		.amdhsa_float_denorm_mode_32 3
		.amdhsa_float_denorm_mode_16_64 3
		.amdhsa_dx10_clamp 1
		.amdhsa_ieee_mode 1
		.amdhsa_fp16_overflow 0
		.amdhsa_exception_fp_ieee_invalid_op 0
		.amdhsa_exception_fp_denorm_src 0
		.amdhsa_exception_fp_ieee_div_zero 0
		.amdhsa_exception_fp_ieee_overflow 0
		.amdhsa_exception_fp_ieee_underflow 0
		.amdhsa_exception_fp_ieee_inexact 0
		.amdhsa_exception_int_div_zero 0
	.end_amdhsa_kernel
	.section	.text._ZL26rocblas_hemvn_kernel_lowerILb0ELi64ELi4ELi33ELi32ELi16El19rocblas_complex_numIdEPKPKS1_PS1_EviT6_lT7_lT5_lS8_lS9_lS7_lT8_i,"axG",@progbits,_ZL26rocblas_hemvn_kernel_lowerILb0ELi64ELi4ELi33ELi32ELi16El19rocblas_complex_numIdEPKPKS1_PS1_EviT6_lT7_lT5_lS8_lS9_lS7_lT8_i,comdat
.Lfunc_end194:
	.size	_ZL26rocblas_hemvn_kernel_lowerILb0ELi64ELi4ELi33ELi32ELi16El19rocblas_complex_numIdEPKPKS1_PS1_EviT6_lT7_lT5_lS8_lS9_lS7_lT8_i, .Lfunc_end194-_ZL26rocblas_hemvn_kernel_lowerILb0ELi64ELi4ELi33ELi32ELi16El19rocblas_complex_numIdEPKPKS1_PS1_EviT6_lT7_lT5_lS8_lS9_lS7_lT8_i
                                        ; -- End function
	.set _ZL26rocblas_hemvn_kernel_lowerILb0ELi64ELi4ELi33ELi32ELi16El19rocblas_complex_numIdEPKPKS1_PS1_EviT6_lT7_lT5_lS8_lS9_lS7_lT8_i.num_vgpr, 215
	.set _ZL26rocblas_hemvn_kernel_lowerILb0ELi64ELi4ELi33ELi32ELi16El19rocblas_complex_numIdEPKPKS1_PS1_EviT6_lT7_lT5_lS8_lS9_lS7_lT8_i.num_agpr, 0
	.set _ZL26rocblas_hemvn_kernel_lowerILb0ELi64ELi4ELi33ELi32ELi16El19rocblas_complex_numIdEPKPKS1_PS1_EviT6_lT7_lT5_lS8_lS9_lS7_lT8_i.numbered_sgpr, 44
	.set _ZL26rocblas_hemvn_kernel_lowerILb0ELi64ELi4ELi33ELi32ELi16El19rocblas_complex_numIdEPKPKS1_PS1_EviT6_lT7_lT5_lS8_lS9_lS7_lT8_i.num_named_barrier, 0
	.set _ZL26rocblas_hemvn_kernel_lowerILb0ELi64ELi4ELi33ELi32ELi16El19rocblas_complex_numIdEPKPKS1_PS1_EviT6_lT7_lT5_lS8_lS9_lS7_lT8_i.private_seg_size, 0
	.set _ZL26rocblas_hemvn_kernel_lowerILb0ELi64ELi4ELi33ELi32ELi16El19rocblas_complex_numIdEPKPKS1_PS1_EviT6_lT7_lT5_lS8_lS9_lS7_lT8_i.uses_vcc, 1
	.set _ZL26rocblas_hemvn_kernel_lowerILb0ELi64ELi4ELi33ELi32ELi16El19rocblas_complex_numIdEPKPKS1_PS1_EviT6_lT7_lT5_lS8_lS9_lS7_lT8_i.uses_flat_scratch, 0
	.set _ZL26rocblas_hemvn_kernel_lowerILb0ELi64ELi4ELi33ELi32ELi16El19rocblas_complex_numIdEPKPKS1_PS1_EviT6_lT7_lT5_lS8_lS9_lS7_lT8_i.has_dyn_sized_stack, 0
	.set _ZL26rocblas_hemvn_kernel_lowerILb0ELi64ELi4ELi33ELi32ELi16El19rocblas_complex_numIdEPKPKS1_PS1_EviT6_lT7_lT5_lS8_lS9_lS7_lT8_i.has_recursion, 0
	.set _ZL26rocblas_hemvn_kernel_lowerILb0ELi64ELi4ELi33ELi32ELi16El19rocblas_complex_numIdEPKPKS1_PS1_EviT6_lT7_lT5_lS8_lS9_lS7_lT8_i.has_indirect_call, 0
	.section	.AMDGPU.csdata,"",@progbits
; Kernel info:
; codeLenInByte = 9372
; TotalNumSgprs: 48
; NumVgprs: 215
; ScratchSize: 0
; MemoryBound: 0
; FloatMode: 240
; IeeeMode: 1
; LDSByteSize: 19200 bytes/workgroup (compile time only)
; SGPRBlocks: 12
; VGPRBlocks: 53
; NumSGPRsForWavesPerEU: 102
; NumVGPRsForWavesPerEU: 215
; Occupancy: 1
; WaveLimiterHint : 0
; COMPUTE_PGM_RSRC2:SCRATCH_EN: 0
; COMPUTE_PGM_RSRC2:USER_SGPR: 6
; COMPUTE_PGM_RSRC2:TRAP_HANDLER: 0
; COMPUTE_PGM_RSRC2:TGID_X_EN: 1
; COMPUTE_PGM_RSRC2:TGID_Y_EN: 0
; COMPUTE_PGM_RSRC2:TGID_Z_EN: 1
; COMPUTE_PGM_RSRC2:TIDIG_COMP_CNT: 1
	.section	.text._ZL26rocblas_hemvn_kernel_lowerILb0ELi64ELi4ELi33ELi32ELi16Ei19rocblas_complex_numIdEPKPKS1_PS1_EviT6_lT7_lT5_lS8_lS9_lS7_lT8_i,"axG",@progbits,_ZL26rocblas_hemvn_kernel_lowerILb0ELi64ELi4ELi33ELi32ELi16Ei19rocblas_complex_numIdEPKPKS1_PS1_EviT6_lT7_lT5_lS8_lS9_lS7_lT8_i,comdat
	.globl	_ZL26rocblas_hemvn_kernel_lowerILb0ELi64ELi4ELi33ELi32ELi16Ei19rocblas_complex_numIdEPKPKS1_PS1_EviT6_lT7_lT5_lS8_lS9_lS7_lT8_i ; -- Begin function _ZL26rocblas_hemvn_kernel_lowerILb0ELi64ELi4ELi33ELi32ELi16Ei19rocblas_complex_numIdEPKPKS1_PS1_EviT6_lT7_lT5_lS8_lS9_lS7_lT8_i
	.p2align	8
	.type	_ZL26rocblas_hemvn_kernel_lowerILb0ELi64ELi4ELi33ELi32ELi16Ei19rocblas_complex_numIdEPKPKS1_PS1_EviT6_lT7_lT5_lS8_lS9_lS7_lT8_i,@function
_ZL26rocblas_hemvn_kernel_lowerILb0ELi64ELi4ELi33ELi32ELi16Ei19rocblas_complex_numIdEPKPKS1_PS1_EviT6_lT7_lT5_lS8_lS9_lS7_lT8_i: ; @_ZL26rocblas_hemvn_kernel_lowerILb0ELi64ELi4ELi33ELi32ELi16Ei19rocblas_complex_numIdEPKPKS1_PS1_EviT6_lT7_lT5_lS8_lS9_lS7_lT8_i
; %bb.0:
	s_load_dwordx2 s[2:3], s[4:5], 0x94
	s_add_u32 s0, s4, 0x88
	s_mov_b32 s22, s7
	s_addc_u32 s1, s5, 0
	s_waitcnt lgkmcnt(0)
	s_lshr_b32 s7, s2, 16
	s_and_b32 s2, s2, 0xffff
	s_and_b32 s3, s3, 0xffff
	s_mul_i32 s2, s7, s2
	s_mul_i32 s2, s2, s3
	s_cmpk_lg_i32 s2, 0x100
	s_cbranch_scc1 .LBB195_104
; %bb.1:
	s_load_dwordx4 s[8:11], s[4:5], 0x8
	v_mov_b32_e32 v2, v1
	s_waitcnt lgkmcnt(0)
	v_cmp_neq_f64_e64 s[2:3], s[8:9], 0
	v_cmp_neq_f64_e64 s[8:9], s[10:11], 0
	s_or_b64 s[8:9], s[2:3], s[8:9]
	s_mov_b64 s[2:3], -1
	s_and_b64 vcc, exec, s[8:9]
	s_cbranch_vccnz .LBB195_3
; %bb.2:
	s_load_dwordx4 s[8:11], s[4:5], 0x60
	s_waitcnt lgkmcnt(0)
	v_cmp_eq_f64_e64 s[2:3], s[8:9], 1.0
	v_cmp_eq_f64_e64 s[8:9], s[10:11], 0
	s_and_b64 s[2:3], s[2:3], s[8:9]
	s_andn2_b64 vcc, exec, s[2:3]
	s_mov_b64 s[2:3], 0
.LBB195_3:
	s_andn2_b64 vcc, exec, s[2:3]
	s_cbranch_vccnz .LBB195_104
; %bb.4:
	s_load_dwordx4 s[8:11], s[4:5], 0x20
	s_load_dwordx4 s[12:15], s[4:5], 0x40
	s_load_dword s7, s[4:5], 0x50
	s_mov_b32 s23, 0
	s_lshl_b64 s[2:3], s[22:23], 3
	s_waitcnt lgkmcnt(0)
	s_add_u32 s16, s8, s2
	s_addc_u32 s17, s9, s3
	s_add_u32 s2, s12, s2
	s_addc_u32 s3, s13, s3
	s_load_dwordx2 s[12:13], s[2:3], 0x0
	s_load_dword s23, s[4:5], 0x0
	s_load_dword s33, s[0:1], 0x0
	s_load_dwordx2 s[8:9], s[16:17], 0x0
	s_lshl_b64 s[0:1], s[14:15], 4
	s_waitcnt lgkmcnt(0)
	s_add_u32 s0, s12, s0
	s_addc_u32 s1, s13, s1
	s_lshl_b32 s26, s6, 6
	v_add_u32_e32 v143, s26, v0
	v_mul_lo_u32 v3, s7, v143
	s_ashr_i32 s42, s23, 31
	s_lshr_b32 s3, s42, 26
	s_add_i32 s3, s23, s3
	v_ashrrev_i32_e32 v4, 31, v3
	s_andn2_b32 s3, s3, 63
	v_lshlrev_b64 v[3:4], 4, v[3:4]
	s_add_i32 s2, s33, -1
	s_sub_i32 s3, s23, s3
	s_cmp_eq_u32 s6, s2
	v_mov_b32_e32 v1, s1
	v_add_co_u32_e32 v39, vcc, s0, v3
	s_cselect_b32 s24, s3, 0
	v_addc_co_u32_e32 v40, vcc, v1, v4, vcc
	v_cmp_ne_u32_e64 s[0:1], 0, v2
	v_cmp_eq_u32_e64 s[2:3], 0, v2
	s_and_saveexec_b64 s[12:13], s[2:3]
	s_cbranch_execz .LBB195_9
; %bb.5:
	s_cmp_lg_u32 s24, 0
	s_cselect_b64 s[14:15], -1, 0
	v_cmp_le_i32_e32 vcc, s24, v0
	v_mov_b32_e32 v1, 0x4700
	s_and_b64 s[14:15], s[14:15], vcc
	v_lshl_add_u32 v1, v0, 4, v1
	s_and_saveexec_b64 s[16:17], s[14:15]
	s_xor_b64 s[14:15], exec, s[16:17]
; %bb.6:
	v_mov_b32_e32 v3, 0
	v_mov_b32_e32 v4, v3
	;; [unrolled: 1-line block ×4, first 2 shown]
	ds_write_b128 v1, v[3:6]
                                        ; implicit-def: $vgpr1
; %bb.7:
	s_andn2_saveexec_b64 s[14:15], s[14:15]
	s_cbranch_execz .LBB195_9
; %bb.8:
	flat_load_dwordx4 v[3:6], v[39:40]
	s_waitcnt vmcnt(0) lgkmcnt(0)
	ds_write2_b64 v1, v[3:4], v[5:6] offset1:1
.LBB195_9:
	s_or_b64 exec, exec, s[12:13]
	s_load_dword s28, s[4:5], 0x30
	s_lshl_b64 s[10:11], s[10:11], 4
	v_lshl_add_u32 v45, v2, 6, v0
	s_add_u32 s10, s8, s10
	v_and_b32_e32 v1, 31, v0
	v_lshrrev_b32_e32 v11, 5, v45
	s_addc_u32 s11, s9, s11
	s_waitcnt lgkmcnt(0)
	v_mad_u64_u32 v[3:4], s[8:9], s28, v11, v[1:2]
	s_ashr_i32 s27, s26, 31
	s_lshl_b64 s[8:9], s[26:27], 4
	v_ashrrev_i32_e32 v4, 31, v3
	v_lshlrev_b64 v[41:42], 4, v[3:4]
	s_add_u32 s8, s10, s8
	s_addc_u32 s9, s11, s9
	v_add_co_u32_e32 v4, vcc, s8, v41
	s_mul_i32 s8, s28, s26
	v_mov_b32_e32 v3, s9
	s_ashr_i32 s9, s8, 31
	v_addc_co_u32_e32 v3, vcc, v3, v42, vcc
	s_lshl_b64 s[30:31], s[8:9], 4
	v_mov_b32_e32 v5, s31
	v_add_co_u32_e32 v7, vcc, s30, v4
	s_cmp_lg_u32 s24, 0
	v_addc_co_u32_e32 v8, vcc, v3, v5, vcc
	s_cselect_b64 s[34:35], -1, 0
	s_cmp_eq_u32 s24, 0
	s_cselect_b64 s[18:19], -1, 0
	s_mov_b64 s[8:9], -1
	s_and_b64 vcc, exec, s[34:35]
	s_cbranch_vccnz .LBB195_11
; %bb.10:
	flat_load_dwordx4 v[3:6], v[7:8]
	s_lshl_b32 s8, s28, 3
	s_ashr_i32 s9, s8, 31
	v_mul_u32_u24_e32 v9, 0x210, v11
	s_lshl_b64 s[8:9], s[8:9], 4
	v_lshl_add_u32 v12, v1, 4, v9
	v_mov_b32_e32 v10, s9
	v_add_co_u32_e32 v9, vcc, s8, v7
	v_addc_co_u32_e32 v10, vcc, v8, v10, vcc
	s_ashr_i32 s29, s28, 31
	s_lshl_b64 s[8:9], s[28:29], 7
	v_add_u32_e32 v13, 0x1080, v12
	v_mov_b32_e32 v14, s9
	s_waitcnt vmcnt(0) lgkmcnt(0)
	ds_write2_b64 v12, v[3:4], v[5:6] offset1:1
	flat_load_dwordx4 v[3:6], v[9:10]
	v_add_co_u32_e32 v9, vcc, s8, v9
	v_addc_co_u32_e32 v10, vcc, v10, v14, vcc
	s_waitcnt vmcnt(0) lgkmcnt(0)
	ds_write2_b64 v13, v[3:4], v[5:6] offset1:1
	flat_load_dwordx4 v[3:6], v[9:10]
	v_add_u32_e32 v13, 0x2100, v12
	v_add_co_u32_e32 v9, vcc, s8, v9
	v_addc_co_u32_e32 v10, vcc, v10, v14, vcc
	s_mov_b64 s[8:9], 0
	s_waitcnt vmcnt(0) lgkmcnt(0)
	ds_write2_b64 v13, v[3:4], v[5:6] offset1:1
	flat_load_dwordx4 v[3:6], v[9:10]
	v_add_u32_e32 v9, 0x3180, v12
	s_waitcnt vmcnt(0) lgkmcnt(0)
	ds_write2_b64 v9, v[3:4], v[5:6] offset1:1
.LBB195_11:
	s_andn2_b64 vcc, exec, s[8:9]
	v_lshlrev_b32_e32 v12, 4, v1
	s_cbranch_vccnz .LBB195_29
; %bb.12:
	v_sub_co_u32_e32 v3, vcc, v7, v12
	s_ashr_i32 s25, s24, 31
	v_subbrev_co_u32_e32 v4, vcc, 0, v8, vcc
	s_lshl_b64 s[10:11], s[24:25], 4
	v_mov_b32_e32 v5, s11
	v_add_co_u32_e32 v3, vcc, s10, v3
	v_addc_co_u32_e32 v4, vcc, v4, v5, vcc
	v_add_co_u32_e32 v3, vcc, -16, v3
	v_addc_co_u32_e32 v4, vcc, -1, v4, vcc
	v_cmp_gt_i32_e32 vcc, s24, v1
	s_movk_i32 s12, 0x210
	v_cndmask_b32_e32 v4, v4, v8, vcc
	v_cndmask_b32_e32 v3, v3, v7, vcc
	v_cmp_le_i32_e64 s[8:9], s24, v11
	v_mad_u32_u24 v5, v11, s12, v12
	s_and_saveexec_b64 s[12:13], s[8:9]
	s_xor_b64 s[8:9], exec, s[12:13]
; %bb.13:
	v_mov_b32_e32 v13, 0
	v_mov_b32_e32 v14, v13
	;; [unrolled: 1-line block ×4, first 2 shown]
	ds_write_b128 v5, v[13:16]
                                        ; implicit-def: $vgpr5
; %bb.14:
	s_andn2_saveexec_b64 s[8:9], s[8:9]
	s_cbranch_execz .LBB195_16
; %bb.15:
	flat_load_dwordx4 v[13:16], v[3:4]
	s_waitcnt vmcnt(0) lgkmcnt(0)
	ds_write2_b64 v5, v[13:14], v[15:16] offset1:1
.LBB195_16:
	s_or_b64 exec, exec, s[8:9]
	v_add_u32_e32 v6, 8, v11
	v_mul_u32_u24_e32 v5, 0x210, v11
	v_cmp_le_i32_e64 s[8:9], s24, v6
	s_and_saveexec_b64 s[12:13], s[8:9]
	s_xor_b64 s[8:9], exec, s[12:13]
	s_cbranch_execz .LBB195_18
; %bb.17:
	v_mov_b32_e32 v13, 0
	v_add_u32_e32 v6, v5, v12
	v_mov_b32_e32 v14, v13
	v_mov_b32_e32 v15, v13
	;; [unrolled: 1-line block ×3, first 2 shown]
	ds_write_b128 v6, v[13:16] offset:4224
.LBB195_18:
	s_andn2_saveexec_b64 s[12:13], s[8:9]
	s_cbranch_execz .LBB195_20
; %bb.19:
	s_lshl_b32 s8, s28, 3
	s_ashr_i32 s9, s8, 31
	s_lshl_b64 s[8:9], s[8:9], 4
	v_mov_b32_e32 v6, s9
	v_add_co_u32_e64 v9, s[8:9], s8, v3
	v_addc_co_u32_e64 v10, s[8:9], v4, v6, s[8:9]
	flat_load_dwordx4 v[13:16], v[9:10]
	s_movk_i32 s8, 0x1080
	v_add3_u32 v6, v5, v12, s8
	s_waitcnt vmcnt(0) lgkmcnt(0)
	ds_write2_b64 v6, v[13:14], v[15:16] offset1:1
.LBB195_20:
	s_or_b64 exec, exec, s[12:13]
	v_add_u32_e32 v6, 16, v11
	v_cmp_le_i32_e64 s[8:9], s24, v6
	s_and_saveexec_b64 s[12:13], s[8:9]
	s_xor_b64 s[8:9], exec, s[12:13]
	s_cbranch_execz .LBB195_22
; %bb.21:
	v_mov_b32_e32 v13, 0
	v_add_u32_e32 v6, v5, v12
	v_mov_b32_e32 v14, v13
	v_mov_b32_e32 v15, v13
	;; [unrolled: 1-line block ×3, first 2 shown]
	ds_write_b128 v6, v[13:16] offset:8448
.LBB195_22:
	s_andn2_saveexec_b64 s[12:13], s[8:9]
	s_cbranch_execz .LBB195_24
; %bb.23:
	s_lshl_b32 s8, s28, 4
	s_ashr_i32 s9, s8, 31
	s_lshl_b64 s[8:9], s[8:9], 4
	v_mov_b32_e32 v6, s9
	v_add_co_u32_e64 v9, s[8:9], s8, v3
	v_addc_co_u32_e64 v10, s[8:9], v4, v6, s[8:9]
	flat_load_dwordx4 v[13:16], v[9:10]
	s_movk_i32 s8, 0x2100
	v_add3_u32 v6, v5, v12, s8
	s_waitcnt vmcnt(0) lgkmcnt(0)
	ds_write2_b64 v6, v[13:14], v[15:16] offset1:1
.LBB195_24:
	s_or_b64 exec, exec, s[12:13]
	v_add_u32_e32 v6, 24, v11
	v_cmp_le_i32_e64 s[8:9], s24, v6
	s_and_saveexec_b64 s[12:13], s[8:9]
	s_xor_b64 s[8:9], exec, s[12:13]
	s_cbranch_execz .LBB195_26
; %bb.25:
	v_mov_b32_e32 v13, 0
	v_add_u32_e32 v5, v5, v12
	v_mov_b32_e32 v14, v13
	v_mov_b32_e32 v15, v13
	v_mov_b32_e32 v16, v13
	ds_write_b128 v5, v[13:16] offset:12672
                                        ; implicit-def: $vgpr5
.LBB195_26:
	s_andn2_saveexec_b64 s[12:13], s[8:9]
	s_cbranch_execz .LBB195_28
; %bb.27:
	s_mul_i32 s8, s28, 24
	s_ashr_i32 s9, s8, 31
	s_lshl_b64 s[8:9], s[8:9], 4
	v_mov_b32_e32 v6, s9
	v_add_co_u32_e64 v9, s[8:9], s8, v3
	v_addc_co_u32_e64 v10, s[8:9], v4, v6, s[8:9]
	flat_load_dwordx4 v[13:16], v[9:10]
	s_movk_i32 s8, 0x3180
	v_add3_u32 v5, v5, v12, s8
	s_waitcnt vmcnt(0) lgkmcnt(0)
	ds_write2_b64 v5, v[13:14], v[15:16] offset1:1
.LBB195_28:
	s_or_b64 exec, exec, s[12:13]
	v_add_co_u32_e64 v3, s[8:9], v3, v12
	v_addc_co_u32_e64 v4, s[8:9], 0, v4, s[8:9]
	v_mov_b32_e32 v5, s11
	v_subrev_co_u32_e64 v3, s[8:9], s10, v3
	v_subb_co_u32_e64 v4, s[8:9], v4, v5, s[8:9]
	v_add_co_u32_e64 v3, s[8:9], 16, v3
	v_addc_co_u32_e64 v4, s[8:9], 0, v4, s[8:9]
	v_cndmask_b32_e32 v8, v4, v8, vcc
	v_cndmask_b32_e32 v7, v3, v7, vcc
.LBB195_29:
	v_lshlrev_b32_e32 v13, 2, v11
	v_lshl_or_b32 v5, v1, 9, v12
	v_cmp_lt_u32_e64 s[8:9], v13, v1
	s_waitcnt lgkmcnt(0)
	s_barrier
	s_and_saveexec_b64 s[10:11], s[8:9]
	s_cbranch_execz .LBB195_31
; %bb.30:
	s_movk_i32 s12, 0x840
	v_mad_u32_u24 v3, v11, s12, v12
	ds_read_b128 v[14:17], v3
	v_lshl_add_u32 v3, v13, 4, v5
	s_waitcnt lgkmcnt(0)
	ds_write_b128 v3, v[14:17]
.LBB195_31:
	s_or_b64 exec, exec, s[10:11]
	v_or_b32_e32 v3, 1, v13
	v_cmp_lt_u32_e64 s[10:11], v3, v1
	s_and_saveexec_b64 s[12:13], s[10:11]
	s_cbranch_execz .LBB195_33
; %bb.32:
	s_movk_i32 s14, 0x210
	v_mad_u32_u24 v4, v3, s14, v12
	ds_read_b128 v[14:17], v4
	v_lshl_add_u32 v4, v13, 4, v5
	s_waitcnt lgkmcnt(0)
	ds_write_b128 v4, v[14:17] offset:16
.LBB195_33:
	s_or_b64 exec, exec, s[12:13]
	v_or_b32_e32 v4, 2, v13
	v_cmp_lt_u32_e64 s[12:13], v4, v1
	s_and_saveexec_b64 s[14:15], s[12:13]
	s_cbranch_execz .LBB195_35
; %bb.34:
	s_movk_i32 s16, 0x210
	v_mad_u32_u24 v4, v4, s16, v12
	ds_read_b128 v[14:17], v4
	v_lshl_add_u32 v4, v13, 4, v5
	s_waitcnt lgkmcnt(0)
	ds_write_b128 v4, v[14:17] offset:32
.LBB195_35:
	s_or_b64 exec, exec, s[14:15]
	v_or_b32_e32 v6, 3, v13
	v_cmp_lt_u32_e64 s[14:15], v6, v1
	v_cmp_ge_u32_e32 vcc, v6, v1
                                        ; implicit-def: $vgpr4
	s_and_saveexec_b64 s[16:17], vcc
	s_xor_b64 s[16:17], exec, s[16:17]
; %bb.36:
	v_mul_u32_u24_e32 v4, 0x210, v6
                                        ; implicit-def: $vgpr5
                                        ; implicit-def: $vgpr6
; %bb.37:
	s_andn2_saveexec_b64 s[16:17], s[16:17]
	s_cbranch_execz .LBB195_39
; %bb.38:
	s_movk_i32 s20, 0x210
	v_mad_u32_u24 v4, v6, s20, v12
	ds_read_b128 v[14:17], v4
	v_lshl_add_u32 v5, v13, 4, v5
	v_mul_u32_u24_e32 v4, 0x210, v6
	s_waitcnt lgkmcnt(0)
	ds_write_b128 v5, v[14:17] offset:48
.LBB195_39:
	s_or_b64 exec, exec, s[16:17]
	s_movk_i32 s16, 0x840
	v_mad_u32_u24 v14, v11, s16, v12
	s_waitcnt lgkmcnt(0)
	s_barrier
	v_lshlrev_b32_e32 v15, 4, v13
	ds_read_b128 v[18:21], v14
	ds_read_b128 v[22:25], v15 offset:18176
	ds_read_b128 v[26:29], v15 offset:18192
	s_movk_i32 s16, 0x210
	v_mad_u32_u24 v17, v3, s16, v12
	ds_read_b128 v[30:33], v17
	s_waitcnt lgkmcnt(2)
	v_mul_f64 v[5:6], v[24:25], v[20:21]
	v_mul_f64 v[9:10], v[22:23], v[20:21]
	v_add_u32_e32 v16, v12, v4
	v_cmp_gt_u32_e64 s[20:21], 32, v45
	v_fma_f64 v[36:37], v[22:23], v[18:19], -v[5:6]
	ds_read_b128 v[3:6], v15 offset:18208
	s_waitcnt lgkmcnt(1)
	v_mul_f64 v[43:44], v[28:29], v[32:33]
	v_mul_f64 v[50:51], v[26:27], v[32:33]
	v_fma_f64 v[9:10], v[24:25], v[18:19], v[9:10]
	ds_read_b128 v[20:23], v17 offset:528
	ds_read_b128 v[32:35], v15 offset:18224
	ds_read_b128 v[46:49], v16
	s_waitcnt lgkmcnt(0)
	v_add_f64 v[18:19], v[36:37], 0
	s_barrier
	v_mul_f64 v[24:25], v[5:6], v[22:23]
	v_fma_f64 v[26:27], v[26:27], v[30:31], -v[43:44]
	v_fma_f64 v[28:29], v[28:29], v[30:31], v[50:51]
	v_mul_f64 v[22:23], v[3:4], v[22:23]
	v_add_f64 v[9:10], v[9:10], 0
	v_mul_f64 v[30:31], v[34:35], v[48:49]
	v_fma_f64 v[3:4], v[3:4], v[20:21], -v[24:25]
	v_add_f64 v[18:19], v[18:19], v[26:27]
	v_mul_f64 v[24:25], v[32:33], v[48:49]
	v_fma_f64 v[5:6], v[5:6], v[20:21], v[22:23]
	v_add_f64 v[9:10], v[9:10], v[28:29]
	v_fma_f64 v[20:21], v[32:33], v[46:47], -v[30:31]
	v_add_f64 v[18:19], v[18:19], v[3:4]
	v_fma_f64 v[22:23], v[34:35], v[46:47], v[24:25]
	v_mov_b32_e32 v3, 0
	v_add_f64 v[5:6], v[9:10], v[5:6]
	v_mul_u32_u24_e32 v9, 33, v1
	v_lshlrev_b32_e32 v46, 4, v9
	v_mov_b32_e32 v4, 0
	v_lshl_add_u32 v47, v11, 4, v46
	v_add_f64 v[18:19], v[18:19], v[20:21]
	v_add_f64 v[20:21], v[5:6], v[22:23]
	v_mov_b32_e32 v5, 0
	v_mov_b32_e32 v6, 0
	ds_write_b128 v47, v[18:21]
	s_waitcnt lgkmcnt(0)
	s_barrier
	s_and_saveexec_b64 s[16:17], s[20:21]
	s_cbranch_execz .LBB195_41
; %bb.40:
	ds_read_b128 v[3:6], v46
	ds_read_b128 v[18:21], v46 offset:16
	s_waitcnt lgkmcnt(0)
	v_add_f64 v[9:10], v[18:19], v[3:4]
	v_add_f64 v[22:23], v[20:21], v[5:6]
	ds_read_b128 v[3:6], v46 offset:32
	ds_read_b128 v[18:21], v46 offset:48
	s_waitcnt lgkmcnt(1)
	v_add_f64 v[3:4], v[9:10], v[3:4]
	v_add_f64 v[5:6], v[22:23], v[5:6]
	s_waitcnt lgkmcnt(0)
	v_add_f64 v[9:10], v[3:4], v[18:19]
	v_add_f64 v[22:23], v[5:6], v[20:21]
	ds_read_b128 v[3:6], v46 offset:64
	ds_read_b128 v[18:21], v46 offset:80
	s_waitcnt lgkmcnt(1)
	v_add_f64 v[3:4], v[9:10], v[3:4]
	v_add_f64 v[5:6], v[22:23], v[5:6]
	;; [unrolled: 8-line block ×3, first 2 shown]
	s_waitcnt lgkmcnt(0)
	v_add_f64 v[3:4], v[3:4], v[18:19]
	v_add_f64 v[5:6], v[5:6], v[20:21]
.LBB195_41:
	s_or_b64 exec, exec, s[16:17]
	s_lshl_b32 s16, s28, 5
	s_ashr_i32 s17, s16, 31
	s_lshl_b64 s[36:37], s[16:17], 4
	v_mov_b32_e32 v10, s37
	v_add_co_u32_e32 v9, vcc, s36, v7
	v_addc_co_u32_e32 v10, vcc, v8, v10, vcc
	v_add_co_u32_e32 v7, vcc, 0x200, v9
	v_addc_co_u32_e32 v8, vcc, 0, v10, vcc
	v_cndmask_b32_e64 v18, 0, 1, s[18:19]
	v_cmp_ne_u32_e64 s[16:17], 1, v18
	s_andn2_b64 vcc, exec, s[18:19]
	s_mov_b64 s[18:19], -1
	s_barrier
	s_cbranch_vccnz .LBB195_43
; %bb.42:
	flat_load_dwordx4 v[18:21], v[7:8]
	s_movk_i32 s19, 0x210
	s_lshl_b32 s18, s28, 3
	v_mad_u32_u24 v24, v11, s19, v12
	s_ashr_i32 s19, s18, 31
	s_lshl_b64 s[18:19], s[18:19], 4
	v_mov_b32_e32 v23, s19
	v_add_co_u32_e32 v22, vcc, s18, v9
	v_addc_co_u32_e32 v23, vcc, v10, v23, vcc
	s_ashr_i32 s29, s28, 31
	s_lshl_b64 s[18:19], s[28:29], 7
	v_add_u32_e32 v25, 0x1080, v24
	v_mov_b32_e32 v26, s19
	s_waitcnt vmcnt(0) lgkmcnt(0)
	ds_write2_b64 v24, v[18:19], v[20:21] offset1:1
	flat_load_dwordx4 v[18:21], v[22:23] offset:512
	v_add_co_u32_e32 v22, vcc, s18, v22
	v_addc_co_u32_e32 v23, vcc, v23, v26, vcc
	s_waitcnt vmcnt(0) lgkmcnt(0)
	ds_write2_b64 v25, v[18:19], v[20:21] offset1:1
	flat_load_dwordx4 v[18:21], v[22:23] offset:512
	v_add_u32_e32 v25, 0x2100, v24
	v_add_co_u32_e32 v22, vcc, s18, v22
	v_addc_co_u32_e32 v23, vcc, v23, v26, vcc
	s_mov_b64 s[18:19], 0
	s_waitcnt vmcnt(0) lgkmcnt(0)
	ds_write2_b64 v25, v[18:19], v[20:21] offset1:1
	flat_load_dwordx4 v[18:21], v[22:23] offset:512
	v_add_u32_e32 v22, 0x3180, v24
	s_waitcnt vmcnt(0) lgkmcnt(0)
	ds_write2_b64 v22, v[18:19], v[20:21] offset1:1
.LBB195_43:
	s_andn2_b64 vcc, exec, s[18:19]
	s_cbranch_vccnz .LBB195_61
; %bb.44:
	v_sub_co_u32_e32 v9, vcc, v9, v12
	s_ashr_i32 s25, s24, 31
	v_subbrev_co_u32_e32 v10, vcc, 0, v10, vcc
	s_lshl_b64 s[38:39], s[24:25], 4
	v_mov_b32_e32 v19, s39
	v_add_co_u32_e32 v9, vcc, s38, v9
	v_addc_co_u32_e32 v10, vcc, v10, v19, vcc
	v_or_b32_e32 v18, 32, v1
	v_add_co_u32_e32 v9, vcc, -16, v9
	v_addc_co_u32_e32 v10, vcc, -1, v10, vcc
	v_cmp_gt_i32_e64 s[18:19], s24, v18
	s_sub_i32 s25, s24, 32
	s_movk_i32 s27, 0x210
	v_cndmask_b32_e64 v10, v10, v8, s[18:19]
	v_cndmask_b32_e64 v9, v9, v7, s[18:19]
	v_cmp_le_i32_e32 vcc, s25, v11
	v_mad_u32_u24 v18, v11, s27, v12
	s_and_saveexec_b64 s[40:41], vcc
	s_xor_b64 s[40:41], exec, s[40:41]
; %bb.45:
	v_mov_b32_e32 v19, 0
	v_mov_b32_e32 v20, v19
	;; [unrolled: 1-line block ×4, first 2 shown]
	ds_write_b128 v18, v[19:22]
                                        ; implicit-def: $vgpr18
; %bb.46:
	s_andn2_saveexec_b64 s[40:41], s[40:41]
	s_cbranch_execz .LBB195_48
; %bb.47:
	flat_load_dwordx4 v[19:22], v[9:10]
	s_waitcnt vmcnt(0) lgkmcnt(0)
	ds_write2_b64 v18, v[19:20], v[21:22] offset1:1
.LBB195_48:
	s_or_b64 exec, exec, s[40:41]
	v_add_u32_e32 v19, 8, v11
	v_mul_u32_u24_e32 v18, 0x210, v11
	v_cmp_le_i32_e32 vcc, s25, v19
	s_and_saveexec_b64 s[40:41], vcc
	s_xor_b64 s[40:41], exec, s[40:41]
	s_cbranch_execz .LBB195_50
; %bb.49:
	v_mov_b32_e32 v19, 0
	v_add_u32_e32 v23, v18, v12
	v_mov_b32_e32 v20, v19
	v_mov_b32_e32 v21, v19
	v_mov_b32_e32 v22, v19
	ds_write_b128 v23, v[19:22] offset:4224
.LBB195_50:
	s_andn2_saveexec_b64 s[40:41], s[40:41]
	s_cbranch_execz .LBB195_52
; %bb.51:
	s_lshl_b32 s44, s28, 3
	s_ashr_i32 s45, s44, 31
	s_lshl_b64 s[44:45], s[44:45], 4
	v_mov_b32_e32 v20, s45
	v_add_co_u32_e32 v19, vcc, s44, v9
	v_addc_co_u32_e32 v20, vcc, v10, v20, vcc
	flat_load_dwordx4 v[19:22], v[19:20]
	s_movk_i32 s27, 0x1080
	v_add3_u32 v23, v18, v12, s27
	s_waitcnt vmcnt(0) lgkmcnt(0)
	ds_write2_b64 v23, v[19:20], v[21:22] offset1:1
.LBB195_52:
	s_or_b64 exec, exec, s[40:41]
	v_add_u32_e32 v19, 16, v11
	v_cmp_le_i32_e32 vcc, s25, v19
	s_and_saveexec_b64 s[40:41], vcc
	s_xor_b64 s[40:41], exec, s[40:41]
	s_cbranch_execz .LBB195_54
; %bb.53:
	v_mov_b32_e32 v19, 0
	v_add_u32_e32 v23, v18, v12
	v_mov_b32_e32 v20, v19
	v_mov_b32_e32 v21, v19
	;; [unrolled: 1-line block ×3, first 2 shown]
	ds_write_b128 v23, v[19:22] offset:8448
.LBB195_54:
	s_andn2_saveexec_b64 s[40:41], s[40:41]
	s_cbranch_execz .LBB195_56
; %bb.55:
	s_lshl_b32 s44, s28, 4
	s_ashr_i32 s45, s44, 31
	s_lshl_b64 s[44:45], s[44:45], 4
	v_mov_b32_e32 v20, s45
	v_add_co_u32_e32 v19, vcc, s44, v9
	v_addc_co_u32_e32 v20, vcc, v10, v20, vcc
	flat_load_dwordx4 v[19:22], v[19:20]
	s_movk_i32 s27, 0x2100
	v_add3_u32 v23, v18, v12, s27
	s_waitcnt vmcnt(0) lgkmcnt(0)
	ds_write2_b64 v23, v[19:20], v[21:22] offset1:1
.LBB195_56:
	s_or_b64 exec, exec, s[40:41]
	v_add_u32_e32 v19, 24, v11
	v_cmp_le_i32_e32 vcc, s25, v19
	s_and_saveexec_b64 s[40:41], vcc
	s_xor_b64 s[40:41], exec, s[40:41]
	s_cbranch_execz .LBB195_58
; %bb.57:
	v_add_u32_e32 v22, v18, v12
	v_mov_b32_e32 v18, 0
	v_mov_b32_e32 v19, v18
	;; [unrolled: 1-line block ×4, first 2 shown]
	ds_write_b128 v22, v[18:21] offset:12672
                                        ; implicit-def: $vgpr18
.LBB195_58:
	s_andn2_saveexec_b64 s[40:41], s[40:41]
	s_cbranch_execz .LBB195_60
; %bb.59:
	s_mul_i32 s44, s28, 24
	s_ashr_i32 s45, s44, 31
	s_lshl_b64 s[44:45], s[44:45], 4
	v_mov_b32_e32 v20, s45
	v_add_co_u32_e32 v19, vcc, s44, v9
	v_addc_co_u32_e32 v20, vcc, v10, v20, vcc
	flat_load_dwordx4 v[19:22], v[19:20]
	s_movk_i32 s25, 0x3180
	v_add3_u32 v18, v18, v12, s25
	s_waitcnt vmcnt(0) lgkmcnt(0)
	ds_write2_b64 v18, v[19:20], v[21:22] offset1:1
.LBB195_60:
	s_or_b64 exec, exec, s[40:41]
	v_add_co_u32_e32 v9, vcc, v9, v12
	v_addc_co_u32_e32 v10, vcc, 0, v10, vcc
	v_mov_b32_e32 v18, s39
	v_subrev_co_u32_e32 v9, vcc, s38, v9
	v_subb_co_u32_e32 v10, vcc, v10, v18, vcc
	v_add_co_u32_e32 v9, vcc, 0x210, v9
	v_addc_co_u32_e32 v10, vcc, 0, v10, vcc
	v_cndmask_b32_e64 v8, v10, v8, s[18:19]
	v_cndmask_b32_e64 v7, v9, v7, s[18:19]
.LBB195_61:
	v_add_u32_e32 v15, 0x4700, v15
	v_add_u32_e32 v9, 0x210, v17
	s_waitcnt lgkmcnt(0)
	s_barrier
	s_and_saveexec_b64 s[18:19], s[8:9]
	s_cbranch_execnz .LBB195_70
; %bb.62:
	s_or_b64 exec, exec, s[18:19]
	s_and_saveexec_b64 s[8:9], s[10:11]
	s_cbranch_execnz .LBB195_71
.LBB195_63:
	s_or_b64 exec, exec, s[8:9]
	s_and_saveexec_b64 s[8:9], s[12:13]
	s_cbranch_execnz .LBB195_72
.LBB195_64:
	s_or_b64 exec, exec, s[8:9]
	s_and_saveexec_b64 s[8:9], s[14:15]
	s_cbranch_execz .LBB195_66
.LBB195_65:
	ds_read_b128 v[18:21], v16
	v_lshl_add_u32 v10, v13, 4, v46
	s_waitcnt lgkmcnt(0)
	ds_write_b128 v10, v[18:21] offset:48
.LBB195_66:
	s_or_b64 exec, exec, s[8:9]
	s_waitcnt lgkmcnt(0)
	s_barrier
	ds_read_b128 v[18:21], v15 offset:512
	ds_read_b128 v[22:25], v14
	v_cmp_eq_u32_e64 s[8:9], 1, v11
	s_waitcnt lgkmcnt(0)
	v_mul_f64 v[36:37], v[20:21], v[24:25]
	v_mul_f64 v[43:44], v[18:19], v[24:25]
	ds_read_b128 v[24:27], v17
	ds_read_b128 v[28:31], v15 offset:528
	ds_read_b128 v[32:35], v15 offset:544
	ds_read_b128 v[48:51], v9
	s_waitcnt lgkmcnt(2)
	v_mul_f64 v[9:10], v[30:31], v[26:27]
	v_mul_f64 v[26:27], v[28:29], v[26:27]
	v_fma_f64 v[36:37], v[18:19], v[22:23], -v[36:37]
	v_fma_f64 v[21:22], v[20:21], v[22:23], v[43:44]
	s_waitcnt lgkmcnt(0)
	v_mul_f64 v[43:44], v[34:35], v[50:51]
	v_mul_f64 v[50:51], v[32:33], v[50:51]
	ds_read_b128 v[17:20], v15 offset:560
	ds_read_b128 v[52:55], v16
	v_fma_f64 v[9:10], v[28:29], v[24:25], -v[9:10]
	v_fma_f64 v[23:24], v[30:31], v[24:25], v[26:27]
	s_waitcnt lgkmcnt(0)
	v_add_f64 v[25:26], v[36:37], 0
	v_add_f64 v[21:22], v[21:22], 0
	v_mul_f64 v[27:28], v[19:20], v[54:55]
	v_mul_f64 v[29:30], v[17:18], v[54:55]
	v_fma_f64 v[31:32], v[32:33], v[48:49], -v[43:44]
	v_fma_f64 v[33:34], v[34:35], v[48:49], v[50:51]
	s_barrier
	v_add_f64 v[9:10], v[25:26], v[9:10]
	v_add_f64 v[21:22], v[21:22], v[23:24]
	v_fma_f64 v[16:17], v[17:18], v[52:53], -v[27:28]
	v_fma_f64 v[18:19], v[19:20], v[52:53], v[29:30]
	v_add_f64 v[9:10], v[9:10], v[31:32]
	v_add_f64 v[20:21], v[21:22], v[33:34]
	v_add_f64 v[16:17], v[9:10], v[16:17]
	v_add_f64 v[18:19], v[20:21], v[18:19]
	ds_write_b128 v47, v[16:19]
	s_waitcnt lgkmcnt(0)
	s_barrier
	s_and_saveexec_b64 s[10:11], s[8:9]
	s_cbranch_execz .LBB195_68
; %bb.67:
	ds_read_b128 v[3:6], v46
	ds_read_b128 v[16:19], v46 offset:16
	s_waitcnt lgkmcnt(0)
	v_add_f64 v[9:10], v[16:17], v[3:4]
	v_add_f64 v[20:21], v[18:19], v[5:6]
	ds_read_b128 v[3:6], v46 offset:32
	ds_read_b128 v[16:19], v46 offset:48
	s_waitcnt lgkmcnt(1)
	v_add_f64 v[3:4], v[9:10], v[3:4]
	v_add_f64 v[5:6], v[20:21], v[5:6]
	s_waitcnt lgkmcnt(0)
	v_add_f64 v[9:10], v[3:4], v[16:17]
	v_add_f64 v[20:21], v[5:6], v[18:19]
	ds_read_b128 v[3:6], v46 offset:64
	ds_read_b128 v[16:19], v46 offset:80
	s_waitcnt lgkmcnt(1)
	v_add_f64 v[3:4], v[9:10], v[3:4]
	v_add_f64 v[5:6], v[20:21], v[5:6]
	;; [unrolled: 8-line block ×3, first 2 shown]
	s_waitcnt lgkmcnt(0)
	v_add_f64 v[3:4], v[3:4], v[16:17]
	v_add_f64 v[5:6], v[5:6], v[18:19]
.LBB195_68:
	s_or_b64 exec, exec, s[10:11]
	v_mov_b32_e32 v9, s37
	v_subrev_co_u32_e64 v43, s[10:11], s36, v7
	s_and_b64 vcc, exec, s[16:17]
	v_subb_co_u32_e64 v44, s[10:11], v8, v9, s[10:11]
	s_barrier
	s_cbranch_vccnz .LBB195_73
; %bb.69:
	flat_load_dwordx4 v[7:10], v[43:44]
	s_lshl_b32 s10, s28, 3
	s_ashr_i32 s11, s10, 31
	s_movk_i32 s12, 0x210
	s_lshl_b64 s[10:11], s[10:11], 4
	v_mad_u32_u24 v14, v11, s12, v12
	v_mov_b32_e32 v16, s11
	v_add_co_u32_e32 v20, vcc, s10, v43
	v_addc_co_u32_e32 v21, vcc, v44, v16, vcc
	s_ashr_i32 s29, s28, 31
	s_lshl_b64 s[10:11], s[28:29], 7
	s_waitcnt vmcnt(0) lgkmcnt(0)
	ds_write2_b64 v14, v[7:8], v[9:10] offset1:1
	flat_load_dwordx4 v[16:19], v[20:21]
	v_mov_b32_e32 v7, 0x1080
	v_mad_u32_u24 v8, v11, s12, v7
	v_add_u32_e32 v7, v12, v8
	v_mov_b32_e32 v14, s11
	v_add_co_u32_e32 v9, vcc, s10, v20
	v_addc_co_u32_e32 v10, vcc, v21, v14, vcc
	s_waitcnt vmcnt(0) lgkmcnt(0)
	ds_write2_b64 v7, v[16:17], v[18:19] offset1:1
	flat_load_dwordx4 v[16:19], v[9:10]
	v_mov_b32_e32 v7, 0x2100
	v_mad_u32_u24 v7, v11, s12, v7
	v_add_u32_e32 v20, v12, v7
	v_add_co_u32_e32 v9, vcc, s10, v9
	v_addc_co_u32_e32 v10, vcc, v10, v14, vcc
	v_mul_u32_u24_e32 v14, 0x210, v11
	s_waitcnt vmcnt(0) lgkmcnt(0)
	ds_write2_b64 v20, v[16:17], v[18:19] offset1:1
	flat_load_dwordx4 v[18:21], v[9:10]
	v_mov_b32_e32 v17, 0x3180
	v_mad_u32_u24 v17, v11, s12, v17
	v_add_u32_e32 v10, 8, v11
	v_add_u32_e32 v9, 16, v11
	;; [unrolled: 1-line block ×4, first 2 shown]
	s_waitcnt vmcnt(0) lgkmcnt(0)
	ds_write2_b64 v22, v[18:19], v[20:21] offset1:1
	s_cbranch_execz .LBB195_74
	s_branch .LBB195_91
.LBB195_70:
	ds_read_b128 v[18:21], v14
	v_lshl_add_u32 v10, v13, 4, v46
	s_waitcnt lgkmcnt(0)
	ds_write_b128 v10, v[18:21]
	s_or_b64 exec, exec, s[18:19]
	s_and_saveexec_b64 s[8:9], s[10:11]
	s_cbranch_execz .LBB195_63
.LBB195_71:
	ds_read_b128 v[18:21], v17
	v_lshl_add_u32 v10, v13, 4, v46
	s_waitcnt lgkmcnt(0)
	ds_write_b128 v10, v[18:21] offset:16
	s_or_b64 exec, exec, s[8:9]
	s_and_saveexec_b64 s[8:9], s[12:13]
	s_cbranch_execz .LBB195_64
.LBB195_72:
	ds_read_b128 v[18:21], v9
	v_lshl_add_u32 v10, v13, 4, v46
	s_waitcnt lgkmcnt(0)
	ds_write_b128 v10, v[18:21] offset:32
	s_or_b64 exec, exec, s[8:9]
	s_and_saveexec_b64 s[8:9], s[14:15]
	s_cbranch_execnz .LBB195_65
	s_branch .LBB195_66
.LBB195_73:
                                        ; implicit-def: $vgpr14
                                        ; implicit-def: $vgpr10
                                        ; implicit-def: $vgpr8
                                        ; implicit-def: $vgpr9
                                        ; implicit-def: $vgpr7
                                        ; implicit-def: $vgpr16
                                        ; implicit-def: $vgpr17
.LBB195_74:
	v_or_b32_e32 v1, 32, v1
	v_lshlrev_b32_e32 v7, 4, v1
	v_sub_co_u32_e32 v7, vcc, v43, v7
	s_ashr_i32 s25, s24, 31
	v_subbrev_co_u32_e32 v8, vcc, 0, v44, vcc
	s_lshl_b64 s[12:13], s[24:25], 4
	v_mov_b32_e32 v9, s13
	v_add_co_u32_e32 v7, vcc, s12, v7
	v_addc_co_u32_e32 v8, vcc, v8, v9, vcc
	v_add_co_u32_e32 v7, vcc, -16, v7
	v_addc_co_u32_e32 v8, vcc, -1, v8, vcc
	v_cmp_gt_i32_e64 s[10:11], s24, v1
	s_movk_i32 s14, 0x210
	v_cndmask_b32_e64 v8, v8, v44, s[10:11]
	v_cndmask_b32_e64 v7, v7, v43, s[10:11]
	v_cmp_le_i32_e32 vcc, s24, v11
	v_mad_u32_u24 v1, v11, s14, v12
	s_and_saveexec_b64 s[14:15], vcc
	s_xor_b64 s[14:15], exec, s[14:15]
; %bb.75:
	v_mov_b32_e32 v16, 0
	v_mov_b32_e32 v17, v16
	;; [unrolled: 1-line block ×4, first 2 shown]
	ds_write_b128 v1, v[16:19]
                                        ; implicit-def: $vgpr1
; %bb.76:
	s_andn2_saveexec_b64 s[14:15], s[14:15]
	s_cbranch_execz .LBB195_78
; %bb.77:
	flat_load_dwordx4 v[16:19], v[7:8]
	s_waitcnt vmcnt(0) lgkmcnt(0)
	ds_write2_b64 v1, v[16:17], v[18:19] offset1:1
.LBB195_78:
	s_or_b64 exec, exec, s[14:15]
	v_add_u32_e32 v10, 8, v11
	v_mul_u32_u24_e32 v14, 0x210, v11
	v_cmp_le_i32_e32 vcc, s24, v10
	s_and_saveexec_b64 s[14:15], vcc
	s_xor_b64 s[14:15], exec, s[14:15]
	s_cbranch_execz .LBB195_80
; %bb.79:
	v_mov_b32_e32 v16, 0
	v_add_u32_e32 v1, v14, v12
	v_mov_b32_e32 v17, v16
	v_mov_b32_e32 v18, v16
	;; [unrolled: 1-line block ×3, first 2 shown]
	ds_write_b128 v1, v[16:19] offset:4224
.LBB195_80:
	s_andn2_saveexec_b64 s[14:15], s[14:15]
	s_cbranch_execz .LBB195_82
; %bb.81:
	s_lshl_b32 s16, s28, 3
	s_ashr_i32 s17, s16, 31
	s_lshl_b64 s[16:17], s[16:17], 4
	v_mov_b32_e32 v1, s17
	v_add_co_u32_e32 v16, vcc, s16, v7
	v_addc_co_u32_e32 v17, vcc, v8, v1, vcc
	flat_load_dwordx4 v[16:19], v[16:17]
	s_movk_i32 s16, 0x1080
	v_add3_u32 v1, v14, v12, s16
	s_waitcnt vmcnt(0) lgkmcnt(0)
	ds_write2_b64 v1, v[16:17], v[18:19] offset1:1
.LBB195_82:
	s_or_b64 exec, exec, s[14:15]
	v_add_u32_e32 v9, 16, v11
	v_cmp_le_i32_e32 vcc, s24, v9
	s_and_saveexec_b64 s[14:15], vcc
	s_xor_b64 s[14:15], exec, s[14:15]
	s_cbranch_execz .LBB195_84
; %bb.83:
	v_mov_b32_e32 v16, 0
	v_add_u32_e32 v1, v14, v12
	v_mov_b32_e32 v17, v16
	v_mov_b32_e32 v18, v16
	;; [unrolled: 1-line block ×3, first 2 shown]
	ds_write_b128 v1, v[16:19] offset:8448
.LBB195_84:
	s_andn2_saveexec_b64 s[14:15], s[14:15]
	s_cbranch_execz .LBB195_86
; %bb.85:
	s_lshl_b32 s16, s28, 4
	s_ashr_i32 s17, s16, 31
	s_lshl_b64 s[16:17], s[16:17], 4
	v_mov_b32_e32 v1, s17
	v_add_co_u32_e32 v16, vcc, s16, v7
	v_addc_co_u32_e32 v17, vcc, v8, v1, vcc
	flat_load_dwordx4 v[16:19], v[16:17]
	s_movk_i32 s16, 0x2100
	v_add3_u32 v1, v14, v12, s16
	s_waitcnt vmcnt(0) lgkmcnt(0)
	ds_write2_b64 v1, v[16:17], v[18:19] offset1:1
.LBB195_86:
	s_or_b64 exec, exec, s[14:15]
	v_add_u32_e32 v16, 24, v11
	v_cmp_le_i32_e32 vcc, s24, v16
                                        ; implicit-def: $vgpr17
	s_and_saveexec_b64 s[14:15], vcc
	s_xor_b64 s[14:15], exec, s[14:15]
	s_cbranch_execz .LBB195_88
; %bb.87:
	v_add_u32_e32 v17, 0x3180, v14
	v_mov_b32_e32 v18, 0
	v_add_u32_e32 v1, v12, v17
	v_mov_b32_e32 v19, v18
	v_mov_b32_e32 v20, v18
	;; [unrolled: 1-line block ×3, first 2 shown]
	ds_write_b128 v1, v[18:21]
.LBB195_88:
	s_andn2_saveexec_b64 s[14:15], s[14:15]
	s_cbranch_execz .LBB195_90
; %bb.89:
	s_mul_i32 s16, s28, 24
	s_ashr_i32 s17, s16, 31
	s_lshl_b64 s[16:17], s[16:17], 4
	v_mov_b32_e32 v1, s17
	v_add_co_u32_e32 v17, vcc, s16, v7
	v_addc_co_u32_e32 v18, vcc, v8, v1, vcc
	flat_load_dwordx4 v[18:21], v[17:18]
	v_add_u32_e32 v17, 0x3180, v14
	v_add_u32_e32 v1, v12, v17
	s_waitcnt vmcnt(0) lgkmcnt(0)
	ds_write2_b64 v1, v[18:19], v[20:21] offset1:1
.LBB195_90:
	s_or_b64 exec, exec, s[14:15]
	v_add_co_u32_e32 v1, vcc, v7, v12
	v_addc_co_u32_e32 v7, vcc, 0, v8, vcc
	v_mov_b32_e32 v8, s13
	v_subrev_co_u32_e32 v1, vcc, s12, v1
	v_subb_co_u32_e32 v7, vcc, v7, v8, vcc
	v_add_co_u32_e32 v1, vcc, 0x210, v1
	v_addc_co_u32_e32 v7, vcc, 0, v7, vcc
	v_cndmask_b32_e64 v44, v7, v44, s[10:11]
	v_cndmask_b32_e64 v43, v1, v43, s[10:11]
	v_add_u32_e32 v8, 0x1080, v14
	v_add_u32_e32 v7, 0x2100, v14
.LBB195_91:
	v_lshlrev_b32_e32 v11, 4, v11
	s_waitcnt lgkmcnt(0)
	s_barrier
	v_add_u32_e32 v1, v12, v14
	ds_read_b128 v[18:21], v11 offset:18176
	ds_read_b128 v[22:25], v1
	v_add_u32_e32 v1, v12, v8
	v_lshlrev_b32_e32 v8, 4, v10
	ds_read_b128 v[26:29], v8 offset:18176
	ds_read_b128 v[30:33], v1
	v_add_u32_e32 v1, v12, v7
	s_waitcnt lgkmcnt(2)
	v_mul_f64 v[34:35], v[20:21], v[24:25]
	v_mul_f64 v[24:25], v[18:19], v[24:25]
	v_lshlrev_b32_e32 v7, 4, v9
	s_waitcnt lgkmcnt(0)
	v_mul_f64 v[48:49], v[28:29], v[32:33]
	v_mul_f64 v[32:33], v[26:27], v[32:33]
	v_lshlrev_b32_e32 v11, 4, v16
	v_fma_f64 v[18:19], v[18:19], v[22:23], -v[34:35]
	v_fma_f64 v[24:25], v[20:21], v[22:23], v[24:25]
	ds_read_b128 v[7:10], v7 offset:18176
	ds_read_b128 v[34:37], v1
	v_fma_f64 v[26:27], v[26:27], v[30:31], -v[48:49]
	v_add_u32_e32 v1, v12, v17
	v_fma_f64 v[28:29], v[28:29], v[30:31], v[32:33]
	s_waitcnt lgkmcnt(0)
	v_mul_f64 v[50:51], v[9:10], v[36:37]
	v_add_f64 v[48:49], v[18:19], 0
	ds_read_b128 v[16:19], v11 offset:18176
	ds_read2_b64 v[20:23], v1 offset1:1
	v_mul_f64 v[11:12], v[7:8], v[36:37]
	v_add_f64 v[24:25], v[24:25], 0
	v_lshl_add_u32 v1, v13, 4, v46
	s_waitcnt lgkmcnt(0)
	v_mul_f64 v[30:31], v[18:19], v[22:23]
	v_fma_f64 v[7:8], v[7:8], v[34:35], -v[50:51]
	v_add_f64 v[26:27], v[48:49], v[26:27]
	v_fma_f64 v[9:10], v[9:10], v[34:35], v[11:12]
	v_mul_f64 v[11:12], v[16:17], v[22:23]
	v_add_f64 v[22:23], v[24:25], v[28:29]
	v_fma_f64 v[16:17], v[16:17], v[20:21], -v[30:31]
	v_add_f64 v[27:28], v[26:27], v[7:8]
	v_fma_f64 v[18:19], v[18:19], v[20:21], v[11:12]
	v_add_f64 v[20:21], v[22:23], v[9:10]
	ds_read_b128 v[31:34], v1
	ds_read_b128 v[23:26], v1 offset:16
	ds_read_b128 v[11:14], v1 offset:32
	ds_read_b128 v[7:10], v1 offset:48
	v_add_f64 v[48:49], v[27:28], v[16:17]
	v_add_f64 v[50:51], v[20:21], v[18:19]
	ds_read_b128 v[35:38], v15 offset:512
	ds_read_b128 v[27:30], v15 offset:528
	;; [unrolled: 1-line block ×4, first 2 shown]
	s_waitcnt lgkmcnt(0)
	s_barrier
	ds_write_b128 v47, v[48:51]
	s_waitcnt lgkmcnt(0)
	s_barrier
	s_and_saveexec_b64 s[10:11], s[8:9]
	s_cbranch_execz .LBB195_93
; %bb.92:
	ds_read_b128 v[48:51], v46
	ds_read_b128 v[52:55], v46 offset:16
	s_waitcnt lgkmcnt(1)
	v_add_f64 v[3:4], v[3:4], v[48:49]
	v_add_f64 v[5:6], v[5:6], v[50:51]
	s_waitcnt lgkmcnt(0)
	v_add_f64 v[52:53], v[3:4], v[52:53]
	v_add_f64 v[54:55], v[5:6], v[54:55]
	ds_read_b128 v[3:6], v46 offset:32
	ds_read_b128 v[48:51], v46 offset:48
	s_waitcnt lgkmcnt(1)
	v_add_f64 v[3:4], v[52:53], v[3:4]
	v_add_f64 v[5:6], v[54:55], v[5:6]
	s_waitcnt lgkmcnt(0)
	v_add_f64 v[52:53], v[3:4], v[48:49]
	v_add_f64 v[54:55], v[5:6], v[50:51]
	ds_read_b128 v[3:6], v46 offset:64
	;; [unrolled: 8-line block ×3, first 2 shown]
	ds_read_b128 v[48:51], v46 offset:112
	s_waitcnt lgkmcnt(1)
	v_add_f64 v[3:4], v[52:53], v[3:4]
	v_add_f64 v[5:6], v[54:55], v[5:6]
	s_waitcnt lgkmcnt(0)
	v_add_f64 v[3:4], v[3:4], v[48:49]
	v_add_f64 v[5:6], v[5:6], v[50:51]
.LBB195_93:
	s_or_b64 exec, exec, s[10:11]
	v_mul_f64 v[48:49], v[33:34], v[37:38]
	v_mul_f64 v[37:38], v[31:32], v[37:38]
	;; [unrolled: 1-line block ×4, first 2 shown]
	s_barrier
	v_fma_f64 v[31:32], v[31:32], v[35:36], -v[48:49]
	v_fma_f64 v[33:34], v[33:34], v[35:36], v[37:38]
	v_mul_f64 v[35:36], v[13:14], v[21:22]
	v_mul_f64 v[21:22], v[11:12], v[21:22]
	v_fma_f64 v[23:24], v[23:24], v[27:28], -v[50:51]
	v_fma_f64 v[25:26], v[25:26], v[27:28], v[29:30]
	v_add_f64 v[27:28], v[31:32], 0
	v_add_f64 v[29:30], v[33:34], 0
	v_mul_f64 v[31:32], v[9:10], v[17:18]
	v_mul_f64 v[17:18], v[7:8], v[17:18]
	v_fma_f64 v[11:12], v[11:12], v[19:20], -v[35:36]
	v_fma_f64 v[13:14], v[13:14], v[19:20], v[21:22]
	v_add_f64 v[19:20], v[27:28], v[23:24]
	v_add_f64 v[21:22], v[29:30], v[25:26]
	v_fma_f64 v[7:8], v[7:8], v[15:16], -v[31:32]
	v_fma_f64 v[9:10], v[9:10], v[15:16], v[17:18]
	v_add_f64 v[11:12], v[19:20], v[11:12]
	v_add_f64 v[13:14], v[21:22], v[13:14]
	;; [unrolled: 1-line block ×4, first 2 shown]
	ds_write_b128 v47, v[7:10]
	s_waitcnt lgkmcnt(0)
	s_barrier
	s_and_saveexec_b64 s[8:9], s[20:21]
	s_cbranch_execz .LBB195_95
; %bb.94:
	ds_read_b128 v[7:10], v46
	ds_read_b128 v[11:14], v46 offset:16
	s_waitcnt lgkmcnt(1)
	v_add_f64 v[3:4], v[3:4], v[7:8]
	v_add_f64 v[5:6], v[5:6], v[9:10]
	s_waitcnt lgkmcnt(0)
	v_add_f64 v[11:12], v[3:4], v[11:12]
	v_add_f64 v[13:14], v[5:6], v[13:14]
	ds_read_b128 v[3:6], v46 offset:32
	ds_read_b128 v[7:10], v46 offset:48
	s_waitcnt lgkmcnt(1)
	v_add_f64 v[3:4], v[11:12], v[3:4]
	v_add_f64 v[5:6], v[13:14], v[5:6]
	s_waitcnt lgkmcnt(0)
	v_add_f64 v[11:12], v[3:4], v[7:8]
	v_add_f64 v[13:14], v[5:6], v[9:10]
	ds_read_b128 v[3:6], v46 offset:64
	;; [unrolled: 8-line block ×3, first 2 shown]
	ds_read_b128 v[7:10], v46 offset:112
	s_waitcnt lgkmcnt(1)
	v_add_f64 v[3:4], v[11:12], v[3:4]
	v_add_f64 v[5:6], v[13:14], v[5:6]
	s_waitcnt lgkmcnt(0)
	v_add_f64 v[3:4], v[3:4], v[7:8]
	v_add_f64 v[5:6], v[5:6], v[9:10]
.LBB195_95:
	s_or_b64 exec, exec, s[8:9]
	s_load_dwordx2 s[4:5], s[4:5], 0x78
	s_mul_hi_u32 s8, s23, s22
	s_mul_i32 s42, s42, s22
	s_add_i32 s8, s8, s42
	s_mul_i32 s10, s23, s22
	s_mul_i32 s8, s8, s33
	s_mul_hi_u32 s9, s10, s33
	s_add_i32 s9, s9, s8
	s_mul_i32 s8, s10, s33
	s_lshl_b64 s[8:9], s[8:9], 4
	s_waitcnt lgkmcnt(0)
	s_add_u32 s8, s4, s8
	s_mul_i32 s4, s23, s6
	s_addc_u32 s9, s5, s9
	s_ashr_i32 s5, s4, 31
	s_lshl_b64 s[4:5], s[4:5], 4
	s_add_u32 s16, s8, s4
	v_cmp_le_i32_e32 vcc, s24, v0
	s_addc_u32 s17, s9, s5
	s_and_b64 s[4:5], s[34:35], vcc
	s_cmp_lt_i32 s6, 1
	v_lshlrev_b32_e32 v146, 4, v0
	s_barrier
	s_cbranch_scc1 .LBB195_102
; %bb.96:
	s_mul_i32 s8, s7, s26
	s_ashr_i32 s9, s8, 31
	s_lshl_b64 s[8:9], s[8:9], 4
	v_mov_b32_e32 v1, s9
	v_subrev_co_u32_e32 v147, vcc, s8, v39
	v_subb_co_u32_e32 v148, vcc, v40, v1, vcc
	v_mov_b32_e32 v1, s31
	v_subrev_co_u32_e32 v7, vcc, s30, v43
	v_mul_lo_u32 v8, v2, s28
	v_subb_co_u32_e32 v1, vcc, v44, v1, vcc
	v_add_co_u32_e32 v7, vcc, 0xfffffe00, v7
	v_addc_co_u32_e32 v1, vcc, -1, v1, vcc
	v_sub_co_u32_e32 v11, vcc, v7, v41
	v_lshl_add_u32 v7, v8, 2, v0
	v_ashrrev_i32_e32 v8, 31, v7
	v_lshlrev_b64 v[7:8], 4, v[7:8]
	v_subb_co_u32_e32 v1, vcc, v1, v42, vcc
	v_add_co_u32_e32 v7, vcc, v11, v7
	v_addc_co_u32_e32 v8, vcc, v1, v8, vcc
	v_sub_co_u32_e32 v11, vcc, v7, v146
	s_ashr_i32 s25, s24, 31
	v_subbrev_co_u32_e32 v12, vcc, 0, v8, vcc
	s_lshl_b64 s[8:9], s[24:25], 4
	v_mov_b32_e32 v13, s9
	v_add_co_u32_e32 v11, vcc, s8, v11
	v_addc_co_u32_e32 v12, vcc, v12, v13, vcc
	v_add_co_u32_e32 v11, vcc, -16, v11
	v_addc_co_u32_e32 v12, vcc, -1, v12, vcc
	v_lshrrev_b32_e32 v9, 4, v45
	v_cndmask_b32_e64 v12, v8, v12, s[4:5]
	v_cndmask_b32_e64 v11, v7, v11, s[4:5]
	v_mov_b32_e32 v7, 0x4300
	s_movk_i32 s8, 0x10c0
	v_and_b32_e32 v8, 48, v0
	v_and_b32_e32 v10, 15, v0
	v_lshl_add_u32 v150, v2, 6, v7
	v_mad_u32_u24 v152, v2, s8, v146
	v_lshlrev_b32_e32 v7, 6, v9
	s_movk_i32 s8, 0x430
	v_lshlrev_b32_e32 v8, 4, v8
	s_ashr_i32 s29, s28, 31
	v_mad_u32_u24 v153, v10, s8, v7
	v_mul_i32_i24_e32 v7, 0xffffffd0, v9
	v_mad_u32_u24 v154, v10, s8, v8
	v_or_b32_e32 v8, 0xf0, v146
	s_lshl_b64 s[10:11], s[28:29], 4
	s_mul_hi_i32 s18, s28, 0xd0
	v_mov_b32_e32 v1, 0
	s_lshl_b32 s7, s7, 6
	v_add_u32_e32 v149, 0x4300, v146
	v_add_u32_e32 v151, 0x4700, v146
	v_cmp_gt_u32_e32 vcc, 64, v45
	v_mad_u32_u24 v155, v10, s8, v8
	s_mul_i32 s19, s28, 0xd0
	s_mov_b32 s12, 0
	v_mov_b32_e32 v156, s11
	v_mov_b32_e32 v157, s18
	v_add_u32_e32 v158, v153, v7
	s_branch .LBB195_98
.LBB195_97:                             ;   in Loop: Header=BB195_98 Depth=1
	s_or_b64 exec, exec, s[14:15]
	v_mul_f64 v[87:88], v[9:10], v[37:38]
	v_mul_f64 v[37:38], v[7:8], v[37:38]
	;; [unrolled: 1-line block ×4, first 2 shown]
	s_add_i32 s6, s6, -1
	s_add_i32 s12, s12, s7
	v_add_u32_e32 v0, 64, v0
	s_cmp_eq_u32 s6, 0
	v_fma_f64 v[7:8], v[7:8], v[35:36], -v[87:88]
	v_fma_f64 v[9:10], v[9:10], v[35:36], v[37:38]
	v_mul_f64 v[35:36], v[17:18], v[29:30]
	v_mul_f64 v[29:30], v[15:16], v[29:30]
	v_fma_f64 v[19:20], v[19:20], v[31:32], -v[89:90]
	v_fma_f64 v[21:22], v[21:22], v[31:32], v[33:34]
	s_waitcnt vmcnt(0)
	s_barrier
	v_add_f64 v[3:4], v[3:4], v[7:8]
	v_add_f64 v[5:6], v[5:6], v[9:10]
	v_mul_f64 v[7:8], v[13:14], v[25:26]
	v_mul_f64 v[9:10], v[11:12], v[25:26]
	v_fma_f64 v[15:16], v[15:16], v[27:28], -v[35:36]
	v_fma_f64 v[17:18], v[17:18], v[27:28], v[29:30]
	v_add_f64 v[3:4], v[3:4], v[19:20]
	v_add_f64 v[5:6], v[5:6], v[21:22]
	v_mul_f64 v[19:20], v[49:50], v[85:86]
	v_mul_f64 v[21:22], v[47:48], v[85:86]
	v_fma_f64 v[7:8], v[11:12], v[23:24], -v[7:8]
	v_fma_f64 v[9:10], v[13:14], v[23:24], v[9:10]
	v_mul_f64 v[11:12], v[53:54], v[81:82]
	v_mul_f64 v[13:14], v[51:52], v[81:82]
	v_add_f64 v[3:4], v[3:4], v[15:16]
	v_add_f64 v[5:6], v[5:6], v[17:18]
	v_fma_f64 v[15:16], v[47:48], v[83:84], -v[19:20]
	v_fma_f64 v[17:18], v[49:50], v[83:84], v[21:22]
	v_fma_f64 v[11:12], v[51:52], v[79:80], -v[11:12]
	v_fma_f64 v[13:14], v[53:54], v[79:80], v[13:14]
	v_add_f64 v[3:4], v[3:4], v[7:8]
	v_add_f64 v[5:6], v[5:6], v[9:10]
	v_mul_f64 v[7:8], v[45:46], v[77:78]
	v_mul_f64 v[9:10], v[43:44], v[77:78]
	v_add_f64 v[3:4], v[3:4], v[15:16]
	v_add_f64 v[5:6], v[5:6], v[17:18]
	v_mul_f64 v[15:16], v[41:42], v[73:74]
	v_mul_f64 v[17:18], v[39:40], v[73:74]
	v_fma_f64 v[7:8], v[43:44], v[75:76], -v[7:8]
	v_fma_f64 v[9:10], v[45:46], v[75:76], v[9:10]
	v_add_f64 v[3:4], v[3:4], v[11:12]
	v_add_f64 v[5:6], v[5:6], v[13:14]
	v_mul_f64 v[11:12], v[65:66], v[125:126]
	v_mul_f64 v[13:14], v[63:64], v[125:126]
	v_fma_f64 v[15:16], v[39:40], v[71:72], -v[15:16]
	v_fma_f64 v[17:18], v[41:42], v[71:72], v[17:18]
	;; [unrolled: 6-line block ×9, first 2 shown]
	v_add_f64 v[3:4], v[3:4], v[15:16]
	v_add_f64 v[5:6], v[5:6], v[17:18]
	v_fma_f64 v[7:8], v[107:108], v[127:128], -v[7:8]
	v_fma_f64 v[9:10], v[109:110], v[127:128], v[9:10]
	v_add_f64 v[3:4], v[3:4], v[11:12]
	v_add_f64 v[5:6], v[5:6], v[13:14]
	v_add_co_u32_e64 v11, s[8:9], s19, v144
	v_add_f64 v[3:4], v[3:4], v[7:8]
	v_add_f64 v[5:6], v[5:6], v[9:10]
	v_mov_b32_e32 v7, s18
	v_addc_co_u32_e64 v12, s[8:9], v145, v7, s[8:9]
	s_cbranch_scc1 .LBB195_102
.LBB195_98:                             ; =>This Inner Loop Header: Depth=1
	s_and_saveexec_b64 s[14:15], s[2:3]
	s_cbranch_execz .LBB195_100
; %bb.99:                               ;   in Loop: Header=BB195_98 Depth=1
	s_ashr_i32 s13, s12, 31
	s_lshl_b64 s[8:9], s[12:13], 4
	v_mov_b32_e32 v8, s9
	v_add_co_u32_e64 v7, s[8:9], s8, v147
	v_addc_co_u32_e64 v8, s[8:9], v148, v8, s[8:9]
	flat_load_dwordx4 v[7:10], v[7:8]
	s_waitcnt vmcnt(0) lgkmcnt(0)
	ds_write2_b64 v149, v[7:8], v[9:10] offset1:1
.LBB195_100:                            ;   in Loop: Header=BB195_98 Depth=1
	s_or_b64 exec, exec, s[14:15]
	s_waitcnt lgkmcnt(0)
	s_barrier
	flat_load_dwordx4 v[7:10], v[11:12]
	v_add_co_u32_e64 v11, s[8:9], s10, v11
	v_addc_co_u32_e64 v12, s[8:9], v12, v156, s[8:9]
	v_add_co_u32_e64 v13, s[8:9], s10, v11
	v_addc_co_u32_e64 v14, s[8:9], v12, v156, s[8:9]
	v_add_co_u32_e64 v43, s[8:9], s10, v13
	flat_load_dwordx4 v[19:22], v[11:12]
	flat_load_dwordx4 v[15:18], v[13:14]
	v_addc_co_u32_e64 v44, s[8:9], v14, v156, s[8:9]
	flat_load_dwordx4 v[11:14], v[43:44]
	ds_read_b128 v[39:42], v151
	ds_read_b128 v[35:38], v150
	ds_read_b128 v[31:34], v150 offset:16
	ds_read_b128 v[27:30], v150 offset:32
	;; [unrolled: 1-line block ×3, first 2 shown]
	v_add_co_u32_e64 v57, s[8:9], s19, v43
	v_addc_co_u32_e64 v58, s[8:9], v44, v157, s[8:9]
	v_add_co_u32_e64 v59, s[8:9], s10, v57
	v_addc_co_u32_e64 v60, s[8:9], v58, v156, s[8:9]
	s_waitcnt vmcnt(0) lgkmcnt(0)
	v_mul_f64 v[43:44], v[9:10], v[41:42]
	v_mul_f64 v[45:46], v[7:8], v[41:42]
	v_mul_f64 v[47:48], v[21:22], v[41:42]
	v_mul_f64 v[49:50], v[19:20], v[41:42]
	v_mul_f64 v[51:52], v[17:18], v[41:42]
	v_mul_f64 v[53:54], v[15:16], v[41:42]
	v_mul_f64 v[55:56], v[13:14], v[41:42]
	v_mul_f64 v[61:62], v[11:12], v[41:42]
	v_fma_f64 v[41:42], v[7:8], v[39:40], -v[43:44]
	v_fma_f64 v[43:44], v[9:10], v[39:40], v[45:46]
	v_fma_f64 v[45:46], v[19:20], v[39:40], -v[47:48]
	v_fma_f64 v[47:48], v[21:22], v[39:40], v[49:50]
	;; [unrolled: 2-line block ×4, first 2 shown]
	v_add_co_u32_e64 v39, s[8:9], s10, v59
	v_addc_co_u32_e64 v40, s[8:9], v60, v156, s[8:9]
	ds_write_b128 v152, v[41:44]
	ds_write_b128 v152, v[45:48] offset:1072
	ds_write_b128 v152, v[49:52] offset:2144
	;; [unrolled: 1-line block ×3, first 2 shown]
	v_add_co_u32_e64 v55, s[8:9], s10, v39
	s_waitcnt lgkmcnt(0)
	s_barrier
	ds_read_b128 v[127:130], v153
	ds_read_b128 v[131:134], v153 offset:16
	ds_read_b128 v[91:94], v153 offset:32
	;; [unrolled: 1-line block ×3, first 2 shown]
	s_waitcnt lgkmcnt(0)
	s_barrier
	flat_load_dwordx4 v[47:50], v[57:58]
	flat_load_dwordx4 v[51:54], v[59:60]
	;; [unrolled: 1-line block ×3, first 2 shown]
	v_addc_co_u32_e64 v56, s[8:9], v40, v156, s[8:9]
	flat_load_dwordx4 v[39:42], v[55:56]
	v_add_co_u32_e64 v69, s[8:9], s19, v55
	v_addc_co_u32_e64 v70, s[8:9], v56, v157, s[8:9]
	ds_read_b128 v[55:58], v151
	v_add_co_u32_e64 v99, s[8:9], s10, v69
	v_addc_co_u32_e64 v100, s[8:9], v70, v156, s[8:9]
	v_add_co_u32_e64 v101, s[8:9], s10, v99
	v_addc_co_u32_e64 v102, s[8:9], v100, v156, s[8:9]
	s_waitcnt vmcnt(0) lgkmcnt(0)
	v_mul_f64 v[59:60], v[49:50], v[57:58]
	v_mul_f64 v[61:62], v[47:48], v[57:58]
	;; [unrolled: 1-line block ×8, first 2 shown]
	v_fma_f64 v[57:58], v[47:48], v[55:56], -v[59:60]
	v_fma_f64 v[59:60], v[49:50], v[55:56], v[61:62]
	v_fma_f64 v[61:62], v[51:52], v[55:56], -v[63:64]
	v_fma_f64 v[63:64], v[53:54], v[55:56], v[65:66]
	;; [unrolled: 2-line block ×4, first 2 shown]
	ds_read_b128 v[83:86], v150 offset:256
	ds_read_b128 v[79:82], v150 offset:272
	;; [unrolled: 1-line block ×4, first 2 shown]
	ds_write_b128 v152, v[57:60]
	ds_write_b128 v152, v[61:64] offset:1072
	ds_write_b128 v152, v[65:68] offset:2144
	;; [unrolled: 1-line block ×3, first 2 shown]
	v_add_co_u32_e64 v95, s[8:9], s10, v101
	s_waitcnt lgkmcnt(0)
	s_barrier
	ds_read_b128 v[159:162], v153
	ds_read_b128 v[163:166], v153 offset:16
	ds_read_b128 v[167:170], v153 offset:32
	;; [unrolled: 1-line block ×3, first 2 shown]
	s_waitcnt lgkmcnt(0)
	s_barrier
	flat_load_dwordx4 v[63:66], v[69:70]
	flat_load_dwordx4 v[59:62], v[99:100]
	flat_load_dwordx4 v[55:58], v[101:102]
	v_addc_co_u32_e64 v96, s[8:9], v102, v156, s[8:9]
	flat_load_dwordx4 v[67:70], v[95:96]
	v_add_co_u32_e64 v109, s[8:9], s19, v95
	v_addc_co_u32_e64 v110, s[8:9], v96, v157, s[8:9]
	ds_read_b128 v[95:98], v151
	v_add_co_u32_e64 v139, s[8:9], s10, v109
	v_addc_co_u32_e64 v140, s[8:9], v110, v156, s[8:9]
	v_add_co_u32_e64 v141, s[8:9], s10, v139
	v_addc_co_u32_e64 v142, s[8:9], v140, v156, s[8:9]
	;; [unrolled: 2-line block ×3, first 2 shown]
	v_add_f64 v[211:212], v[159:160], 0
	v_add_f64 v[163:164], v[211:212], v[163:164]
	;; [unrolled: 1-line block ×3, first 2 shown]
	s_waitcnt vmcnt(0) lgkmcnt(0)
	v_mul_f64 v[99:100], v[65:66], v[97:98]
	v_mul_f64 v[101:102], v[63:64], v[97:98]
	;; [unrolled: 1-line block ×8, first 2 shown]
	v_fma_f64 v[97:98], v[63:64], v[95:96], -v[99:100]
	v_fma_f64 v[99:100], v[65:66], v[95:96], v[101:102]
	v_fma_f64 v[101:102], v[59:60], v[95:96], -v[103:104]
	v_fma_f64 v[103:104], v[61:62], v[95:96], v[105:106]
	;; [unrolled: 2-line block ×4, first 2 shown]
	ds_read_b128 v[123:126], v150 offset:512
	ds_read_b128 v[119:122], v150 offset:528
	;; [unrolled: 1-line block ×4, first 2 shown]
	ds_write_b128 v152, v[97:100]
	ds_write_b128 v152, v[101:104] offset:1072
	ds_write_b128 v152, v[105:108] offset:2144
	;; [unrolled: 1-line block ×3, first 2 shown]
	s_waitcnt lgkmcnt(0)
	s_barrier
	ds_read_b128 v[175:178], v153
	ds_read_b128 v[179:182], v153 offset:16
	ds_read_b128 v[183:186], v153 offset:32
	;; [unrolled: 1-line block ×3, first 2 shown]
	s_waitcnt lgkmcnt(0)
	s_barrier
	flat_load_dwordx4 v[99:102], v[109:110]
	flat_load_dwordx4 v[95:98], v[139:140]
	flat_load_dwordx4 v[103:106], v[141:142]
	v_add_f64 v[135:136], v[127:128], 0
	flat_load_dwordx4 v[107:110], v[144:145]
	v_add_f64 v[137:138], v[129:130], 0
	ds_read_b128 v[127:130], v151
	v_add_f64 v[175:176], v[175:176], 0
	v_add_f64 v[177:178], v[177:178], 0
	v_add_f64 v[207:208], v[135:136], v[131:132]
	v_add_f64 v[209:210], v[137:138], v[133:134]
	v_add_f64 v[175:176], v[175:176], v[179:180]
	v_add_f64 v[177:178], v[177:178], v[181:182]
	v_add_f64 v[179:180], v[209:210], v[93:94]
	v_add_f64 v[167:168], v[175:176], v[183:184]
	v_add_f64 v[89:90], v[179:180], v[89:90]
	s_waitcnt vmcnt(0) lgkmcnt(0)
	v_mul_f64 v[131:132], v[101:102], v[129:130]
	v_mul_f64 v[133:134], v[99:100], v[129:130]
	;; [unrolled: 1-line block ×8, first 2 shown]
	v_fma_f64 v[191:192], v[99:100], v[127:128], -v[131:132]
	v_fma_f64 v[193:194], v[101:102], v[127:128], v[133:134]
	v_fma_f64 v[195:196], v[95:96], v[127:128], -v[135:136]
	v_fma_f64 v[197:198], v[97:98], v[127:128], v[137:138]
	;; [unrolled: 2-line block ×4, first 2 shown]
	ds_read_b128 v[139:142], v150 offset:768
	ds_read_b128 v[135:138], v150 offset:784
	;; [unrolled: 1-line block ×4, first 2 shown]
	ds_write_b128 v152, v[191:194]
	ds_write_b128 v152, v[195:198] offset:1072
	ds_write_b128 v152, v[199:202] offset:2144
	;; [unrolled: 1-line block ×3, first 2 shown]
	s_waitcnt lgkmcnt(0)
	s_barrier
	ds_read_b128 v[191:194], v153
	v_add_f64 v[195:196], v[161:162], 0
	ds_read_b128 v[159:162], v153 offset:16
	v_add_f64 v[197:198], v[207:208], v[91:92]
	ds_read_b128 v[91:94], v153 offset:32
	s_waitcnt lgkmcnt(2)
	v_add_f64 v[191:192], v[191:192], 0
	v_add_f64 v[193:194], v[193:194], 0
	;; [unrolled: 1-line block ×4, first 2 shown]
	s_waitcnt lgkmcnt(1)
	v_add_f64 v[181:182], v[191:192], v[159:160]
	v_add_f64 v[191:192], v[193:194], v[161:162]
	ds_read_b128 v[159:162], v153 offset:48
	s_waitcnt lgkmcnt(0)
	v_add_f64 v[165:166], v[165:166], v[169:170]
	v_add_f64 v[169:170], v[177:178], v[185:186]
	s_barrier
	v_add_f64 v[175:176], v[181:182], v[91:92]
	v_add_f64 v[177:178], v[191:192], v[93:94]
	;; [unrolled: 1-line block ×8, first 2 shown]
	ds_write_b128 v158, v[87:90]
	ds_write_b128 v158, v[91:94] offset:256
	ds_write_b128 v158, v[163:166] offset:512
	ds_write_b128 v158, v[159:162] offset:768
	s_waitcnt lgkmcnt(0)
	s_barrier
	s_and_saveexec_b64 s[14:15], vcc
	s_cbranch_execz .LBB195_97
; %bb.101:                              ;   in Loop: Header=BB195_98 Depth=1
	ds_read_b128 v[87:90], v154
	ds_read_b128 v[91:94], v154 offset:16
	s_waitcnt lgkmcnt(0)
	v_add_f64 v[159:160], v[91:92], v[87:88]
	v_add_f64 v[161:162], v[93:94], v[89:90]
	ds_read_b128 v[87:90], v154 offset:32
	ds_read_b128 v[91:94], v154 offset:48
	s_waitcnt lgkmcnt(1)
	v_add_f64 v[87:88], v[159:160], v[87:88]
	v_add_f64 v[89:90], v[161:162], v[89:90]
	s_waitcnt lgkmcnt(0)
	v_add_f64 v[159:160], v[87:88], v[91:92]
	v_add_f64 v[161:162], v[89:90], v[93:94]
	ds_read_b128 v[87:90], v154 offset:64
	ds_read_b128 v[91:94], v154 offset:80
	s_waitcnt lgkmcnt(1)
	v_add_f64 v[87:88], v[159:160], v[87:88]
	v_add_f64 v[89:90], v[161:162], v[89:90]
	;; [unrolled: 8-line block ×6, first 2 shown]
	s_waitcnt lgkmcnt(0)
	v_add_f64 v[159:160], v[87:88], v[91:92]
	v_add_f64 v[161:162], v[89:90], v[93:94]
	ds_read_b128 v[87:90], v154 offset:224
	ds_read_b128 v[91:94], v155
	s_waitcnt lgkmcnt(1)
	v_add_f64 v[87:88], v[159:160], v[87:88]
	v_add_f64 v[89:90], v[161:162], v[89:90]
	s_waitcnt lgkmcnt(0)
	v_add_f64 v[87:88], v[87:88], v[91:92]
	v_add_f64 v[89:90], v[89:90], v[93:94]
	v_lshlrev_b64 v[91:92], 4, v[0:1]
	v_mov_b32_e32 v93, s17
	v_add_co_u32_e64 v91, s[8:9], s16, v91
	v_addc_co_u32_e64 v92, s[8:9], v93, v92, s[8:9]
	global_store_dwordx4 v[91:92], v[87:90], off
	s_branch .LBB195_97
.LBB195_102:
	s_movk_i32 s2, 0x430
	v_mad_u32_u24 v0, v2, s2, v146
	s_nor_b64 s[0:1], s[0:1], s[4:5]
	ds_write_b128 v0, v[3:6]
	s_waitcnt lgkmcnt(0)
	s_barrier
	s_and_saveexec_b64 s[2:3], s[0:1]
	s_cbranch_execz .LBB195_104
; %bb.103:
	ds_read_b128 v[0:3], v146 offset:1072
	ds_read_b128 v[4:7], v146
	v_ashrrev_i32_e32 v144, 31, v143
	s_waitcnt lgkmcnt(0)
	v_add_f64 v[8:9], v[0:1], v[4:5]
	v_add_f64 v[10:11], v[2:3], v[6:7]
	ds_read_b128 v[0:3], v146 offset:2144
	ds_read_b128 v[4:7], v146 offset:3216
	s_waitcnt lgkmcnt(1)
	v_add_f64 v[0:1], v[8:9], v[0:1]
	v_add_f64 v[2:3], v[10:11], v[2:3]
	s_waitcnt lgkmcnt(0)
	v_add_f64 v[0:1], v[0:1], v[4:5]
	v_add_f64 v[2:3], v[2:3], v[6:7]
	v_lshlrev_b64 v[4:5], 4, v[143:144]
	v_mov_b32_e32 v6, s17
	v_add_co_u32_e32 v4, vcc, s16, v4
	v_addc_co_u32_e32 v5, vcc, v6, v5, vcc
	global_store_dwordx4 v[4:5], v[0:3], off
.LBB195_104:
	s_endpgm
	.section	.rodata,"a",@progbits
	.p2align	6, 0x0
	.amdhsa_kernel _ZL26rocblas_hemvn_kernel_lowerILb0ELi64ELi4ELi33ELi32ELi16Ei19rocblas_complex_numIdEPKPKS1_PS1_EviT6_lT7_lT5_lS8_lS9_lS7_lT8_i
		.amdhsa_group_segment_fixed_size 19200
		.amdhsa_private_segment_fixed_size 0
		.amdhsa_kernarg_size 392
		.amdhsa_user_sgpr_count 6
		.amdhsa_user_sgpr_private_segment_buffer 1
		.amdhsa_user_sgpr_dispatch_ptr 0
		.amdhsa_user_sgpr_queue_ptr 0
		.amdhsa_user_sgpr_kernarg_segment_ptr 1
		.amdhsa_user_sgpr_dispatch_id 0
		.amdhsa_user_sgpr_flat_scratch_init 0
		.amdhsa_user_sgpr_private_segment_size 0
		.amdhsa_uses_dynamic_stack 0
		.amdhsa_system_sgpr_private_segment_wavefront_offset 0
		.amdhsa_system_sgpr_workgroup_id_x 1
		.amdhsa_system_sgpr_workgroup_id_y 0
		.amdhsa_system_sgpr_workgroup_id_z 1
		.amdhsa_system_sgpr_workgroup_info 0
		.amdhsa_system_vgpr_workitem_id 1
		.amdhsa_next_free_vgpr 213
		.amdhsa_next_free_sgpr 98
		.amdhsa_reserve_vcc 1
		.amdhsa_reserve_flat_scratch 0
		.amdhsa_float_round_mode_32 0
		.amdhsa_float_round_mode_16_64 0
		.amdhsa_float_denorm_mode_32 3
		.amdhsa_float_denorm_mode_16_64 3
		.amdhsa_dx10_clamp 1
		.amdhsa_ieee_mode 1
		.amdhsa_fp16_overflow 0
		.amdhsa_exception_fp_ieee_invalid_op 0
		.amdhsa_exception_fp_denorm_src 0
		.amdhsa_exception_fp_ieee_div_zero 0
		.amdhsa_exception_fp_ieee_overflow 0
		.amdhsa_exception_fp_ieee_underflow 0
		.amdhsa_exception_fp_ieee_inexact 0
		.amdhsa_exception_int_div_zero 0
	.end_amdhsa_kernel
	.section	.text._ZL26rocblas_hemvn_kernel_lowerILb0ELi64ELi4ELi33ELi32ELi16Ei19rocblas_complex_numIdEPKPKS1_PS1_EviT6_lT7_lT5_lS8_lS9_lS7_lT8_i,"axG",@progbits,_ZL26rocblas_hemvn_kernel_lowerILb0ELi64ELi4ELi33ELi32ELi16Ei19rocblas_complex_numIdEPKPKS1_PS1_EviT6_lT7_lT5_lS8_lS9_lS7_lT8_i,comdat
.Lfunc_end195:
	.size	_ZL26rocblas_hemvn_kernel_lowerILb0ELi64ELi4ELi33ELi32ELi16Ei19rocblas_complex_numIdEPKPKS1_PS1_EviT6_lT7_lT5_lS8_lS9_lS7_lT8_i, .Lfunc_end195-_ZL26rocblas_hemvn_kernel_lowerILb0ELi64ELi4ELi33ELi32ELi16Ei19rocblas_complex_numIdEPKPKS1_PS1_EviT6_lT7_lT5_lS8_lS9_lS7_lT8_i
                                        ; -- End function
	.set _ZL26rocblas_hemvn_kernel_lowerILb0ELi64ELi4ELi33ELi32ELi16Ei19rocblas_complex_numIdEPKPKS1_PS1_EviT6_lT7_lT5_lS8_lS9_lS7_lT8_i.num_vgpr, 213
	.set _ZL26rocblas_hemvn_kernel_lowerILb0ELi64ELi4ELi33ELi32ELi16Ei19rocblas_complex_numIdEPKPKS1_PS1_EviT6_lT7_lT5_lS8_lS9_lS7_lT8_i.num_agpr, 0
	.set _ZL26rocblas_hemvn_kernel_lowerILb0ELi64ELi4ELi33ELi32ELi16Ei19rocblas_complex_numIdEPKPKS1_PS1_EviT6_lT7_lT5_lS8_lS9_lS7_lT8_i.numbered_sgpr, 46
	.set _ZL26rocblas_hemvn_kernel_lowerILb0ELi64ELi4ELi33ELi32ELi16Ei19rocblas_complex_numIdEPKPKS1_PS1_EviT6_lT7_lT5_lS8_lS9_lS7_lT8_i.num_named_barrier, 0
	.set _ZL26rocblas_hemvn_kernel_lowerILb0ELi64ELi4ELi33ELi32ELi16Ei19rocblas_complex_numIdEPKPKS1_PS1_EviT6_lT7_lT5_lS8_lS9_lS7_lT8_i.private_seg_size, 0
	.set _ZL26rocblas_hemvn_kernel_lowerILb0ELi64ELi4ELi33ELi32ELi16Ei19rocblas_complex_numIdEPKPKS1_PS1_EviT6_lT7_lT5_lS8_lS9_lS7_lT8_i.uses_vcc, 1
	.set _ZL26rocblas_hemvn_kernel_lowerILb0ELi64ELi4ELi33ELi32ELi16Ei19rocblas_complex_numIdEPKPKS1_PS1_EviT6_lT7_lT5_lS8_lS9_lS7_lT8_i.uses_flat_scratch, 0
	.set _ZL26rocblas_hemvn_kernel_lowerILb0ELi64ELi4ELi33ELi32ELi16Ei19rocblas_complex_numIdEPKPKS1_PS1_EviT6_lT7_lT5_lS8_lS9_lS7_lT8_i.has_dyn_sized_stack, 0
	.set _ZL26rocblas_hemvn_kernel_lowerILb0ELi64ELi4ELi33ELi32ELi16Ei19rocblas_complex_numIdEPKPKS1_PS1_EviT6_lT7_lT5_lS8_lS9_lS7_lT8_i.has_recursion, 0
	.set _ZL26rocblas_hemvn_kernel_lowerILb0ELi64ELi4ELi33ELi32ELi16Ei19rocblas_complex_numIdEPKPKS1_PS1_EviT6_lT7_lT5_lS8_lS9_lS7_lT8_i.has_indirect_call, 0
	.section	.AMDGPU.csdata,"",@progbits
; Kernel info:
; codeLenInByte = 9348
; TotalNumSgprs: 50
; NumVgprs: 213
; ScratchSize: 0
; MemoryBound: 0
; FloatMode: 240
; IeeeMode: 1
; LDSByteSize: 19200 bytes/workgroup (compile time only)
; SGPRBlocks: 12
; VGPRBlocks: 53
; NumSGPRsForWavesPerEU: 102
; NumVGPRsForWavesPerEU: 213
; Occupancy: 1
; WaveLimiterHint : 0
; COMPUTE_PGM_RSRC2:SCRATCH_EN: 0
; COMPUTE_PGM_RSRC2:USER_SGPR: 6
; COMPUTE_PGM_RSRC2:TRAP_HANDLER: 0
; COMPUTE_PGM_RSRC2:TGID_X_EN: 1
; COMPUTE_PGM_RSRC2:TGID_Y_EN: 0
; COMPUTE_PGM_RSRC2:TGID_Z_EN: 1
; COMPUTE_PGM_RSRC2:TIDIG_COMP_CNT: 1
	.section	.AMDGPU.gpr_maximums,"",@progbits
	.set amdgpu.max_num_vgpr, 0
	.set amdgpu.max_num_agpr, 0
	.set amdgpu.max_num_sgpr, 0
	.section	.AMDGPU.csdata,"",@progbits
	.type	__hip_cuid_e49d4c7b8557bd15,@object ; @__hip_cuid_e49d4c7b8557bd15
	.section	.bss,"aw",@nobits
	.globl	__hip_cuid_e49d4c7b8557bd15
__hip_cuid_e49d4c7b8557bd15:
	.byte	0                               ; 0x0
	.size	__hip_cuid_e49d4c7b8557bd15, 1

	.ident	"AMD clang version 22.0.0git (https://github.com/RadeonOpenCompute/llvm-project roc-7.2.4 26084 f58b06dce1f9c15707c5f808fd002e18c2accf7e)"
	.section	".note.GNU-stack","",@progbits
	.addrsig
	.addrsig_sym __hip_cuid_e49d4c7b8557bd15
	.amdgpu_metadata
---
amdhsa.kernels:
  - .args:
      - .offset:         0
        .size:           4
        .value_kind:     by_value
      - .address_space:  global
        .offset:         8
        .size:           8
        .value_kind:     global_buffer
      - .offset:         16
        .size:           8
        .value_kind:     by_value
      - .address_space:  global
        .offset:         24
        .size:           8
        .value_kind:     global_buffer
      - .offset:         32
        .size:           8
        .value_kind:     by_value
      - .offset:         40
        .size:           8
        .value_kind:     by_value
      - .offset:         48
        .size:           8
        .value_kind:     by_value
      - .address_space:  global
        .offset:         56
        .size:           8
        .value_kind:     global_buffer
      - .offset:         64
        .size:           8
        .value_kind:     by_value
      - .offset:         72
        .size:           8
        .value_kind:     by_value
      - .offset:         80
        .size:           8
        .value_kind:     by_value
      - .address_space:  global
        .offset:         88
        .size:           8
        .value_kind:     global_buffer
      - .offset:         96
        .size:           8
        .value_kind:     by_value
      - .address_space:  global
        .offset:         104
        .size:           8
        .value_kind:     global_buffer
      - .offset:         112
        .size:           4
        .value_kind:     by_value
      - .offset:         120
        .size:           4
        .value_kind:     hidden_block_count_x
      - .offset:         124
        .size:           4
        .value_kind:     hidden_block_count_y
      - .offset:         128
        .size:           4
        .value_kind:     hidden_block_count_z
      - .offset:         132
        .size:           2
        .value_kind:     hidden_group_size_x
      - .offset:         134
        .size:           2
        .value_kind:     hidden_group_size_y
      - .offset:         136
        .size:           2
        .value_kind:     hidden_group_size_z
      - .offset:         138
        .size:           2
        .value_kind:     hidden_remainder_x
      - .offset:         140
        .size:           2
        .value_kind:     hidden_remainder_y
      - .offset:         142
        .size:           2
        .value_kind:     hidden_remainder_z
      - .offset:         160
        .size:           8
        .value_kind:     hidden_global_offset_x
      - .offset:         168
        .size:           8
        .value_kind:     hidden_global_offset_y
      - .offset:         176
        .size:           8
        .value_kind:     hidden_global_offset_z
      - .offset:         184
        .size:           2
        .value_kind:     hidden_grid_dims
    .group_segment_fixed_size: 9600
    .kernarg_segment_align: 8
    .kernarg_segment_size: 376
    .language:       OpenCL C
    .language_version:
      - 2
      - 0
    .max_flat_workgroup_size: 256
    .name:           _ZL26rocblas_hemvn_kernel_upperILb1ELi64ELi4ELi33ELi32ELi16ElPK19rocblas_complex_numIfES3_PS1_EviT6_lT7_lT5_lS6_lS7_lS5_lT8_i
    .private_segment_fixed_size: 0
    .sgpr_count:     46
    .sgpr_spill_count: 0
    .symbol:         _ZL26rocblas_hemvn_kernel_upperILb1ELi64ELi4ELi33ELi32ELi16ElPK19rocblas_complex_numIfES3_PS1_EviT6_lT7_lT5_lS6_lS7_lS5_lT8_i.kd
    .uniform_work_group_size: 1
    .uses_dynamic_stack: false
    .vgpr_count:     146
    .vgpr_spill_count: 0
    .wavefront_size: 64
  - .args:
      - .offset:         0
        .size:           4
        .value_kind:     by_value
      - .address_space:  global
        .offset:         8
        .size:           8
        .value_kind:     global_buffer
      - .offset:         16
        .size:           8
        .value_kind:     by_value
      - .address_space:  global
        .offset:         24
        .size:           8
        .value_kind:     global_buffer
      - .offset:         32
        .size:           8
        .value_kind:     by_value
      - .address_space:  global
        .offset:         40
        .size:           8
        .value_kind:     global_buffer
      - .offset:         48
        .size:           8
        .value_kind:     by_value
      - .offset:         56
        .size:           8
        .value_kind:     by_value
      - .offset:         64
        .size:           8
        .value_kind:     by_value
      - .address_space:  global
        .offset:         72
        .size:           8
        .value_kind:     global_buffer
      - .offset:         80
        .size:           4
        .value_kind:     by_value
      - .offset:         88
        .size:           4
        .value_kind:     hidden_block_count_x
      - .offset:         92
        .size:           4
        .value_kind:     hidden_block_count_y
      - .offset:         96
        .size:           4
        .value_kind:     hidden_block_count_z
      - .offset:         100
        .size:           2
        .value_kind:     hidden_group_size_x
      - .offset:         102
        .size:           2
        .value_kind:     hidden_group_size_y
      - .offset:         104
        .size:           2
        .value_kind:     hidden_group_size_z
      - .offset:         106
        .size:           2
        .value_kind:     hidden_remainder_x
      - .offset:         108
        .size:           2
        .value_kind:     hidden_remainder_y
      - .offset:         110
        .size:           2
        .value_kind:     hidden_remainder_z
      - .offset:         128
        .size:           8
        .value_kind:     hidden_global_offset_x
      - .offset:         136
        .size:           8
        .value_kind:     hidden_global_offset_y
      - .offset:         144
        .size:           8
        .value_kind:     hidden_global_offset_z
      - .offset:         152
        .size:           2
        .value_kind:     hidden_grid_dims
    .group_segment_fixed_size: 0
    .kernarg_segment_align: 8
    .kernarg_segment_size: 344
    .language:       OpenCL C
    .language_version:
      - 2
      - 0
    .max_flat_workgroup_size: 64
    .name:           _ZL36rocblas_hemvn_kernel_upper_block_sumILi64ElPK19rocblas_complex_numIfEPS1_S1_EviT1_lS5_lT2_lT0_lPT3_i
    .private_segment_fixed_size: 0
    .sgpr_count:     26
    .sgpr_spill_count: 0
    .symbol:         _ZL36rocblas_hemvn_kernel_upper_block_sumILi64ElPK19rocblas_complex_numIfEPS1_S1_EviT1_lS5_lT2_lT0_lPT3_i.kd
    .uniform_work_group_size: 1
    .uses_dynamic_stack: false
    .vgpr_count:     9
    .vgpr_spill_count: 0
    .wavefront_size: 64
  - .args:
      - .offset:         0
        .size:           4
        .value_kind:     by_value
      - .address_space:  global
        .offset:         8
        .size:           8
        .value_kind:     global_buffer
      - .offset:         16
        .size:           8
        .value_kind:     by_value
      - .address_space:  global
        .offset:         24
        .size:           8
        .value_kind:     global_buffer
      - .offset:         32
        .size:           8
        .value_kind:     by_value
      - .offset:         40
        .size:           4
        .value_kind:     by_value
      - .offset:         48
        .size:           8
        .value_kind:     by_value
      - .address_space:  global
        .offset:         56
        .size:           8
        .value_kind:     global_buffer
      - .offset:         64
        .size:           8
        .value_kind:     by_value
      - .offset:         72
        .size:           4
        .value_kind:     by_value
      - .offset:         80
        .size:           8
        .value_kind:     by_value
      - .address_space:  global
        .offset:         88
        .size:           8
        .value_kind:     global_buffer
      - .offset:         96
        .size:           8
        .value_kind:     by_value
      - .address_space:  global
        .offset:         104
        .size:           8
        .value_kind:     global_buffer
      - .offset:         112
        .size:           4
        .value_kind:     by_value
      - .offset:         120
        .size:           4
        .value_kind:     hidden_block_count_x
      - .offset:         124
        .size:           4
        .value_kind:     hidden_block_count_y
      - .offset:         128
        .size:           4
        .value_kind:     hidden_block_count_z
      - .offset:         132
        .size:           2
        .value_kind:     hidden_group_size_x
      - .offset:         134
        .size:           2
        .value_kind:     hidden_group_size_y
      - .offset:         136
        .size:           2
        .value_kind:     hidden_group_size_z
      - .offset:         138
        .size:           2
        .value_kind:     hidden_remainder_x
      - .offset:         140
        .size:           2
        .value_kind:     hidden_remainder_y
      - .offset:         142
        .size:           2
        .value_kind:     hidden_remainder_z
      - .offset:         160
        .size:           8
        .value_kind:     hidden_global_offset_x
      - .offset:         168
        .size:           8
        .value_kind:     hidden_global_offset_y
      - .offset:         176
        .size:           8
        .value_kind:     hidden_global_offset_z
      - .offset:         184
        .size:           2
        .value_kind:     hidden_grid_dims
    .group_segment_fixed_size: 9600
    .kernarg_segment_align: 8
    .kernarg_segment_size: 376
    .language:       OpenCL C
    .language_version:
      - 2
      - 0
    .max_flat_workgroup_size: 256
    .name:           _ZL26rocblas_hemvn_kernel_upperILb1ELi64ELi4ELi33ELi32ELi16EiPK19rocblas_complex_numIfES3_PS1_EviT6_lT7_lT5_lS6_lS7_lS5_lT8_i
    .private_segment_fixed_size: 0
    .sgpr_count:     48
    .sgpr_spill_count: 0
    .symbol:         _ZL26rocblas_hemvn_kernel_upperILb1ELi64ELi4ELi33ELi32ELi16EiPK19rocblas_complex_numIfES3_PS1_EviT6_lT7_lT5_lS6_lS7_lS5_lT8_i.kd
    .uniform_work_group_size: 1
    .uses_dynamic_stack: false
    .vgpr_count:     157
    .vgpr_spill_count: 0
    .wavefront_size: 64
  - .args:
      - .offset:         0
        .size:           4
        .value_kind:     by_value
      - .address_space:  global
        .offset:         8
        .size:           8
        .value_kind:     global_buffer
      - .offset:         16
        .size:           8
        .value_kind:     by_value
      - .address_space:  global
        .offset:         24
        .size:           8
        .value_kind:     global_buffer
      - .offset:         32
        .size:           8
        .value_kind:     by_value
      - .address_space:  global
        .offset:         40
        .size:           8
        .value_kind:     global_buffer
      - .offset:         48
        .size:           8
        .value_kind:     by_value
      - .offset:         56
        .size:           4
        .value_kind:     by_value
      - .offset:         64
        .size:           8
        .value_kind:     by_value
      - .address_space:  global
        .offset:         72
        .size:           8
        .value_kind:     global_buffer
      - .offset:         80
        .size:           4
        .value_kind:     by_value
      - .offset:         88
        .size:           4
        .value_kind:     hidden_block_count_x
      - .offset:         92
        .size:           4
        .value_kind:     hidden_block_count_y
      - .offset:         96
        .size:           4
        .value_kind:     hidden_block_count_z
      - .offset:         100
        .size:           2
        .value_kind:     hidden_group_size_x
      - .offset:         102
        .size:           2
        .value_kind:     hidden_group_size_y
      - .offset:         104
        .size:           2
        .value_kind:     hidden_group_size_z
      - .offset:         106
        .size:           2
        .value_kind:     hidden_remainder_x
      - .offset:         108
        .size:           2
        .value_kind:     hidden_remainder_y
      - .offset:         110
        .size:           2
        .value_kind:     hidden_remainder_z
      - .offset:         128
        .size:           8
        .value_kind:     hidden_global_offset_x
      - .offset:         136
        .size:           8
        .value_kind:     hidden_global_offset_y
      - .offset:         144
        .size:           8
        .value_kind:     hidden_global_offset_z
      - .offset:         152
        .size:           2
        .value_kind:     hidden_grid_dims
    .group_segment_fixed_size: 0
    .kernarg_segment_align: 8
    .kernarg_segment_size: 344
    .language:       OpenCL C
    .language_version:
      - 2
      - 0
    .max_flat_workgroup_size: 64
    .name:           _ZL36rocblas_hemvn_kernel_upper_block_sumILi64EiPK19rocblas_complex_numIfEPS1_S1_EviT1_lS5_lT2_lT0_lPT3_i
    .private_segment_fixed_size: 0
    .sgpr_count:     25
    .sgpr_spill_count: 0
    .symbol:         _ZL36rocblas_hemvn_kernel_upper_block_sumILi64EiPK19rocblas_complex_numIfEPS1_S1_EviT1_lS5_lT2_lT0_lPT3_i.kd
    .uniform_work_group_size: 1
    .uses_dynamic_stack: false
    .vgpr_count:     8
    .vgpr_spill_count: 0
    .wavefront_size: 64
  - .args:
      - .offset:         0
        .size:           4
        .value_kind:     by_value
      - .offset:         4
        .size:           8
        .value_kind:     by_value
      - .offset:         16
        .size:           8
        .value_kind:     by_value
      - .address_space:  global
        .offset:         24
        .size:           8
        .value_kind:     global_buffer
      - .offset:         32
        .size:           8
        .value_kind:     by_value
      - .offset:         40
        .size:           8
        .value_kind:     by_value
      - .offset:         48
        .size:           8
        .value_kind:     by_value
      - .address_space:  global
        .offset:         56
        .size:           8
        .value_kind:     global_buffer
      - .offset:         64
        .size:           8
        .value_kind:     by_value
      - .offset:         72
        .size:           8
        .value_kind:     by_value
      - .offset:         80
        .size:           8
        .value_kind:     by_value
      - .offset:         88
        .size:           8
        .value_kind:     by_value
      - .offset:         96
        .size:           8
        .value_kind:     by_value
      - .address_space:  global
        .offset:         104
        .size:           8
        .value_kind:     global_buffer
      - .offset:         112
        .size:           4
        .value_kind:     by_value
      - .offset:         120
        .size:           4
        .value_kind:     hidden_block_count_x
      - .offset:         124
        .size:           4
        .value_kind:     hidden_block_count_y
      - .offset:         128
        .size:           4
        .value_kind:     hidden_block_count_z
      - .offset:         132
        .size:           2
        .value_kind:     hidden_group_size_x
      - .offset:         134
        .size:           2
        .value_kind:     hidden_group_size_y
      - .offset:         136
        .size:           2
        .value_kind:     hidden_group_size_z
      - .offset:         138
        .size:           2
        .value_kind:     hidden_remainder_x
      - .offset:         140
        .size:           2
        .value_kind:     hidden_remainder_y
      - .offset:         142
        .size:           2
        .value_kind:     hidden_remainder_z
      - .offset:         160
        .size:           8
        .value_kind:     hidden_global_offset_x
      - .offset:         168
        .size:           8
        .value_kind:     hidden_global_offset_y
      - .offset:         176
        .size:           8
        .value_kind:     hidden_global_offset_z
      - .offset:         184
        .size:           2
        .value_kind:     hidden_grid_dims
    .group_segment_fixed_size: 9600
    .kernarg_segment_align: 8
    .kernarg_segment_size: 376
    .language:       OpenCL C
    .language_version:
      - 2
      - 0
    .max_flat_workgroup_size: 256
    .name:           _ZL26rocblas_hemvn_kernel_upperILb1ELi64ELi4ELi33ELi32ELi16El19rocblas_complex_numIfEPKS1_PS1_EviT6_lT7_lT5_lS6_lS7_lS5_lT8_i
    .private_segment_fixed_size: 0
    .sgpr_count:     46
    .sgpr_spill_count: 0
    .symbol:         _ZL26rocblas_hemvn_kernel_upperILb1ELi64ELi4ELi33ELi32ELi16El19rocblas_complex_numIfEPKS1_PS1_EviT6_lT7_lT5_lS6_lS7_lS5_lT8_i.kd
    .uniform_work_group_size: 1
    .uses_dynamic_stack: false
    .vgpr_count:     146
    .vgpr_spill_count: 0
    .wavefront_size: 64
  - .args:
      - .offset:         0
        .size:           4
        .value_kind:     by_value
      - .offset:         4
        .size:           8
        .value_kind:     by_value
      - .offset:         16
        .size:           8
        .value_kind:     by_value
      - .offset:         24
        .size:           8
        .value_kind:     by_value
      - .offset:         32
        .size:           8
        .value_kind:     by_value
      - .address_space:  global
        .offset:         40
        .size:           8
        .value_kind:     global_buffer
      - .offset:         48
        .size:           8
        .value_kind:     by_value
      - .offset:         56
        .size:           8
        .value_kind:     by_value
      - .offset:         64
        .size:           8
        .value_kind:     by_value
      - .address_space:  global
        .offset:         72
        .size:           8
        .value_kind:     global_buffer
      - .offset:         80
        .size:           4
        .value_kind:     by_value
      - .offset:         88
        .size:           4
        .value_kind:     hidden_block_count_x
      - .offset:         92
        .size:           4
        .value_kind:     hidden_block_count_y
      - .offset:         96
        .size:           4
        .value_kind:     hidden_block_count_z
      - .offset:         100
        .size:           2
        .value_kind:     hidden_group_size_x
      - .offset:         102
        .size:           2
        .value_kind:     hidden_group_size_y
      - .offset:         104
        .size:           2
        .value_kind:     hidden_group_size_z
      - .offset:         106
        .size:           2
        .value_kind:     hidden_remainder_x
      - .offset:         108
        .size:           2
        .value_kind:     hidden_remainder_y
      - .offset:         110
        .size:           2
        .value_kind:     hidden_remainder_z
      - .offset:         128
        .size:           8
        .value_kind:     hidden_global_offset_x
      - .offset:         136
        .size:           8
        .value_kind:     hidden_global_offset_y
      - .offset:         144
        .size:           8
        .value_kind:     hidden_global_offset_z
      - .offset:         152
        .size:           2
        .value_kind:     hidden_grid_dims
    .group_segment_fixed_size: 0
    .kernarg_segment_align: 8
    .kernarg_segment_size: 344
    .language:       OpenCL C
    .language_version:
      - 2
      - 0
    .max_flat_workgroup_size: 64
    .name:           _ZL36rocblas_hemvn_kernel_upper_block_sumILi64El19rocblas_complex_numIfEPS1_S1_EviT1_lS3_lT2_lT0_lPT3_i
    .private_segment_fixed_size: 0
    .sgpr_count:     26
    .sgpr_spill_count: 0
    .symbol:         _ZL36rocblas_hemvn_kernel_upper_block_sumILi64El19rocblas_complex_numIfEPS1_S1_EviT1_lS3_lT2_lT0_lPT3_i.kd
    .uniform_work_group_size: 1
    .uses_dynamic_stack: false
    .vgpr_count:     9
    .vgpr_spill_count: 0
    .wavefront_size: 64
  - .args:
      - .offset:         0
        .size:           4
        .value_kind:     by_value
      - .offset:         4
        .size:           8
        .value_kind:     by_value
      - .offset:         16
        .size:           8
        .value_kind:     by_value
      - .address_space:  global
        .offset:         24
        .size:           8
        .value_kind:     global_buffer
      - .offset:         32
        .size:           8
        .value_kind:     by_value
      - .offset:         40
        .size:           4
        .value_kind:     by_value
      - .offset:         48
        .size:           8
        .value_kind:     by_value
      - .address_space:  global
        .offset:         56
        .size:           8
        .value_kind:     global_buffer
      - .offset:         64
        .size:           8
        .value_kind:     by_value
      - .offset:         72
        .size:           4
        .value_kind:     by_value
      - .offset:         80
        .size:           8
        .value_kind:     by_value
      - .offset:         88
        .size:           8
        .value_kind:     by_value
      - .offset:         96
        .size:           8
        .value_kind:     by_value
      - .address_space:  global
        .offset:         104
        .size:           8
        .value_kind:     global_buffer
      - .offset:         112
        .size:           4
        .value_kind:     by_value
      - .offset:         120
        .size:           4
        .value_kind:     hidden_block_count_x
      - .offset:         124
        .size:           4
        .value_kind:     hidden_block_count_y
      - .offset:         128
        .size:           4
        .value_kind:     hidden_block_count_z
      - .offset:         132
        .size:           2
        .value_kind:     hidden_group_size_x
      - .offset:         134
        .size:           2
        .value_kind:     hidden_group_size_y
      - .offset:         136
        .size:           2
        .value_kind:     hidden_group_size_z
      - .offset:         138
        .size:           2
        .value_kind:     hidden_remainder_x
      - .offset:         140
        .size:           2
        .value_kind:     hidden_remainder_y
      - .offset:         142
        .size:           2
        .value_kind:     hidden_remainder_z
      - .offset:         160
        .size:           8
        .value_kind:     hidden_global_offset_x
      - .offset:         168
        .size:           8
        .value_kind:     hidden_global_offset_y
      - .offset:         176
        .size:           8
        .value_kind:     hidden_global_offset_z
      - .offset:         184
        .size:           2
        .value_kind:     hidden_grid_dims
    .group_segment_fixed_size: 9600
    .kernarg_segment_align: 8
    .kernarg_segment_size: 376
    .language:       OpenCL C
    .language_version:
      - 2
      - 0
    .max_flat_workgroup_size: 256
    .name:           _ZL26rocblas_hemvn_kernel_upperILb1ELi64ELi4ELi33ELi32ELi16Ei19rocblas_complex_numIfEPKS1_PS1_EviT6_lT7_lT5_lS6_lS7_lS5_lT8_i
    .private_segment_fixed_size: 0
    .sgpr_count:     48
    .sgpr_spill_count: 0
    .symbol:         _ZL26rocblas_hemvn_kernel_upperILb1ELi64ELi4ELi33ELi32ELi16Ei19rocblas_complex_numIfEPKS1_PS1_EviT6_lT7_lT5_lS6_lS7_lS5_lT8_i.kd
    .uniform_work_group_size: 1
    .uses_dynamic_stack: false
    .vgpr_count:     157
    .vgpr_spill_count: 0
    .wavefront_size: 64
  - .args:
      - .offset:         0
        .size:           4
        .value_kind:     by_value
      - .offset:         4
        .size:           8
        .value_kind:     by_value
      - .offset:         16
        .size:           8
        .value_kind:     by_value
      - .offset:         24
        .size:           8
        .value_kind:     by_value
      - .offset:         32
        .size:           8
        .value_kind:     by_value
      - .address_space:  global
        .offset:         40
        .size:           8
        .value_kind:     global_buffer
      - .offset:         48
        .size:           8
        .value_kind:     by_value
      - .offset:         56
        .size:           4
        .value_kind:     by_value
      - .offset:         64
        .size:           8
        .value_kind:     by_value
      - .address_space:  global
        .offset:         72
        .size:           8
        .value_kind:     global_buffer
      - .offset:         80
        .size:           4
        .value_kind:     by_value
      - .offset:         88
        .size:           4
        .value_kind:     hidden_block_count_x
      - .offset:         92
        .size:           4
        .value_kind:     hidden_block_count_y
      - .offset:         96
        .size:           4
        .value_kind:     hidden_block_count_z
      - .offset:         100
        .size:           2
        .value_kind:     hidden_group_size_x
      - .offset:         102
        .size:           2
        .value_kind:     hidden_group_size_y
      - .offset:         104
        .size:           2
        .value_kind:     hidden_group_size_z
      - .offset:         106
        .size:           2
        .value_kind:     hidden_remainder_x
      - .offset:         108
        .size:           2
        .value_kind:     hidden_remainder_y
      - .offset:         110
        .size:           2
        .value_kind:     hidden_remainder_z
      - .offset:         128
        .size:           8
        .value_kind:     hidden_global_offset_x
      - .offset:         136
        .size:           8
        .value_kind:     hidden_global_offset_y
      - .offset:         144
        .size:           8
        .value_kind:     hidden_global_offset_z
      - .offset:         152
        .size:           2
        .value_kind:     hidden_grid_dims
    .group_segment_fixed_size: 0
    .kernarg_segment_align: 8
    .kernarg_segment_size: 344
    .language:       OpenCL C
    .language_version:
      - 2
      - 0
    .max_flat_workgroup_size: 64
    .name:           _ZL36rocblas_hemvn_kernel_upper_block_sumILi64Ei19rocblas_complex_numIfEPS1_S1_EviT1_lS3_lT2_lT0_lPT3_i
    .private_segment_fixed_size: 0
    .sgpr_count:     28
    .sgpr_spill_count: 0
    .symbol:         _ZL36rocblas_hemvn_kernel_upper_block_sumILi64Ei19rocblas_complex_numIfEPS1_S1_EviT1_lS3_lT2_lT0_lPT3_i.kd
    .uniform_work_group_size: 1
    .uses_dynamic_stack: false
    .vgpr_count:     8
    .vgpr_spill_count: 0
    .wavefront_size: 64
  - .args:
      - .offset:         0
        .size:           4
        .value_kind:     by_value
      - .address_space:  global
        .offset:         8
        .size:           8
        .value_kind:     global_buffer
      - .offset:         16
        .size:           8
        .value_kind:     by_value
      - .address_space:  global
        .offset:         24
        .size:           8
        .value_kind:     global_buffer
      - .offset:         32
        .size:           8
        .value_kind:     by_value
      - .offset:         40
        .size:           8
        .value_kind:     by_value
      - .offset:         48
        .size:           8
        .value_kind:     by_value
      - .address_space:  global
        .offset:         56
        .size:           8
        .value_kind:     global_buffer
      - .offset:         64
        .size:           8
        .value_kind:     by_value
      - .offset:         72
        .size:           8
        .value_kind:     by_value
      - .offset:         80
        .size:           8
        .value_kind:     by_value
      - .address_space:  global
        .offset:         88
        .size:           8
        .value_kind:     global_buffer
      - .offset:         96
        .size:           8
        .value_kind:     by_value
      - .address_space:  global
        .offset:         104
        .size:           8
        .value_kind:     global_buffer
      - .offset:         112
        .size:           4
        .value_kind:     by_value
      - .offset:         120
        .size:           4
        .value_kind:     hidden_block_count_x
      - .offset:         124
        .size:           4
        .value_kind:     hidden_block_count_y
      - .offset:         128
        .size:           4
        .value_kind:     hidden_block_count_z
      - .offset:         132
        .size:           2
        .value_kind:     hidden_group_size_x
      - .offset:         134
        .size:           2
        .value_kind:     hidden_group_size_y
      - .offset:         136
        .size:           2
        .value_kind:     hidden_group_size_z
      - .offset:         138
        .size:           2
        .value_kind:     hidden_remainder_x
      - .offset:         140
        .size:           2
        .value_kind:     hidden_remainder_y
      - .offset:         142
        .size:           2
        .value_kind:     hidden_remainder_z
      - .offset:         160
        .size:           8
        .value_kind:     hidden_global_offset_x
      - .offset:         168
        .size:           8
        .value_kind:     hidden_global_offset_y
      - .offset:         176
        .size:           8
        .value_kind:     hidden_global_offset_z
      - .offset:         184
        .size:           2
        .value_kind:     hidden_grid_dims
    .group_segment_fixed_size: 9600
    .kernarg_segment_align: 8
    .kernarg_segment_size: 376
    .language:       OpenCL C
    .language_version:
      - 2
      - 0
    .max_flat_workgroup_size: 256
    .name:           _ZL26rocblas_hemvn_kernel_lowerILb1ELi64ELi4ELi33ELi32ELi16ElPK19rocblas_complex_numIfES3_PS1_EviT6_lT7_lT5_lS6_lS7_lS5_lT8_i
    .private_segment_fixed_size: 0
    .sgpr_count:     48
    .sgpr_spill_count: 0
    .symbol:         _ZL26rocblas_hemvn_kernel_lowerILb1ELi64ELi4ELi33ELi32ELi16ElPK19rocblas_complex_numIfES3_PS1_EviT6_lT7_lT5_lS6_lS7_lS5_lT8_i.kd
    .uniform_work_group_size: 1
    .uses_dynamic_stack: false
    .vgpr_count:     107
    .vgpr_spill_count: 0
    .wavefront_size: 64
  - .args:
      - .offset:         0
        .size:           4
        .value_kind:     by_value
      - .address_space:  global
        .offset:         8
        .size:           8
        .value_kind:     global_buffer
      - .offset:         16
        .size:           8
        .value_kind:     by_value
      - .address_space:  global
        .offset:         24
        .size:           8
        .value_kind:     global_buffer
      - .offset:         32
        .size:           8
        .value_kind:     by_value
      - .address_space:  global
        .offset:         40
        .size:           8
        .value_kind:     global_buffer
      - .offset:         48
        .size:           8
        .value_kind:     by_value
      - .offset:         56
        .size:           8
        .value_kind:     by_value
      - .offset:         64
        .size:           8
        .value_kind:     by_value
      - .actual_access:  read_only
        .address_space:  global
        .offset:         72
        .size:           8
        .value_kind:     global_buffer
      - .offset:         80
        .size:           4
        .value_kind:     by_value
      - .offset:         88
        .size:           4
        .value_kind:     hidden_block_count_x
      - .offset:         92
        .size:           4
        .value_kind:     hidden_block_count_y
      - .offset:         96
        .size:           4
        .value_kind:     hidden_block_count_z
      - .offset:         100
        .size:           2
        .value_kind:     hidden_group_size_x
      - .offset:         102
        .size:           2
        .value_kind:     hidden_group_size_y
      - .offset:         104
        .size:           2
        .value_kind:     hidden_group_size_z
      - .offset:         106
        .size:           2
        .value_kind:     hidden_remainder_x
      - .offset:         108
        .size:           2
        .value_kind:     hidden_remainder_y
      - .offset:         110
        .size:           2
        .value_kind:     hidden_remainder_z
      - .offset:         128
        .size:           8
        .value_kind:     hidden_global_offset_x
      - .offset:         136
        .size:           8
        .value_kind:     hidden_global_offset_y
      - .offset:         144
        .size:           8
        .value_kind:     hidden_global_offset_z
      - .offset:         152
        .size:           2
        .value_kind:     hidden_grid_dims
    .group_segment_fixed_size: 0
    .kernarg_segment_align: 8
    .kernarg_segment_size: 344
    .language:       OpenCL C
    .language_version:
      - 2
      - 0
    .max_flat_workgroup_size: 64
    .name:           _ZL36rocblas_hemvn_kernel_lower_block_sumILi64ElPK19rocblas_complex_numIfEPS1_S1_EviT1_lS5_lT2_lT0_lPT3_i
    .private_segment_fixed_size: 0
    .sgpr_count:     24
    .sgpr_spill_count: 0
    .symbol:         _ZL36rocblas_hemvn_kernel_lower_block_sumILi64ElPK19rocblas_complex_numIfEPS1_S1_EviT1_lS5_lT2_lT0_lPT3_i.kd
    .uniform_work_group_size: 1
    .uses_dynamic_stack: false
    .vgpr_count:     8
    .vgpr_spill_count: 0
    .wavefront_size: 64
  - .args:
      - .offset:         0
        .size:           4
        .value_kind:     by_value
      - .address_space:  global
        .offset:         8
        .size:           8
        .value_kind:     global_buffer
      - .offset:         16
        .size:           8
        .value_kind:     by_value
      - .address_space:  global
        .offset:         24
        .size:           8
        .value_kind:     global_buffer
      - .offset:         32
        .size:           8
        .value_kind:     by_value
      - .offset:         40
        .size:           4
        .value_kind:     by_value
      - .offset:         48
        .size:           8
        .value_kind:     by_value
      - .address_space:  global
        .offset:         56
        .size:           8
        .value_kind:     global_buffer
      - .offset:         64
        .size:           8
        .value_kind:     by_value
      - .offset:         72
        .size:           4
        .value_kind:     by_value
      - .offset:         80
        .size:           8
        .value_kind:     by_value
      - .address_space:  global
        .offset:         88
        .size:           8
        .value_kind:     global_buffer
      - .offset:         96
        .size:           8
        .value_kind:     by_value
      - .address_space:  global
        .offset:         104
        .size:           8
        .value_kind:     global_buffer
      - .offset:         112
        .size:           4
        .value_kind:     by_value
      - .offset:         120
        .size:           4
        .value_kind:     hidden_block_count_x
      - .offset:         124
        .size:           4
        .value_kind:     hidden_block_count_y
      - .offset:         128
        .size:           4
        .value_kind:     hidden_block_count_z
      - .offset:         132
        .size:           2
        .value_kind:     hidden_group_size_x
      - .offset:         134
        .size:           2
        .value_kind:     hidden_group_size_y
      - .offset:         136
        .size:           2
        .value_kind:     hidden_group_size_z
      - .offset:         138
        .size:           2
        .value_kind:     hidden_remainder_x
      - .offset:         140
        .size:           2
        .value_kind:     hidden_remainder_y
      - .offset:         142
        .size:           2
        .value_kind:     hidden_remainder_z
      - .offset:         160
        .size:           8
        .value_kind:     hidden_global_offset_x
      - .offset:         168
        .size:           8
        .value_kind:     hidden_global_offset_y
      - .offset:         176
        .size:           8
        .value_kind:     hidden_global_offset_z
      - .offset:         184
        .size:           2
        .value_kind:     hidden_grid_dims
    .group_segment_fixed_size: 9600
    .kernarg_segment_align: 8
    .kernarg_segment_size: 376
    .language:       OpenCL C
    .language_version:
      - 2
      - 0
    .max_flat_workgroup_size: 256
    .name:           _ZL26rocblas_hemvn_kernel_lowerILb1ELi64ELi4ELi33ELi32ELi16EiPK19rocblas_complex_numIfES3_PS1_EviT6_lT7_lT5_lS6_lS7_lS5_lT8_i
    .private_segment_fixed_size: 0
    .sgpr_count:     50
    .sgpr_spill_count: 0
    .symbol:         _ZL26rocblas_hemvn_kernel_lowerILb1ELi64ELi4ELi33ELi32ELi16EiPK19rocblas_complex_numIfES3_PS1_EviT6_lT7_lT5_lS6_lS7_lS5_lT8_i.kd
    .uniform_work_group_size: 1
    .uses_dynamic_stack: false
    .vgpr_count:     105
    .vgpr_spill_count: 0
    .wavefront_size: 64
  - .args:
      - .offset:         0
        .size:           4
        .value_kind:     by_value
      - .address_space:  global
        .offset:         8
        .size:           8
        .value_kind:     global_buffer
      - .offset:         16
        .size:           8
        .value_kind:     by_value
      - .address_space:  global
        .offset:         24
        .size:           8
        .value_kind:     global_buffer
      - .offset:         32
        .size:           8
        .value_kind:     by_value
      - .address_space:  global
        .offset:         40
        .size:           8
        .value_kind:     global_buffer
      - .offset:         48
        .size:           8
        .value_kind:     by_value
      - .offset:         56
        .size:           4
        .value_kind:     by_value
      - .offset:         64
        .size:           8
        .value_kind:     by_value
      - .actual_access:  read_only
        .address_space:  global
        .offset:         72
        .size:           8
        .value_kind:     global_buffer
      - .offset:         80
        .size:           4
        .value_kind:     by_value
      - .offset:         88
        .size:           4
        .value_kind:     hidden_block_count_x
      - .offset:         92
        .size:           4
        .value_kind:     hidden_block_count_y
      - .offset:         96
        .size:           4
        .value_kind:     hidden_block_count_z
      - .offset:         100
        .size:           2
        .value_kind:     hidden_group_size_x
      - .offset:         102
        .size:           2
        .value_kind:     hidden_group_size_y
      - .offset:         104
        .size:           2
        .value_kind:     hidden_group_size_z
      - .offset:         106
        .size:           2
        .value_kind:     hidden_remainder_x
      - .offset:         108
        .size:           2
        .value_kind:     hidden_remainder_y
      - .offset:         110
        .size:           2
        .value_kind:     hidden_remainder_z
      - .offset:         128
        .size:           8
        .value_kind:     hidden_global_offset_x
      - .offset:         136
        .size:           8
        .value_kind:     hidden_global_offset_y
      - .offset:         144
        .size:           8
        .value_kind:     hidden_global_offset_z
      - .offset:         152
        .size:           2
        .value_kind:     hidden_grid_dims
    .group_segment_fixed_size: 0
    .kernarg_segment_align: 8
    .kernarg_segment_size: 344
    .language:       OpenCL C
    .language_version:
      - 2
      - 0
    .max_flat_workgroup_size: 64
    .name:           _ZL36rocblas_hemvn_kernel_lower_block_sumILi64EiPK19rocblas_complex_numIfEPS1_S1_EviT1_lS5_lT2_lT0_lPT3_i
    .private_segment_fixed_size: 0
    .sgpr_count:     24
    .sgpr_spill_count: 0
    .symbol:         _ZL36rocblas_hemvn_kernel_lower_block_sumILi64EiPK19rocblas_complex_numIfEPS1_S1_EviT1_lS5_lT2_lT0_lPT3_i.kd
    .uniform_work_group_size: 1
    .uses_dynamic_stack: false
    .vgpr_count:     8
    .vgpr_spill_count: 0
    .wavefront_size: 64
  - .args:
      - .offset:         0
        .size:           4
        .value_kind:     by_value
      - .offset:         4
        .size:           8
        .value_kind:     by_value
      - .offset:         16
        .size:           8
        .value_kind:     by_value
      - .address_space:  global
        .offset:         24
        .size:           8
        .value_kind:     global_buffer
      - .offset:         32
        .size:           8
        .value_kind:     by_value
      - .offset:         40
        .size:           8
        .value_kind:     by_value
      - .offset:         48
        .size:           8
        .value_kind:     by_value
      - .address_space:  global
        .offset:         56
        .size:           8
        .value_kind:     global_buffer
      - .offset:         64
        .size:           8
        .value_kind:     by_value
      - .offset:         72
        .size:           8
        .value_kind:     by_value
      - .offset:         80
        .size:           8
        .value_kind:     by_value
      - .offset:         88
        .size:           8
        .value_kind:     by_value
      - .offset:         96
        .size:           8
        .value_kind:     by_value
      - .address_space:  global
        .offset:         104
        .size:           8
        .value_kind:     global_buffer
      - .offset:         112
        .size:           4
        .value_kind:     by_value
      - .offset:         120
        .size:           4
        .value_kind:     hidden_block_count_x
      - .offset:         124
        .size:           4
        .value_kind:     hidden_block_count_y
      - .offset:         128
        .size:           4
        .value_kind:     hidden_block_count_z
      - .offset:         132
        .size:           2
        .value_kind:     hidden_group_size_x
      - .offset:         134
        .size:           2
        .value_kind:     hidden_group_size_y
      - .offset:         136
        .size:           2
        .value_kind:     hidden_group_size_z
      - .offset:         138
        .size:           2
        .value_kind:     hidden_remainder_x
      - .offset:         140
        .size:           2
        .value_kind:     hidden_remainder_y
      - .offset:         142
        .size:           2
        .value_kind:     hidden_remainder_z
      - .offset:         160
        .size:           8
        .value_kind:     hidden_global_offset_x
      - .offset:         168
        .size:           8
        .value_kind:     hidden_global_offset_y
      - .offset:         176
        .size:           8
        .value_kind:     hidden_global_offset_z
      - .offset:         184
        .size:           2
        .value_kind:     hidden_grid_dims
    .group_segment_fixed_size: 9600
    .kernarg_segment_align: 8
    .kernarg_segment_size: 376
    .language:       OpenCL C
    .language_version:
      - 2
      - 0
    .max_flat_workgroup_size: 256
    .name:           _ZL26rocblas_hemvn_kernel_lowerILb1ELi64ELi4ELi33ELi32ELi16El19rocblas_complex_numIfEPKS1_PS1_EviT6_lT7_lT5_lS6_lS7_lS5_lT8_i
    .private_segment_fixed_size: 0
    .sgpr_count:     57
    .sgpr_spill_count: 0
    .symbol:         _ZL26rocblas_hemvn_kernel_lowerILb1ELi64ELi4ELi33ELi32ELi16El19rocblas_complex_numIfEPKS1_PS1_EviT6_lT7_lT5_lS6_lS7_lS5_lT8_i.kd
    .uniform_work_group_size: 1
    .uses_dynamic_stack: false
    .vgpr_count:     107
    .vgpr_spill_count: 0
    .wavefront_size: 64
  - .args:
      - .offset:         0
        .size:           4
        .value_kind:     by_value
      - .offset:         4
        .size:           8
        .value_kind:     by_value
      - .offset:         16
        .size:           8
        .value_kind:     by_value
      - .offset:         24
        .size:           8
        .value_kind:     by_value
      - .offset:         32
        .size:           8
        .value_kind:     by_value
      - .address_space:  global
        .offset:         40
        .size:           8
        .value_kind:     global_buffer
      - .offset:         48
        .size:           8
        .value_kind:     by_value
      - .offset:         56
        .size:           8
        .value_kind:     by_value
      - .offset:         64
        .size:           8
        .value_kind:     by_value
      - .actual_access:  read_only
        .address_space:  global
        .offset:         72
        .size:           8
        .value_kind:     global_buffer
      - .offset:         80
        .size:           4
        .value_kind:     by_value
      - .offset:         88
        .size:           4
        .value_kind:     hidden_block_count_x
      - .offset:         92
        .size:           4
        .value_kind:     hidden_block_count_y
      - .offset:         96
        .size:           4
        .value_kind:     hidden_block_count_z
      - .offset:         100
        .size:           2
        .value_kind:     hidden_group_size_x
      - .offset:         102
        .size:           2
        .value_kind:     hidden_group_size_y
      - .offset:         104
        .size:           2
        .value_kind:     hidden_group_size_z
      - .offset:         106
        .size:           2
        .value_kind:     hidden_remainder_x
      - .offset:         108
        .size:           2
        .value_kind:     hidden_remainder_y
      - .offset:         110
        .size:           2
        .value_kind:     hidden_remainder_z
      - .offset:         128
        .size:           8
        .value_kind:     hidden_global_offset_x
      - .offset:         136
        .size:           8
        .value_kind:     hidden_global_offset_y
      - .offset:         144
        .size:           8
        .value_kind:     hidden_global_offset_z
      - .offset:         152
        .size:           2
        .value_kind:     hidden_grid_dims
    .group_segment_fixed_size: 0
    .kernarg_segment_align: 8
    .kernarg_segment_size: 344
    .language:       OpenCL C
    .language_version:
      - 2
      - 0
    .max_flat_workgroup_size: 64
    .name:           _ZL36rocblas_hemvn_kernel_lower_block_sumILi64El19rocblas_complex_numIfEPS1_S1_EviT1_lS3_lT2_lT0_lPT3_i
    .private_segment_fixed_size: 0
    .sgpr_count:     24
    .sgpr_spill_count: 0
    .symbol:         _ZL36rocblas_hemvn_kernel_lower_block_sumILi64El19rocblas_complex_numIfEPS1_S1_EviT1_lS3_lT2_lT0_lPT3_i.kd
    .uniform_work_group_size: 1
    .uses_dynamic_stack: false
    .vgpr_count:     8
    .vgpr_spill_count: 0
    .wavefront_size: 64
  - .args:
      - .offset:         0
        .size:           4
        .value_kind:     by_value
      - .offset:         4
        .size:           8
        .value_kind:     by_value
      - .offset:         16
        .size:           8
        .value_kind:     by_value
      - .address_space:  global
        .offset:         24
        .size:           8
        .value_kind:     global_buffer
      - .offset:         32
        .size:           8
        .value_kind:     by_value
      - .offset:         40
        .size:           4
        .value_kind:     by_value
      - .offset:         48
        .size:           8
        .value_kind:     by_value
      - .address_space:  global
        .offset:         56
        .size:           8
        .value_kind:     global_buffer
      - .offset:         64
        .size:           8
        .value_kind:     by_value
      - .offset:         72
        .size:           4
        .value_kind:     by_value
      - .offset:         80
        .size:           8
        .value_kind:     by_value
      - .offset:         88
        .size:           8
        .value_kind:     by_value
      - .offset:         96
        .size:           8
        .value_kind:     by_value
      - .address_space:  global
        .offset:         104
        .size:           8
        .value_kind:     global_buffer
      - .offset:         112
        .size:           4
        .value_kind:     by_value
      - .offset:         120
        .size:           4
        .value_kind:     hidden_block_count_x
      - .offset:         124
        .size:           4
        .value_kind:     hidden_block_count_y
      - .offset:         128
        .size:           4
        .value_kind:     hidden_block_count_z
      - .offset:         132
        .size:           2
        .value_kind:     hidden_group_size_x
      - .offset:         134
        .size:           2
        .value_kind:     hidden_group_size_y
      - .offset:         136
        .size:           2
        .value_kind:     hidden_group_size_z
      - .offset:         138
        .size:           2
        .value_kind:     hidden_remainder_x
      - .offset:         140
        .size:           2
        .value_kind:     hidden_remainder_y
      - .offset:         142
        .size:           2
        .value_kind:     hidden_remainder_z
      - .offset:         160
        .size:           8
        .value_kind:     hidden_global_offset_x
      - .offset:         168
        .size:           8
        .value_kind:     hidden_global_offset_y
      - .offset:         176
        .size:           8
        .value_kind:     hidden_global_offset_z
      - .offset:         184
        .size:           2
        .value_kind:     hidden_grid_dims
    .group_segment_fixed_size: 9600
    .kernarg_segment_align: 8
    .kernarg_segment_size: 376
    .language:       OpenCL C
    .language_version:
      - 2
      - 0
    .max_flat_workgroup_size: 256
    .name:           _ZL26rocblas_hemvn_kernel_lowerILb1ELi64ELi4ELi33ELi32ELi16Ei19rocblas_complex_numIfEPKS1_PS1_EviT6_lT7_lT5_lS6_lS7_lS5_lT8_i
    .private_segment_fixed_size: 0
    .sgpr_count:     50
    .sgpr_spill_count: 0
    .symbol:         _ZL26rocblas_hemvn_kernel_lowerILb1ELi64ELi4ELi33ELi32ELi16Ei19rocblas_complex_numIfEPKS1_PS1_EviT6_lT7_lT5_lS6_lS7_lS5_lT8_i.kd
    .uniform_work_group_size: 1
    .uses_dynamic_stack: false
    .vgpr_count:     105
    .vgpr_spill_count: 0
    .wavefront_size: 64
  - .args:
      - .offset:         0
        .size:           4
        .value_kind:     by_value
      - .offset:         4
        .size:           8
        .value_kind:     by_value
      - .offset:         16
        .size:           8
        .value_kind:     by_value
      - .offset:         24
        .size:           8
        .value_kind:     by_value
      - .offset:         32
        .size:           8
        .value_kind:     by_value
      - .address_space:  global
        .offset:         40
        .size:           8
        .value_kind:     global_buffer
      - .offset:         48
        .size:           8
        .value_kind:     by_value
      - .offset:         56
        .size:           4
        .value_kind:     by_value
      - .offset:         64
        .size:           8
        .value_kind:     by_value
      - .actual_access:  read_only
        .address_space:  global
        .offset:         72
        .size:           8
        .value_kind:     global_buffer
      - .offset:         80
        .size:           4
        .value_kind:     by_value
      - .offset:         88
        .size:           4
        .value_kind:     hidden_block_count_x
      - .offset:         92
        .size:           4
        .value_kind:     hidden_block_count_y
      - .offset:         96
        .size:           4
        .value_kind:     hidden_block_count_z
      - .offset:         100
        .size:           2
        .value_kind:     hidden_group_size_x
      - .offset:         102
        .size:           2
        .value_kind:     hidden_group_size_y
      - .offset:         104
        .size:           2
        .value_kind:     hidden_group_size_z
      - .offset:         106
        .size:           2
        .value_kind:     hidden_remainder_x
      - .offset:         108
        .size:           2
        .value_kind:     hidden_remainder_y
      - .offset:         110
        .size:           2
        .value_kind:     hidden_remainder_z
      - .offset:         128
        .size:           8
        .value_kind:     hidden_global_offset_x
      - .offset:         136
        .size:           8
        .value_kind:     hidden_global_offset_y
      - .offset:         144
        .size:           8
        .value_kind:     hidden_global_offset_z
      - .offset:         152
        .size:           2
        .value_kind:     hidden_grid_dims
    .group_segment_fixed_size: 0
    .kernarg_segment_align: 8
    .kernarg_segment_size: 344
    .language:       OpenCL C
    .language_version:
      - 2
      - 0
    .max_flat_workgroup_size: 64
    .name:           _ZL36rocblas_hemvn_kernel_lower_block_sumILi64Ei19rocblas_complex_numIfEPS1_S1_EviT1_lS3_lT2_lT0_lPT3_i
    .private_segment_fixed_size: 0
    .sgpr_count:     24
    .sgpr_spill_count: 0
    .symbol:         _ZL36rocblas_hemvn_kernel_lower_block_sumILi64Ei19rocblas_complex_numIfEPS1_S1_EviT1_lS3_lT2_lT0_lPT3_i.kd
    .uniform_work_group_size: 1
    .uses_dynamic_stack: false
    .vgpr_count:     8
    .vgpr_spill_count: 0
    .wavefront_size: 64
  - .args:
      - .offset:         0
        .size:           4
        .value_kind:     by_value
      - .address_space:  global
        .offset:         8
        .size:           8
        .value_kind:     global_buffer
      - .offset:         16
        .size:           8
        .value_kind:     by_value
      - .address_space:  global
        .offset:         24
        .size:           8
        .value_kind:     global_buffer
      - .offset:         32
        .size:           8
        .value_kind:     by_value
      - .offset:         40
        .size:           8
        .value_kind:     by_value
      - .offset:         48
        .size:           8
        .value_kind:     by_value
      - .address_space:  global
        .offset:         56
        .size:           8
        .value_kind:     global_buffer
      - .offset:         64
        .size:           8
        .value_kind:     by_value
      - .offset:         72
        .size:           8
        .value_kind:     by_value
      - .offset:         80
        .size:           8
        .value_kind:     by_value
      - .address_space:  global
        .offset:         88
        .size:           8
        .value_kind:     global_buffer
      - .offset:         96
        .size:           8
        .value_kind:     by_value
      - .address_space:  global
        .offset:         104
        .size:           8
        .value_kind:     global_buffer
      - .offset:         112
        .size:           4
        .value_kind:     by_value
      - .offset:         120
        .size:           4
        .value_kind:     hidden_block_count_x
      - .offset:         124
        .size:           4
        .value_kind:     hidden_block_count_y
      - .offset:         128
        .size:           4
        .value_kind:     hidden_block_count_z
      - .offset:         132
        .size:           2
        .value_kind:     hidden_group_size_x
      - .offset:         134
        .size:           2
        .value_kind:     hidden_group_size_y
      - .offset:         136
        .size:           2
        .value_kind:     hidden_group_size_z
      - .offset:         138
        .size:           2
        .value_kind:     hidden_remainder_x
      - .offset:         140
        .size:           2
        .value_kind:     hidden_remainder_y
      - .offset:         142
        .size:           2
        .value_kind:     hidden_remainder_z
      - .offset:         160
        .size:           8
        .value_kind:     hidden_global_offset_x
      - .offset:         168
        .size:           8
        .value_kind:     hidden_global_offset_y
      - .offset:         176
        .size:           8
        .value_kind:     hidden_global_offset_z
      - .offset:         184
        .size:           2
        .value_kind:     hidden_grid_dims
    .group_segment_fixed_size: 19200
    .kernarg_segment_align: 8
    .kernarg_segment_size: 376
    .language:       OpenCL C
    .language_version:
      - 2
      - 0
    .max_flat_workgroup_size: 256
    .name:           _ZL26rocblas_hemvn_kernel_upperILb1ELi64ELi4ELi33ELi32ELi16ElPK19rocblas_complex_numIdES3_PS1_EviT6_lT7_lT5_lS6_lS7_lS5_lT8_i
    .private_segment_fixed_size: 0
    .sgpr_count:     46
    .sgpr_spill_count: 0
    .symbol:         _ZL26rocblas_hemvn_kernel_upperILb1ELi64ELi4ELi33ELi32ELi16ElPK19rocblas_complex_numIdES3_PS1_EviT6_lT7_lT5_lS6_lS7_lS5_lT8_i.kd
    .uniform_work_group_size: 1
    .uses_dynamic_stack: false
    .vgpr_count:     256
    .vgpr_spill_count: 0
    .wavefront_size: 64
  - .args:
      - .offset:         0
        .size:           4
        .value_kind:     by_value
      - .address_space:  global
        .offset:         8
        .size:           8
        .value_kind:     global_buffer
      - .offset:         16
        .size:           8
        .value_kind:     by_value
      - .address_space:  global
        .offset:         24
        .size:           8
        .value_kind:     global_buffer
      - .offset:         32
        .size:           8
        .value_kind:     by_value
      - .address_space:  global
        .offset:         40
        .size:           8
        .value_kind:     global_buffer
      - .offset:         48
        .size:           8
        .value_kind:     by_value
      - .offset:         56
        .size:           8
        .value_kind:     by_value
      - .offset:         64
        .size:           8
        .value_kind:     by_value
      - .address_space:  global
        .offset:         72
        .size:           8
        .value_kind:     global_buffer
      - .offset:         80
        .size:           4
        .value_kind:     by_value
      - .offset:         88
        .size:           4
        .value_kind:     hidden_block_count_x
      - .offset:         92
        .size:           4
        .value_kind:     hidden_block_count_y
      - .offset:         96
        .size:           4
        .value_kind:     hidden_block_count_z
      - .offset:         100
        .size:           2
        .value_kind:     hidden_group_size_x
      - .offset:         102
        .size:           2
        .value_kind:     hidden_group_size_y
      - .offset:         104
        .size:           2
        .value_kind:     hidden_group_size_z
      - .offset:         106
        .size:           2
        .value_kind:     hidden_remainder_x
      - .offset:         108
        .size:           2
        .value_kind:     hidden_remainder_y
      - .offset:         110
        .size:           2
        .value_kind:     hidden_remainder_z
      - .offset:         128
        .size:           8
        .value_kind:     hidden_global_offset_x
      - .offset:         136
        .size:           8
        .value_kind:     hidden_global_offset_y
      - .offset:         144
        .size:           8
        .value_kind:     hidden_global_offset_z
      - .offset:         152
        .size:           2
        .value_kind:     hidden_grid_dims
    .group_segment_fixed_size: 0
    .kernarg_segment_align: 8
    .kernarg_segment_size: 344
    .language:       OpenCL C
    .language_version:
      - 2
      - 0
    .max_flat_workgroup_size: 64
    .name:           _ZL36rocblas_hemvn_kernel_upper_block_sumILi64ElPK19rocblas_complex_numIdEPS1_S1_EviT1_lS5_lT2_lT0_lPT3_i
    .private_segment_fixed_size: 0
    .sgpr_count:     34
    .sgpr_spill_count: 0
    .symbol:         _ZL36rocblas_hemvn_kernel_upper_block_sumILi64ElPK19rocblas_complex_numIdEPS1_S1_EviT1_lS5_lT2_lT0_lPT3_i.kd
    .uniform_work_group_size: 1
    .uses_dynamic_stack: false
    .vgpr_count:     13
    .vgpr_spill_count: 0
    .wavefront_size: 64
  - .args:
      - .offset:         0
        .size:           4
        .value_kind:     by_value
      - .address_space:  global
        .offset:         8
        .size:           8
        .value_kind:     global_buffer
      - .offset:         16
        .size:           8
        .value_kind:     by_value
      - .address_space:  global
        .offset:         24
        .size:           8
        .value_kind:     global_buffer
      - .offset:         32
        .size:           8
        .value_kind:     by_value
      - .offset:         40
        .size:           4
        .value_kind:     by_value
      - .offset:         48
        .size:           8
        .value_kind:     by_value
      - .address_space:  global
        .offset:         56
        .size:           8
        .value_kind:     global_buffer
      - .offset:         64
        .size:           8
        .value_kind:     by_value
      - .offset:         72
        .size:           4
        .value_kind:     by_value
      - .offset:         80
        .size:           8
        .value_kind:     by_value
      - .address_space:  global
        .offset:         88
        .size:           8
        .value_kind:     global_buffer
      - .offset:         96
        .size:           8
        .value_kind:     by_value
      - .address_space:  global
        .offset:         104
        .size:           8
        .value_kind:     global_buffer
      - .offset:         112
        .size:           4
        .value_kind:     by_value
      - .offset:         120
        .size:           4
        .value_kind:     hidden_block_count_x
      - .offset:         124
        .size:           4
        .value_kind:     hidden_block_count_y
      - .offset:         128
        .size:           4
        .value_kind:     hidden_block_count_z
      - .offset:         132
        .size:           2
        .value_kind:     hidden_group_size_x
      - .offset:         134
        .size:           2
        .value_kind:     hidden_group_size_y
      - .offset:         136
        .size:           2
        .value_kind:     hidden_group_size_z
      - .offset:         138
        .size:           2
        .value_kind:     hidden_remainder_x
      - .offset:         140
        .size:           2
        .value_kind:     hidden_remainder_y
      - .offset:         142
        .size:           2
        .value_kind:     hidden_remainder_z
      - .offset:         160
        .size:           8
        .value_kind:     hidden_global_offset_x
      - .offset:         168
        .size:           8
        .value_kind:     hidden_global_offset_y
      - .offset:         176
        .size:           8
        .value_kind:     hidden_global_offset_z
      - .offset:         184
        .size:           2
        .value_kind:     hidden_grid_dims
    .group_segment_fixed_size: 19200
    .kernarg_segment_align: 8
    .kernarg_segment_size: 376
    .language:       OpenCL C
    .language_version:
      - 2
      - 0
    .max_flat_workgroup_size: 256
    .name:           _ZL26rocblas_hemvn_kernel_upperILb1ELi64ELi4ELi33ELi32ELi16EiPK19rocblas_complex_numIdES3_PS1_EviT6_lT7_lT5_lS6_lS7_lS5_lT8_i
    .private_segment_fixed_size: 0
    .sgpr_count:     48
    .sgpr_spill_count: 0
    .symbol:         _ZL26rocblas_hemvn_kernel_upperILb1ELi64ELi4ELi33ELi32ELi16EiPK19rocblas_complex_numIdES3_PS1_EviT6_lT7_lT5_lS6_lS7_lS5_lT8_i.kd
    .uniform_work_group_size: 1
    .uses_dynamic_stack: false
    .vgpr_count:     239
    .vgpr_spill_count: 0
    .wavefront_size: 64
  - .args:
      - .offset:         0
        .size:           4
        .value_kind:     by_value
      - .address_space:  global
        .offset:         8
        .size:           8
        .value_kind:     global_buffer
      - .offset:         16
        .size:           8
        .value_kind:     by_value
      - .address_space:  global
        .offset:         24
        .size:           8
        .value_kind:     global_buffer
      - .offset:         32
        .size:           8
        .value_kind:     by_value
      - .address_space:  global
        .offset:         40
        .size:           8
        .value_kind:     global_buffer
      - .offset:         48
        .size:           8
        .value_kind:     by_value
      - .offset:         56
        .size:           4
        .value_kind:     by_value
      - .offset:         64
        .size:           8
        .value_kind:     by_value
      - .address_space:  global
        .offset:         72
        .size:           8
        .value_kind:     global_buffer
      - .offset:         80
        .size:           4
        .value_kind:     by_value
      - .offset:         88
        .size:           4
        .value_kind:     hidden_block_count_x
      - .offset:         92
        .size:           4
        .value_kind:     hidden_block_count_y
      - .offset:         96
        .size:           4
        .value_kind:     hidden_block_count_z
      - .offset:         100
        .size:           2
        .value_kind:     hidden_group_size_x
      - .offset:         102
        .size:           2
        .value_kind:     hidden_group_size_y
      - .offset:         104
        .size:           2
        .value_kind:     hidden_group_size_z
      - .offset:         106
        .size:           2
        .value_kind:     hidden_remainder_x
      - .offset:         108
        .size:           2
        .value_kind:     hidden_remainder_y
      - .offset:         110
        .size:           2
        .value_kind:     hidden_remainder_z
      - .offset:         128
        .size:           8
        .value_kind:     hidden_global_offset_x
      - .offset:         136
        .size:           8
        .value_kind:     hidden_global_offset_y
      - .offset:         144
        .size:           8
        .value_kind:     hidden_global_offset_z
      - .offset:         152
        .size:           2
        .value_kind:     hidden_grid_dims
    .group_segment_fixed_size: 0
    .kernarg_segment_align: 8
    .kernarg_segment_size: 344
    .language:       OpenCL C
    .language_version:
      - 2
      - 0
    .max_flat_workgroup_size: 64
    .name:           _ZL36rocblas_hemvn_kernel_upper_block_sumILi64EiPK19rocblas_complex_numIdEPS1_S1_EviT1_lS5_lT2_lT0_lPT3_i
    .private_segment_fixed_size: 0
    .sgpr_count:     31
    .sgpr_spill_count: 0
    .symbol:         _ZL36rocblas_hemvn_kernel_upper_block_sumILi64EiPK19rocblas_complex_numIdEPS1_S1_EviT1_lS5_lT2_lT0_lPT3_i.kd
    .uniform_work_group_size: 1
    .uses_dynamic_stack: false
    .vgpr_count:     13
    .vgpr_spill_count: 0
    .wavefront_size: 64
  - .args:
      - .offset:         0
        .size:           4
        .value_kind:     by_value
      - .offset:         8
        .size:           16
        .value_kind:     by_value
      - .offset:         24
        .size:           8
        .value_kind:     by_value
      - .address_space:  global
        .offset:         32
        .size:           8
        .value_kind:     global_buffer
      - .offset:         40
        .size:           8
        .value_kind:     by_value
      - .offset:         48
        .size:           8
        .value_kind:     by_value
      - .offset:         56
        .size:           8
        .value_kind:     by_value
      - .address_space:  global
        .offset:         64
        .size:           8
        .value_kind:     global_buffer
      - .offset:         72
        .size:           8
        .value_kind:     by_value
      - .offset:         80
        .size:           8
        .value_kind:     by_value
      - .offset:         88
        .size:           8
        .value_kind:     by_value
      - .offset:         96
        .size:           16
        .value_kind:     by_value
      - .offset:         112
        .size:           8
        .value_kind:     by_value
      - .address_space:  global
        .offset:         120
        .size:           8
        .value_kind:     global_buffer
      - .offset:         128
        .size:           4
        .value_kind:     by_value
      - .offset:         136
        .size:           4
        .value_kind:     hidden_block_count_x
      - .offset:         140
        .size:           4
        .value_kind:     hidden_block_count_y
      - .offset:         144
        .size:           4
        .value_kind:     hidden_block_count_z
      - .offset:         148
        .size:           2
        .value_kind:     hidden_group_size_x
      - .offset:         150
        .size:           2
        .value_kind:     hidden_group_size_y
      - .offset:         152
        .size:           2
        .value_kind:     hidden_group_size_z
      - .offset:         154
        .size:           2
        .value_kind:     hidden_remainder_x
      - .offset:         156
        .size:           2
        .value_kind:     hidden_remainder_y
      - .offset:         158
        .size:           2
        .value_kind:     hidden_remainder_z
      - .offset:         176
        .size:           8
        .value_kind:     hidden_global_offset_x
      - .offset:         184
        .size:           8
        .value_kind:     hidden_global_offset_y
      - .offset:         192
        .size:           8
        .value_kind:     hidden_global_offset_z
      - .offset:         200
        .size:           2
        .value_kind:     hidden_grid_dims
    .group_segment_fixed_size: 19200
    .kernarg_segment_align: 8
    .kernarg_segment_size: 392
    .language:       OpenCL C
    .language_version:
      - 2
      - 0
    .max_flat_workgroup_size: 256
    .name:           _ZL26rocblas_hemvn_kernel_upperILb1ELi64ELi4ELi33ELi32ELi16El19rocblas_complex_numIdEPKS1_PS1_EviT6_lT7_lT5_lS6_lS7_lS5_lT8_i
    .private_segment_fixed_size: 0
    .sgpr_count:     46
    .sgpr_spill_count: 0
    .symbol:         _ZL26rocblas_hemvn_kernel_upperILb1ELi64ELi4ELi33ELi32ELi16El19rocblas_complex_numIdEPKS1_PS1_EviT6_lT7_lT5_lS6_lS7_lS5_lT8_i.kd
    .uniform_work_group_size: 1
    .uses_dynamic_stack: false
    .vgpr_count:     256
    .vgpr_spill_count: 0
    .wavefront_size: 64
  - .args:
      - .offset:         0
        .size:           4
        .value_kind:     by_value
      - .offset:         8
        .size:           16
        .value_kind:     by_value
      - .offset:         24
        .size:           8
        .value_kind:     by_value
      - .offset:         32
        .size:           16
        .value_kind:     by_value
      - .offset:         48
        .size:           8
        .value_kind:     by_value
      - .address_space:  global
        .offset:         56
        .size:           8
        .value_kind:     global_buffer
      - .offset:         64
        .size:           8
        .value_kind:     by_value
      - .offset:         72
        .size:           8
        .value_kind:     by_value
      - .offset:         80
        .size:           8
        .value_kind:     by_value
      - .address_space:  global
        .offset:         88
        .size:           8
        .value_kind:     global_buffer
      - .offset:         96
        .size:           4
        .value_kind:     by_value
      - .offset:         104
        .size:           4
        .value_kind:     hidden_block_count_x
      - .offset:         108
        .size:           4
        .value_kind:     hidden_block_count_y
      - .offset:         112
        .size:           4
        .value_kind:     hidden_block_count_z
      - .offset:         116
        .size:           2
        .value_kind:     hidden_group_size_x
      - .offset:         118
        .size:           2
        .value_kind:     hidden_group_size_y
      - .offset:         120
        .size:           2
        .value_kind:     hidden_group_size_z
      - .offset:         122
        .size:           2
        .value_kind:     hidden_remainder_x
      - .offset:         124
        .size:           2
        .value_kind:     hidden_remainder_y
      - .offset:         126
        .size:           2
        .value_kind:     hidden_remainder_z
      - .offset:         144
        .size:           8
        .value_kind:     hidden_global_offset_x
      - .offset:         152
        .size:           8
        .value_kind:     hidden_global_offset_y
      - .offset:         160
        .size:           8
        .value_kind:     hidden_global_offset_z
      - .offset:         168
        .size:           2
        .value_kind:     hidden_grid_dims
    .group_segment_fixed_size: 0
    .kernarg_segment_align: 8
    .kernarg_segment_size: 360
    .language:       OpenCL C
    .language_version:
      - 2
      - 0
    .max_flat_workgroup_size: 64
    .name:           _ZL36rocblas_hemvn_kernel_upper_block_sumILi64El19rocblas_complex_numIdEPS1_S1_EviT1_lS3_lT2_lT0_lPT3_i
    .private_segment_fixed_size: 0
    .sgpr_count:     34
    .sgpr_spill_count: 0
    .symbol:         _ZL36rocblas_hemvn_kernel_upper_block_sumILi64El19rocblas_complex_numIdEPS1_S1_EviT1_lS3_lT2_lT0_lPT3_i.kd
    .uniform_work_group_size: 1
    .uses_dynamic_stack: false
    .vgpr_count:     13
    .vgpr_spill_count: 0
    .wavefront_size: 64
  - .args:
      - .offset:         0
        .size:           4
        .value_kind:     by_value
      - .offset:         8
        .size:           16
        .value_kind:     by_value
      - .offset:         24
        .size:           8
        .value_kind:     by_value
      - .address_space:  global
        .offset:         32
        .size:           8
        .value_kind:     global_buffer
      - .offset:         40
        .size:           8
        .value_kind:     by_value
      - .offset:         48
        .size:           4
        .value_kind:     by_value
      - .offset:         56
        .size:           8
        .value_kind:     by_value
      - .address_space:  global
        .offset:         64
        .size:           8
        .value_kind:     global_buffer
      - .offset:         72
        .size:           8
        .value_kind:     by_value
      - .offset:         80
        .size:           4
        .value_kind:     by_value
      - .offset:         88
        .size:           8
        .value_kind:     by_value
      - .offset:         96
        .size:           16
        .value_kind:     by_value
      - .offset:         112
        .size:           8
        .value_kind:     by_value
      - .address_space:  global
        .offset:         120
        .size:           8
        .value_kind:     global_buffer
      - .offset:         128
        .size:           4
        .value_kind:     by_value
      - .offset:         136
        .size:           4
        .value_kind:     hidden_block_count_x
      - .offset:         140
        .size:           4
        .value_kind:     hidden_block_count_y
      - .offset:         144
        .size:           4
        .value_kind:     hidden_block_count_z
      - .offset:         148
        .size:           2
        .value_kind:     hidden_group_size_x
      - .offset:         150
        .size:           2
        .value_kind:     hidden_group_size_y
      - .offset:         152
        .size:           2
        .value_kind:     hidden_group_size_z
      - .offset:         154
        .size:           2
        .value_kind:     hidden_remainder_x
      - .offset:         156
        .size:           2
        .value_kind:     hidden_remainder_y
      - .offset:         158
        .size:           2
        .value_kind:     hidden_remainder_z
      - .offset:         176
        .size:           8
        .value_kind:     hidden_global_offset_x
      - .offset:         184
        .size:           8
        .value_kind:     hidden_global_offset_y
      - .offset:         192
        .size:           8
        .value_kind:     hidden_global_offset_z
      - .offset:         200
        .size:           2
        .value_kind:     hidden_grid_dims
    .group_segment_fixed_size: 19200
    .kernarg_segment_align: 8
    .kernarg_segment_size: 392
    .language:       OpenCL C
    .language_version:
      - 2
      - 0
    .max_flat_workgroup_size: 256
    .name:           _ZL26rocblas_hemvn_kernel_upperILb1ELi64ELi4ELi33ELi32ELi16Ei19rocblas_complex_numIdEPKS1_PS1_EviT6_lT7_lT5_lS6_lS7_lS5_lT8_i
    .private_segment_fixed_size: 0
    .sgpr_count:     48
    .sgpr_spill_count: 0
    .symbol:         _ZL26rocblas_hemvn_kernel_upperILb1ELi64ELi4ELi33ELi32ELi16Ei19rocblas_complex_numIdEPKS1_PS1_EviT6_lT7_lT5_lS6_lS7_lS5_lT8_i.kd
    .uniform_work_group_size: 1
    .uses_dynamic_stack: false
    .vgpr_count:     239
    .vgpr_spill_count: 0
    .wavefront_size: 64
  - .args:
      - .offset:         0
        .size:           4
        .value_kind:     by_value
      - .offset:         8
        .size:           16
        .value_kind:     by_value
      - .offset:         24
        .size:           8
        .value_kind:     by_value
      - .offset:         32
        .size:           16
        .value_kind:     by_value
      - .offset:         48
        .size:           8
        .value_kind:     by_value
      - .address_space:  global
        .offset:         56
        .size:           8
        .value_kind:     global_buffer
      - .offset:         64
        .size:           8
        .value_kind:     by_value
      - .offset:         72
        .size:           4
        .value_kind:     by_value
      - .offset:         80
        .size:           8
        .value_kind:     by_value
      - .address_space:  global
        .offset:         88
        .size:           8
        .value_kind:     global_buffer
      - .offset:         96
        .size:           4
        .value_kind:     by_value
      - .offset:         104
        .size:           4
        .value_kind:     hidden_block_count_x
      - .offset:         108
        .size:           4
        .value_kind:     hidden_block_count_y
      - .offset:         112
        .size:           4
        .value_kind:     hidden_block_count_z
      - .offset:         116
        .size:           2
        .value_kind:     hidden_group_size_x
      - .offset:         118
        .size:           2
        .value_kind:     hidden_group_size_y
      - .offset:         120
        .size:           2
        .value_kind:     hidden_group_size_z
      - .offset:         122
        .size:           2
        .value_kind:     hidden_remainder_x
      - .offset:         124
        .size:           2
        .value_kind:     hidden_remainder_y
      - .offset:         126
        .size:           2
        .value_kind:     hidden_remainder_z
      - .offset:         144
        .size:           8
        .value_kind:     hidden_global_offset_x
      - .offset:         152
        .size:           8
        .value_kind:     hidden_global_offset_y
      - .offset:         160
        .size:           8
        .value_kind:     hidden_global_offset_z
      - .offset:         168
        .size:           2
        .value_kind:     hidden_grid_dims
    .group_segment_fixed_size: 0
    .kernarg_segment_align: 8
    .kernarg_segment_size: 360
    .language:       OpenCL C
    .language_version:
      - 2
      - 0
    .max_flat_workgroup_size: 64
    .name:           _ZL36rocblas_hemvn_kernel_upper_block_sumILi64Ei19rocblas_complex_numIdEPS1_S1_EviT1_lS3_lT2_lT0_lPT3_i
    .private_segment_fixed_size: 0
    .sgpr_count:     31
    .sgpr_spill_count: 0
    .symbol:         _ZL36rocblas_hemvn_kernel_upper_block_sumILi64Ei19rocblas_complex_numIdEPS1_S1_EviT1_lS3_lT2_lT0_lPT3_i.kd
    .uniform_work_group_size: 1
    .uses_dynamic_stack: false
    .vgpr_count:     13
    .vgpr_spill_count: 0
    .wavefront_size: 64
  - .args:
      - .offset:         0
        .size:           4
        .value_kind:     by_value
      - .address_space:  global
        .offset:         8
        .size:           8
        .value_kind:     global_buffer
      - .offset:         16
        .size:           8
        .value_kind:     by_value
      - .address_space:  global
        .offset:         24
        .size:           8
        .value_kind:     global_buffer
      - .offset:         32
        .size:           8
        .value_kind:     by_value
      - .offset:         40
        .size:           8
        .value_kind:     by_value
      - .offset:         48
        .size:           8
        .value_kind:     by_value
      - .address_space:  global
        .offset:         56
        .size:           8
        .value_kind:     global_buffer
      - .offset:         64
        .size:           8
        .value_kind:     by_value
      - .offset:         72
        .size:           8
        .value_kind:     by_value
      - .offset:         80
        .size:           8
        .value_kind:     by_value
      - .address_space:  global
        .offset:         88
        .size:           8
        .value_kind:     global_buffer
      - .offset:         96
        .size:           8
        .value_kind:     by_value
      - .address_space:  global
        .offset:         104
        .size:           8
        .value_kind:     global_buffer
      - .offset:         112
        .size:           4
        .value_kind:     by_value
      - .offset:         120
        .size:           4
        .value_kind:     hidden_block_count_x
      - .offset:         124
        .size:           4
        .value_kind:     hidden_block_count_y
      - .offset:         128
        .size:           4
        .value_kind:     hidden_block_count_z
      - .offset:         132
        .size:           2
        .value_kind:     hidden_group_size_x
      - .offset:         134
        .size:           2
        .value_kind:     hidden_group_size_y
      - .offset:         136
        .size:           2
        .value_kind:     hidden_group_size_z
      - .offset:         138
        .size:           2
        .value_kind:     hidden_remainder_x
      - .offset:         140
        .size:           2
        .value_kind:     hidden_remainder_y
      - .offset:         142
        .size:           2
        .value_kind:     hidden_remainder_z
      - .offset:         160
        .size:           8
        .value_kind:     hidden_global_offset_x
      - .offset:         168
        .size:           8
        .value_kind:     hidden_global_offset_y
      - .offset:         176
        .size:           8
        .value_kind:     hidden_global_offset_z
      - .offset:         184
        .size:           2
        .value_kind:     hidden_grid_dims
    .group_segment_fixed_size: 19200
    .kernarg_segment_align: 8
    .kernarg_segment_size: 376
    .language:       OpenCL C
    .language_version:
      - 2
      - 0
    .max_flat_workgroup_size: 256
    .name:           _ZL26rocblas_hemvn_kernel_lowerILb1ELi64ELi4ELi33ELi32ELi16ElPK19rocblas_complex_numIdES3_PS1_EviT6_lT7_lT5_lS6_lS7_lS5_lT8_i
    .private_segment_fixed_size: 0
    .sgpr_count:     48
    .sgpr_spill_count: 0
    .symbol:         _ZL26rocblas_hemvn_kernel_lowerILb1ELi64ELi4ELi33ELi32ELi16ElPK19rocblas_complex_numIdES3_PS1_EviT6_lT7_lT5_lS6_lS7_lS5_lT8_i.kd
    .uniform_work_group_size: 1
    .uses_dynamic_stack: false
    .vgpr_count:     215
    .vgpr_spill_count: 0
    .wavefront_size: 64
  - .args:
      - .offset:         0
        .size:           4
        .value_kind:     by_value
      - .address_space:  global
        .offset:         8
        .size:           8
        .value_kind:     global_buffer
      - .offset:         16
        .size:           8
        .value_kind:     by_value
      - .address_space:  global
        .offset:         24
        .size:           8
        .value_kind:     global_buffer
      - .offset:         32
        .size:           8
        .value_kind:     by_value
      - .address_space:  global
        .offset:         40
        .size:           8
        .value_kind:     global_buffer
      - .offset:         48
        .size:           8
        .value_kind:     by_value
      - .offset:         56
        .size:           8
        .value_kind:     by_value
      - .offset:         64
        .size:           8
        .value_kind:     by_value
      - .actual_access:  read_only
        .address_space:  global
        .offset:         72
        .size:           8
        .value_kind:     global_buffer
      - .offset:         80
        .size:           4
        .value_kind:     by_value
      - .offset:         88
        .size:           4
        .value_kind:     hidden_block_count_x
      - .offset:         92
        .size:           4
        .value_kind:     hidden_block_count_y
      - .offset:         96
        .size:           4
        .value_kind:     hidden_block_count_z
      - .offset:         100
        .size:           2
        .value_kind:     hidden_group_size_x
      - .offset:         102
        .size:           2
        .value_kind:     hidden_group_size_y
      - .offset:         104
        .size:           2
        .value_kind:     hidden_group_size_z
      - .offset:         106
        .size:           2
        .value_kind:     hidden_remainder_x
      - .offset:         108
        .size:           2
        .value_kind:     hidden_remainder_y
      - .offset:         110
        .size:           2
        .value_kind:     hidden_remainder_z
      - .offset:         128
        .size:           8
        .value_kind:     hidden_global_offset_x
      - .offset:         136
        .size:           8
        .value_kind:     hidden_global_offset_y
      - .offset:         144
        .size:           8
        .value_kind:     hidden_global_offset_z
      - .offset:         152
        .size:           2
        .value_kind:     hidden_grid_dims
    .group_segment_fixed_size: 0
    .kernarg_segment_align: 8
    .kernarg_segment_size: 344
    .language:       OpenCL C
    .language_version:
      - 2
      - 0
    .max_flat_workgroup_size: 64
    .name:           _ZL36rocblas_hemvn_kernel_lower_block_sumILi64ElPK19rocblas_complex_numIdEPS1_S1_EviT1_lS5_lT2_lT0_lPT3_i
    .private_segment_fixed_size: 0
    .sgpr_count:     32
    .sgpr_spill_count: 0
    .symbol:         _ZL36rocblas_hemvn_kernel_lower_block_sumILi64ElPK19rocblas_complex_numIdEPS1_S1_EviT1_lS5_lT2_lT0_lPT3_i.kd
    .uniform_work_group_size: 1
    .uses_dynamic_stack: false
    .vgpr_count:     12
    .vgpr_spill_count: 0
    .wavefront_size: 64
  - .args:
      - .offset:         0
        .size:           4
        .value_kind:     by_value
      - .address_space:  global
        .offset:         8
        .size:           8
        .value_kind:     global_buffer
      - .offset:         16
        .size:           8
        .value_kind:     by_value
      - .address_space:  global
        .offset:         24
        .size:           8
        .value_kind:     global_buffer
      - .offset:         32
        .size:           8
        .value_kind:     by_value
      - .offset:         40
        .size:           4
        .value_kind:     by_value
      - .offset:         48
        .size:           8
        .value_kind:     by_value
      - .address_space:  global
        .offset:         56
        .size:           8
        .value_kind:     global_buffer
      - .offset:         64
        .size:           8
        .value_kind:     by_value
      - .offset:         72
        .size:           4
        .value_kind:     by_value
      - .offset:         80
        .size:           8
        .value_kind:     by_value
      - .address_space:  global
        .offset:         88
        .size:           8
        .value_kind:     global_buffer
      - .offset:         96
        .size:           8
        .value_kind:     by_value
      - .address_space:  global
        .offset:         104
        .size:           8
        .value_kind:     global_buffer
      - .offset:         112
        .size:           4
        .value_kind:     by_value
      - .offset:         120
        .size:           4
        .value_kind:     hidden_block_count_x
      - .offset:         124
        .size:           4
        .value_kind:     hidden_block_count_y
      - .offset:         128
        .size:           4
        .value_kind:     hidden_block_count_z
      - .offset:         132
        .size:           2
        .value_kind:     hidden_group_size_x
      - .offset:         134
        .size:           2
        .value_kind:     hidden_group_size_y
      - .offset:         136
        .size:           2
        .value_kind:     hidden_group_size_z
      - .offset:         138
        .size:           2
        .value_kind:     hidden_remainder_x
      - .offset:         140
        .size:           2
        .value_kind:     hidden_remainder_y
      - .offset:         142
        .size:           2
        .value_kind:     hidden_remainder_z
      - .offset:         160
        .size:           8
        .value_kind:     hidden_global_offset_x
      - .offset:         168
        .size:           8
        .value_kind:     hidden_global_offset_y
      - .offset:         176
        .size:           8
        .value_kind:     hidden_global_offset_z
      - .offset:         184
        .size:           2
        .value_kind:     hidden_grid_dims
    .group_segment_fixed_size: 19200
    .kernarg_segment_align: 8
    .kernarg_segment_size: 376
    .language:       OpenCL C
    .language_version:
      - 2
      - 0
    .max_flat_workgroup_size: 256
    .name:           _ZL26rocblas_hemvn_kernel_lowerILb1ELi64ELi4ELi33ELi32ELi16EiPK19rocblas_complex_numIdES3_PS1_EviT6_lT7_lT5_lS6_lS7_lS5_lT8_i
    .private_segment_fixed_size: 0
    .sgpr_count:     50
    .sgpr_spill_count: 0
    .symbol:         _ZL26rocblas_hemvn_kernel_lowerILb1ELi64ELi4ELi33ELi32ELi16EiPK19rocblas_complex_numIdES3_PS1_EviT6_lT7_lT5_lS6_lS7_lS5_lT8_i.kd
    .uniform_work_group_size: 1
    .uses_dynamic_stack: false
    .vgpr_count:     213
    .vgpr_spill_count: 0
    .wavefront_size: 64
  - .args:
      - .offset:         0
        .size:           4
        .value_kind:     by_value
      - .address_space:  global
        .offset:         8
        .size:           8
        .value_kind:     global_buffer
      - .offset:         16
        .size:           8
        .value_kind:     by_value
      - .address_space:  global
        .offset:         24
        .size:           8
        .value_kind:     global_buffer
      - .offset:         32
        .size:           8
        .value_kind:     by_value
      - .address_space:  global
        .offset:         40
        .size:           8
        .value_kind:     global_buffer
      - .offset:         48
        .size:           8
        .value_kind:     by_value
      - .offset:         56
        .size:           4
        .value_kind:     by_value
      - .offset:         64
        .size:           8
        .value_kind:     by_value
      - .actual_access:  read_only
        .address_space:  global
        .offset:         72
        .size:           8
        .value_kind:     global_buffer
      - .offset:         80
        .size:           4
        .value_kind:     by_value
      - .offset:         88
        .size:           4
        .value_kind:     hidden_block_count_x
      - .offset:         92
        .size:           4
        .value_kind:     hidden_block_count_y
      - .offset:         96
        .size:           4
        .value_kind:     hidden_block_count_z
      - .offset:         100
        .size:           2
        .value_kind:     hidden_group_size_x
      - .offset:         102
        .size:           2
        .value_kind:     hidden_group_size_y
      - .offset:         104
        .size:           2
        .value_kind:     hidden_group_size_z
      - .offset:         106
        .size:           2
        .value_kind:     hidden_remainder_x
      - .offset:         108
        .size:           2
        .value_kind:     hidden_remainder_y
      - .offset:         110
        .size:           2
        .value_kind:     hidden_remainder_z
      - .offset:         128
        .size:           8
        .value_kind:     hidden_global_offset_x
      - .offset:         136
        .size:           8
        .value_kind:     hidden_global_offset_y
      - .offset:         144
        .size:           8
        .value_kind:     hidden_global_offset_z
      - .offset:         152
        .size:           2
        .value_kind:     hidden_grid_dims
    .group_segment_fixed_size: 0
    .kernarg_segment_align: 8
    .kernarg_segment_size: 344
    .language:       OpenCL C
    .language_version:
      - 2
      - 0
    .max_flat_workgroup_size: 64
    .name:           _ZL36rocblas_hemvn_kernel_lower_block_sumILi64EiPK19rocblas_complex_numIdEPS1_S1_EviT1_lS5_lT2_lT0_lPT3_i
    .private_segment_fixed_size: 0
    .sgpr_count:     29
    .sgpr_spill_count: 0
    .symbol:         _ZL36rocblas_hemvn_kernel_lower_block_sumILi64EiPK19rocblas_complex_numIdEPS1_S1_EviT1_lS5_lT2_lT0_lPT3_i.kd
    .uniform_work_group_size: 1
    .uses_dynamic_stack: false
    .vgpr_count:     12
    .vgpr_spill_count: 0
    .wavefront_size: 64
  - .args:
      - .offset:         0
        .size:           4
        .value_kind:     by_value
      - .offset:         8
        .size:           16
        .value_kind:     by_value
      - .offset:         24
        .size:           8
        .value_kind:     by_value
      - .address_space:  global
        .offset:         32
        .size:           8
        .value_kind:     global_buffer
      - .offset:         40
        .size:           8
        .value_kind:     by_value
      - .offset:         48
        .size:           8
        .value_kind:     by_value
      - .offset:         56
        .size:           8
        .value_kind:     by_value
      - .address_space:  global
        .offset:         64
        .size:           8
        .value_kind:     global_buffer
      - .offset:         72
        .size:           8
        .value_kind:     by_value
      - .offset:         80
        .size:           8
        .value_kind:     by_value
      - .offset:         88
        .size:           8
        .value_kind:     by_value
      - .offset:         96
        .size:           16
        .value_kind:     by_value
      - .offset:         112
        .size:           8
        .value_kind:     by_value
      - .address_space:  global
        .offset:         120
        .size:           8
        .value_kind:     global_buffer
      - .offset:         128
        .size:           4
        .value_kind:     by_value
      - .offset:         136
        .size:           4
        .value_kind:     hidden_block_count_x
      - .offset:         140
        .size:           4
        .value_kind:     hidden_block_count_y
      - .offset:         144
        .size:           4
        .value_kind:     hidden_block_count_z
      - .offset:         148
        .size:           2
        .value_kind:     hidden_group_size_x
      - .offset:         150
        .size:           2
        .value_kind:     hidden_group_size_y
      - .offset:         152
        .size:           2
        .value_kind:     hidden_group_size_z
      - .offset:         154
        .size:           2
        .value_kind:     hidden_remainder_x
      - .offset:         156
        .size:           2
        .value_kind:     hidden_remainder_y
      - .offset:         158
        .size:           2
        .value_kind:     hidden_remainder_z
      - .offset:         176
        .size:           8
        .value_kind:     hidden_global_offset_x
      - .offset:         184
        .size:           8
        .value_kind:     hidden_global_offset_y
      - .offset:         192
        .size:           8
        .value_kind:     hidden_global_offset_z
      - .offset:         200
        .size:           2
        .value_kind:     hidden_grid_dims
    .group_segment_fixed_size: 19200
    .kernarg_segment_align: 8
    .kernarg_segment_size: 392
    .language:       OpenCL C
    .language_version:
      - 2
      - 0
    .max_flat_workgroup_size: 256
    .name:           _ZL26rocblas_hemvn_kernel_lowerILb1ELi64ELi4ELi33ELi32ELi16El19rocblas_complex_numIdEPKS1_PS1_EviT6_lT7_lT5_lS6_lS7_lS5_lT8_i
    .private_segment_fixed_size: 0
    .sgpr_count:     57
    .sgpr_spill_count: 0
    .symbol:         _ZL26rocblas_hemvn_kernel_lowerILb1ELi64ELi4ELi33ELi32ELi16El19rocblas_complex_numIdEPKS1_PS1_EviT6_lT7_lT5_lS6_lS7_lS5_lT8_i.kd
    .uniform_work_group_size: 1
    .uses_dynamic_stack: false
    .vgpr_count:     215
    .vgpr_spill_count: 0
    .wavefront_size: 64
  - .args:
      - .offset:         0
        .size:           4
        .value_kind:     by_value
      - .offset:         8
        .size:           16
        .value_kind:     by_value
      - .offset:         24
        .size:           8
        .value_kind:     by_value
      - .offset:         32
        .size:           16
        .value_kind:     by_value
      - .offset:         48
        .size:           8
        .value_kind:     by_value
      - .address_space:  global
        .offset:         56
        .size:           8
        .value_kind:     global_buffer
      - .offset:         64
        .size:           8
        .value_kind:     by_value
      - .offset:         72
        .size:           8
        .value_kind:     by_value
      - .offset:         80
        .size:           8
        .value_kind:     by_value
      - .actual_access:  read_only
        .address_space:  global
        .offset:         88
        .size:           8
        .value_kind:     global_buffer
      - .offset:         96
        .size:           4
        .value_kind:     by_value
      - .offset:         104
        .size:           4
        .value_kind:     hidden_block_count_x
      - .offset:         108
        .size:           4
        .value_kind:     hidden_block_count_y
      - .offset:         112
        .size:           4
        .value_kind:     hidden_block_count_z
      - .offset:         116
        .size:           2
        .value_kind:     hidden_group_size_x
      - .offset:         118
        .size:           2
        .value_kind:     hidden_group_size_y
      - .offset:         120
        .size:           2
        .value_kind:     hidden_group_size_z
      - .offset:         122
        .size:           2
        .value_kind:     hidden_remainder_x
      - .offset:         124
        .size:           2
        .value_kind:     hidden_remainder_y
      - .offset:         126
        .size:           2
        .value_kind:     hidden_remainder_z
      - .offset:         144
        .size:           8
        .value_kind:     hidden_global_offset_x
      - .offset:         152
        .size:           8
        .value_kind:     hidden_global_offset_y
      - .offset:         160
        .size:           8
        .value_kind:     hidden_global_offset_z
      - .offset:         168
        .size:           2
        .value_kind:     hidden_grid_dims
    .group_segment_fixed_size: 0
    .kernarg_segment_align: 8
    .kernarg_segment_size: 360
    .language:       OpenCL C
    .language_version:
      - 2
      - 0
    .max_flat_workgroup_size: 64
    .name:           _ZL36rocblas_hemvn_kernel_lower_block_sumILi64El19rocblas_complex_numIdEPS1_S1_EviT1_lS3_lT2_lT0_lPT3_i
    .private_segment_fixed_size: 0
    .sgpr_count:     32
    .sgpr_spill_count: 0
    .symbol:         _ZL36rocblas_hemvn_kernel_lower_block_sumILi64El19rocblas_complex_numIdEPS1_S1_EviT1_lS3_lT2_lT0_lPT3_i.kd
    .uniform_work_group_size: 1
    .uses_dynamic_stack: false
    .vgpr_count:     12
    .vgpr_spill_count: 0
    .wavefront_size: 64
  - .args:
      - .offset:         0
        .size:           4
        .value_kind:     by_value
      - .offset:         8
        .size:           16
        .value_kind:     by_value
      - .offset:         24
        .size:           8
        .value_kind:     by_value
      - .address_space:  global
        .offset:         32
        .size:           8
        .value_kind:     global_buffer
      - .offset:         40
        .size:           8
        .value_kind:     by_value
      - .offset:         48
        .size:           4
        .value_kind:     by_value
      - .offset:         56
        .size:           8
        .value_kind:     by_value
      - .address_space:  global
        .offset:         64
        .size:           8
        .value_kind:     global_buffer
      - .offset:         72
        .size:           8
        .value_kind:     by_value
      - .offset:         80
        .size:           4
        .value_kind:     by_value
      - .offset:         88
        .size:           8
        .value_kind:     by_value
      - .offset:         96
        .size:           16
        .value_kind:     by_value
      - .offset:         112
        .size:           8
        .value_kind:     by_value
      - .address_space:  global
        .offset:         120
        .size:           8
        .value_kind:     global_buffer
      - .offset:         128
        .size:           4
        .value_kind:     by_value
      - .offset:         136
        .size:           4
        .value_kind:     hidden_block_count_x
      - .offset:         140
        .size:           4
        .value_kind:     hidden_block_count_y
      - .offset:         144
        .size:           4
        .value_kind:     hidden_block_count_z
      - .offset:         148
        .size:           2
        .value_kind:     hidden_group_size_x
      - .offset:         150
        .size:           2
        .value_kind:     hidden_group_size_y
      - .offset:         152
        .size:           2
        .value_kind:     hidden_group_size_z
      - .offset:         154
        .size:           2
        .value_kind:     hidden_remainder_x
      - .offset:         156
        .size:           2
        .value_kind:     hidden_remainder_y
      - .offset:         158
        .size:           2
        .value_kind:     hidden_remainder_z
      - .offset:         176
        .size:           8
        .value_kind:     hidden_global_offset_x
      - .offset:         184
        .size:           8
        .value_kind:     hidden_global_offset_y
      - .offset:         192
        .size:           8
        .value_kind:     hidden_global_offset_z
      - .offset:         200
        .size:           2
        .value_kind:     hidden_grid_dims
    .group_segment_fixed_size: 19200
    .kernarg_segment_align: 8
    .kernarg_segment_size: 392
    .language:       OpenCL C
    .language_version:
      - 2
      - 0
    .max_flat_workgroup_size: 256
    .name:           _ZL26rocblas_hemvn_kernel_lowerILb1ELi64ELi4ELi33ELi32ELi16Ei19rocblas_complex_numIdEPKS1_PS1_EviT6_lT7_lT5_lS6_lS7_lS5_lT8_i
    .private_segment_fixed_size: 0
    .sgpr_count:     50
    .sgpr_spill_count: 0
    .symbol:         _ZL26rocblas_hemvn_kernel_lowerILb1ELi64ELi4ELi33ELi32ELi16Ei19rocblas_complex_numIdEPKS1_PS1_EviT6_lT7_lT5_lS6_lS7_lS5_lT8_i.kd
    .uniform_work_group_size: 1
    .uses_dynamic_stack: false
    .vgpr_count:     213
    .vgpr_spill_count: 0
    .wavefront_size: 64
  - .args:
      - .offset:         0
        .size:           4
        .value_kind:     by_value
      - .offset:         8
        .size:           16
        .value_kind:     by_value
      - .offset:         24
        .size:           8
        .value_kind:     by_value
      - .offset:         32
        .size:           16
        .value_kind:     by_value
      - .offset:         48
        .size:           8
        .value_kind:     by_value
      - .address_space:  global
        .offset:         56
        .size:           8
        .value_kind:     global_buffer
      - .offset:         64
        .size:           8
        .value_kind:     by_value
      - .offset:         72
        .size:           4
        .value_kind:     by_value
      - .offset:         80
        .size:           8
        .value_kind:     by_value
      - .actual_access:  read_only
        .address_space:  global
        .offset:         88
        .size:           8
        .value_kind:     global_buffer
      - .offset:         96
        .size:           4
        .value_kind:     by_value
      - .offset:         104
        .size:           4
        .value_kind:     hidden_block_count_x
      - .offset:         108
        .size:           4
        .value_kind:     hidden_block_count_y
      - .offset:         112
        .size:           4
        .value_kind:     hidden_block_count_z
      - .offset:         116
        .size:           2
        .value_kind:     hidden_group_size_x
      - .offset:         118
        .size:           2
        .value_kind:     hidden_group_size_y
      - .offset:         120
        .size:           2
        .value_kind:     hidden_group_size_z
      - .offset:         122
        .size:           2
        .value_kind:     hidden_remainder_x
      - .offset:         124
        .size:           2
        .value_kind:     hidden_remainder_y
      - .offset:         126
        .size:           2
        .value_kind:     hidden_remainder_z
      - .offset:         144
        .size:           8
        .value_kind:     hidden_global_offset_x
      - .offset:         152
        .size:           8
        .value_kind:     hidden_global_offset_y
      - .offset:         160
        .size:           8
        .value_kind:     hidden_global_offset_z
      - .offset:         168
        .size:           2
        .value_kind:     hidden_grid_dims
    .group_segment_fixed_size: 0
    .kernarg_segment_align: 8
    .kernarg_segment_size: 360
    .language:       OpenCL C
    .language_version:
      - 2
      - 0
    .max_flat_workgroup_size: 64
    .name:           _ZL36rocblas_hemvn_kernel_lower_block_sumILi64Ei19rocblas_complex_numIdEPS1_S1_EviT1_lS3_lT2_lT0_lPT3_i
    .private_segment_fixed_size: 0
    .sgpr_count:     29
    .sgpr_spill_count: 0
    .symbol:         _ZL36rocblas_hemvn_kernel_lower_block_sumILi64Ei19rocblas_complex_numIdEPS1_S1_EviT1_lS3_lT2_lT0_lPT3_i.kd
    .uniform_work_group_size: 1
    .uses_dynamic_stack: false
    .vgpr_count:     12
    .vgpr_spill_count: 0
    .wavefront_size: 64
  - .args:
      - .offset:         0
        .size:           4
        .value_kind:     by_value
      - .address_space:  global
        .offset:         8
        .size:           8
        .value_kind:     global_buffer
      - .offset:         16
        .size:           8
        .value_kind:     by_value
      - .address_space:  global
        .offset:         24
        .size:           8
        .value_kind:     global_buffer
      - .offset:         32
        .size:           8
        .value_kind:     by_value
      - .offset:         40
        .size:           8
        .value_kind:     by_value
      - .offset:         48
        .size:           8
        .value_kind:     by_value
      - .address_space:  global
        .offset:         56
        .size:           8
        .value_kind:     global_buffer
      - .offset:         64
        .size:           8
        .value_kind:     by_value
      - .offset:         72
        .size:           8
        .value_kind:     by_value
      - .offset:         80
        .size:           8
        .value_kind:     by_value
      - .address_space:  global
        .offset:         88
        .size:           8
        .value_kind:     global_buffer
      - .offset:         96
        .size:           8
        .value_kind:     by_value
      - .address_space:  global
        .offset:         104
        .size:           8
        .value_kind:     global_buffer
      - .offset:         112
        .size:           4
        .value_kind:     by_value
      - .offset:         120
        .size:           4
        .value_kind:     hidden_block_count_x
      - .offset:         124
        .size:           4
        .value_kind:     hidden_block_count_y
      - .offset:         128
        .size:           4
        .value_kind:     hidden_block_count_z
      - .offset:         132
        .size:           2
        .value_kind:     hidden_group_size_x
      - .offset:         134
        .size:           2
        .value_kind:     hidden_group_size_y
      - .offset:         136
        .size:           2
        .value_kind:     hidden_group_size_z
      - .offset:         138
        .size:           2
        .value_kind:     hidden_remainder_x
      - .offset:         140
        .size:           2
        .value_kind:     hidden_remainder_y
      - .offset:         142
        .size:           2
        .value_kind:     hidden_remainder_z
      - .offset:         160
        .size:           8
        .value_kind:     hidden_global_offset_x
      - .offset:         168
        .size:           8
        .value_kind:     hidden_global_offset_y
      - .offset:         176
        .size:           8
        .value_kind:     hidden_global_offset_z
      - .offset:         184
        .size:           2
        .value_kind:     hidden_grid_dims
    .group_segment_fixed_size: 9600
    .kernarg_segment_align: 8
    .kernarg_segment_size: 376
    .language:       OpenCL C
    .language_version:
      - 2
      - 0
    .max_flat_workgroup_size: 256
    .name:           _ZL26rocblas_hemvn_kernel_upperILb1ELi64ELi4ELi33ELi32ELi16ElPK19rocblas_complex_numIfEPKS3_PS1_EviT6_lT7_lT5_lS8_lS9_lS7_lT8_i
    .private_segment_fixed_size: 0
    .sgpr_count:     46
    .sgpr_spill_count: 0
    .symbol:         _ZL26rocblas_hemvn_kernel_upperILb1ELi64ELi4ELi33ELi32ELi16ElPK19rocblas_complex_numIfEPKS3_PS1_EviT6_lT7_lT5_lS8_lS9_lS7_lT8_i.kd
    .uniform_work_group_size: 1
    .uses_dynamic_stack: false
    .vgpr_count:     146
    .vgpr_spill_count: 0
    .wavefront_size: 64
  - .args:
      - .offset:         0
        .size:           4
        .value_kind:     by_value
      - .address_space:  global
        .offset:         8
        .size:           8
        .value_kind:     global_buffer
      - .offset:         16
        .size:           8
        .value_kind:     by_value
      - .address_space:  global
        .offset:         24
        .size:           8
        .value_kind:     global_buffer
      - .offset:         32
        .size:           8
        .value_kind:     by_value
      - .actual_access:  read_only
        .address_space:  global
        .offset:         40
        .size:           8
        .value_kind:     global_buffer
      - .offset:         48
        .size:           8
        .value_kind:     by_value
      - .offset:         56
        .size:           8
        .value_kind:     by_value
      - .offset:         64
        .size:           8
        .value_kind:     by_value
      - .address_space:  global
        .offset:         72
        .size:           8
        .value_kind:     global_buffer
      - .offset:         80
        .size:           4
        .value_kind:     by_value
      - .offset:         88
        .size:           4
        .value_kind:     hidden_block_count_x
      - .offset:         92
        .size:           4
        .value_kind:     hidden_block_count_y
      - .offset:         96
        .size:           4
        .value_kind:     hidden_block_count_z
      - .offset:         100
        .size:           2
        .value_kind:     hidden_group_size_x
      - .offset:         102
        .size:           2
        .value_kind:     hidden_group_size_y
      - .offset:         104
        .size:           2
        .value_kind:     hidden_group_size_z
      - .offset:         106
        .size:           2
        .value_kind:     hidden_remainder_x
      - .offset:         108
        .size:           2
        .value_kind:     hidden_remainder_y
      - .offset:         110
        .size:           2
        .value_kind:     hidden_remainder_z
      - .offset:         128
        .size:           8
        .value_kind:     hidden_global_offset_x
      - .offset:         136
        .size:           8
        .value_kind:     hidden_global_offset_y
      - .offset:         144
        .size:           8
        .value_kind:     hidden_global_offset_z
      - .offset:         152
        .size:           2
        .value_kind:     hidden_grid_dims
    .group_segment_fixed_size: 0
    .kernarg_segment_align: 8
    .kernarg_segment_size: 344
    .language:       OpenCL C
    .language_version:
      - 2
      - 0
    .max_flat_workgroup_size: 64
    .name:           _ZL36rocblas_hemvn_kernel_upper_block_sumILi64ElPK19rocblas_complex_numIfEPKPS1_S1_EviT1_lS7_lT2_lT0_lPT3_i
    .private_segment_fixed_size: 0
    .sgpr_count:     28
    .sgpr_spill_count: 0
    .symbol:         _ZL36rocblas_hemvn_kernel_upper_block_sumILi64ElPK19rocblas_complex_numIfEPKPS1_S1_EviT1_lS7_lT2_lT0_lPT3_i.kd
    .uniform_work_group_size: 1
    .uses_dynamic_stack: false
    .vgpr_count:     9
    .vgpr_spill_count: 0
    .wavefront_size: 64
  - .args:
      - .offset:         0
        .size:           4
        .value_kind:     by_value
      - .address_space:  global
        .offset:         8
        .size:           8
        .value_kind:     global_buffer
      - .offset:         16
        .size:           8
        .value_kind:     by_value
      - .address_space:  global
        .offset:         24
        .size:           8
        .value_kind:     global_buffer
      - .offset:         32
        .size:           8
        .value_kind:     by_value
      - .offset:         40
        .size:           4
        .value_kind:     by_value
      - .offset:         48
        .size:           8
        .value_kind:     by_value
      - .address_space:  global
        .offset:         56
        .size:           8
        .value_kind:     global_buffer
      - .offset:         64
        .size:           8
        .value_kind:     by_value
      - .offset:         72
        .size:           4
        .value_kind:     by_value
      - .offset:         80
        .size:           8
        .value_kind:     by_value
      - .address_space:  global
        .offset:         88
        .size:           8
        .value_kind:     global_buffer
      - .offset:         96
        .size:           8
        .value_kind:     by_value
      - .address_space:  global
        .offset:         104
        .size:           8
        .value_kind:     global_buffer
      - .offset:         112
        .size:           4
        .value_kind:     by_value
      - .offset:         120
        .size:           4
        .value_kind:     hidden_block_count_x
      - .offset:         124
        .size:           4
        .value_kind:     hidden_block_count_y
      - .offset:         128
        .size:           4
        .value_kind:     hidden_block_count_z
      - .offset:         132
        .size:           2
        .value_kind:     hidden_group_size_x
      - .offset:         134
        .size:           2
        .value_kind:     hidden_group_size_y
      - .offset:         136
        .size:           2
        .value_kind:     hidden_group_size_z
      - .offset:         138
        .size:           2
        .value_kind:     hidden_remainder_x
      - .offset:         140
        .size:           2
        .value_kind:     hidden_remainder_y
      - .offset:         142
        .size:           2
        .value_kind:     hidden_remainder_z
      - .offset:         160
        .size:           8
        .value_kind:     hidden_global_offset_x
      - .offset:         168
        .size:           8
        .value_kind:     hidden_global_offset_y
      - .offset:         176
        .size:           8
        .value_kind:     hidden_global_offset_z
      - .offset:         184
        .size:           2
        .value_kind:     hidden_grid_dims
    .group_segment_fixed_size: 9600
    .kernarg_segment_align: 8
    .kernarg_segment_size: 376
    .language:       OpenCL C
    .language_version:
      - 2
      - 0
    .max_flat_workgroup_size: 256
    .name:           _ZL26rocblas_hemvn_kernel_upperILb1ELi64ELi4ELi33ELi32ELi16EiPK19rocblas_complex_numIfEPKS3_PS1_EviT6_lT7_lT5_lS8_lS9_lS7_lT8_i
    .private_segment_fixed_size: 0
    .sgpr_count:     48
    .sgpr_spill_count: 0
    .symbol:         _ZL26rocblas_hemvn_kernel_upperILb1ELi64ELi4ELi33ELi32ELi16EiPK19rocblas_complex_numIfEPKS3_PS1_EviT6_lT7_lT5_lS8_lS9_lS7_lT8_i.kd
    .uniform_work_group_size: 1
    .uses_dynamic_stack: false
    .vgpr_count:     157
    .vgpr_spill_count: 0
    .wavefront_size: 64
  - .args:
      - .offset:         0
        .size:           4
        .value_kind:     by_value
      - .address_space:  global
        .offset:         8
        .size:           8
        .value_kind:     global_buffer
      - .offset:         16
        .size:           8
        .value_kind:     by_value
      - .address_space:  global
        .offset:         24
        .size:           8
        .value_kind:     global_buffer
      - .offset:         32
        .size:           8
        .value_kind:     by_value
      - .actual_access:  read_only
        .address_space:  global
        .offset:         40
        .size:           8
        .value_kind:     global_buffer
      - .offset:         48
        .size:           8
        .value_kind:     by_value
      - .offset:         56
        .size:           4
        .value_kind:     by_value
      - .offset:         64
        .size:           8
        .value_kind:     by_value
      - .address_space:  global
        .offset:         72
        .size:           8
        .value_kind:     global_buffer
      - .offset:         80
        .size:           4
        .value_kind:     by_value
      - .offset:         88
        .size:           4
        .value_kind:     hidden_block_count_x
      - .offset:         92
        .size:           4
        .value_kind:     hidden_block_count_y
      - .offset:         96
        .size:           4
        .value_kind:     hidden_block_count_z
      - .offset:         100
        .size:           2
        .value_kind:     hidden_group_size_x
      - .offset:         102
        .size:           2
        .value_kind:     hidden_group_size_y
      - .offset:         104
        .size:           2
        .value_kind:     hidden_group_size_z
      - .offset:         106
        .size:           2
        .value_kind:     hidden_remainder_x
      - .offset:         108
        .size:           2
        .value_kind:     hidden_remainder_y
      - .offset:         110
        .size:           2
        .value_kind:     hidden_remainder_z
      - .offset:         128
        .size:           8
        .value_kind:     hidden_global_offset_x
      - .offset:         136
        .size:           8
        .value_kind:     hidden_global_offset_y
      - .offset:         144
        .size:           8
        .value_kind:     hidden_global_offset_z
      - .offset:         152
        .size:           2
        .value_kind:     hidden_grid_dims
    .group_segment_fixed_size: 0
    .kernarg_segment_align: 8
    .kernarg_segment_size: 344
    .language:       OpenCL C
    .language_version:
      - 2
      - 0
    .max_flat_workgroup_size: 64
    .name:           _ZL36rocblas_hemvn_kernel_upper_block_sumILi64EiPK19rocblas_complex_numIfEPKPS1_S1_EviT1_lS7_lT2_lT0_lPT3_i
    .private_segment_fixed_size: 0
    .sgpr_count:     28
    .sgpr_spill_count: 0
    .symbol:         _ZL36rocblas_hemvn_kernel_upper_block_sumILi64EiPK19rocblas_complex_numIfEPKPS1_S1_EviT1_lS7_lT2_lT0_lPT3_i.kd
    .uniform_work_group_size: 1
    .uses_dynamic_stack: false
    .vgpr_count:     8
    .vgpr_spill_count: 0
    .wavefront_size: 64
  - .args:
      - .offset:         0
        .size:           4
        .value_kind:     by_value
      - .offset:         4
        .size:           8
        .value_kind:     by_value
      - .offset:         16
        .size:           8
        .value_kind:     by_value
      - .address_space:  global
        .offset:         24
        .size:           8
        .value_kind:     global_buffer
      - .offset:         32
        .size:           8
        .value_kind:     by_value
      - .offset:         40
        .size:           8
        .value_kind:     by_value
      - .offset:         48
        .size:           8
        .value_kind:     by_value
      - .address_space:  global
        .offset:         56
        .size:           8
        .value_kind:     global_buffer
      - .offset:         64
        .size:           8
        .value_kind:     by_value
      - .offset:         72
        .size:           8
        .value_kind:     by_value
      - .offset:         80
        .size:           8
        .value_kind:     by_value
      - .offset:         88
        .size:           8
        .value_kind:     by_value
      - .offset:         96
        .size:           8
        .value_kind:     by_value
      - .address_space:  global
        .offset:         104
        .size:           8
        .value_kind:     global_buffer
      - .offset:         112
        .size:           4
        .value_kind:     by_value
      - .offset:         120
        .size:           4
        .value_kind:     hidden_block_count_x
      - .offset:         124
        .size:           4
        .value_kind:     hidden_block_count_y
      - .offset:         128
        .size:           4
        .value_kind:     hidden_block_count_z
      - .offset:         132
        .size:           2
        .value_kind:     hidden_group_size_x
      - .offset:         134
        .size:           2
        .value_kind:     hidden_group_size_y
      - .offset:         136
        .size:           2
        .value_kind:     hidden_group_size_z
      - .offset:         138
        .size:           2
        .value_kind:     hidden_remainder_x
      - .offset:         140
        .size:           2
        .value_kind:     hidden_remainder_y
      - .offset:         142
        .size:           2
        .value_kind:     hidden_remainder_z
      - .offset:         160
        .size:           8
        .value_kind:     hidden_global_offset_x
      - .offset:         168
        .size:           8
        .value_kind:     hidden_global_offset_y
      - .offset:         176
        .size:           8
        .value_kind:     hidden_global_offset_z
      - .offset:         184
        .size:           2
        .value_kind:     hidden_grid_dims
    .group_segment_fixed_size: 9600
    .kernarg_segment_align: 8
    .kernarg_segment_size: 376
    .language:       OpenCL C
    .language_version:
      - 2
      - 0
    .max_flat_workgroup_size: 256
    .name:           _ZL26rocblas_hemvn_kernel_upperILb1ELi64ELi4ELi33ELi32ELi16El19rocblas_complex_numIfEPKPKS1_PS1_EviT6_lT7_lT5_lS8_lS9_lS7_lT8_i
    .private_segment_fixed_size: 0
    .sgpr_count:     46
    .sgpr_spill_count: 0
    .symbol:         _ZL26rocblas_hemvn_kernel_upperILb1ELi64ELi4ELi33ELi32ELi16El19rocblas_complex_numIfEPKPKS1_PS1_EviT6_lT7_lT5_lS8_lS9_lS7_lT8_i.kd
    .uniform_work_group_size: 1
    .uses_dynamic_stack: false
    .vgpr_count:     146
    .vgpr_spill_count: 0
    .wavefront_size: 64
  - .args:
      - .offset:         0
        .size:           4
        .value_kind:     by_value
      - .offset:         4
        .size:           8
        .value_kind:     by_value
      - .offset:         16
        .size:           8
        .value_kind:     by_value
      - .offset:         24
        .size:           8
        .value_kind:     by_value
      - .offset:         32
        .size:           8
        .value_kind:     by_value
      - .actual_access:  read_only
        .address_space:  global
        .offset:         40
        .size:           8
        .value_kind:     global_buffer
      - .offset:         48
        .size:           8
        .value_kind:     by_value
      - .offset:         56
        .size:           8
        .value_kind:     by_value
      - .offset:         64
        .size:           8
        .value_kind:     by_value
      - .address_space:  global
        .offset:         72
        .size:           8
        .value_kind:     global_buffer
      - .offset:         80
        .size:           4
        .value_kind:     by_value
      - .offset:         88
        .size:           4
        .value_kind:     hidden_block_count_x
      - .offset:         92
        .size:           4
        .value_kind:     hidden_block_count_y
      - .offset:         96
        .size:           4
        .value_kind:     hidden_block_count_z
      - .offset:         100
        .size:           2
        .value_kind:     hidden_group_size_x
      - .offset:         102
        .size:           2
        .value_kind:     hidden_group_size_y
      - .offset:         104
        .size:           2
        .value_kind:     hidden_group_size_z
      - .offset:         106
        .size:           2
        .value_kind:     hidden_remainder_x
      - .offset:         108
        .size:           2
        .value_kind:     hidden_remainder_y
      - .offset:         110
        .size:           2
        .value_kind:     hidden_remainder_z
      - .offset:         128
        .size:           8
        .value_kind:     hidden_global_offset_x
      - .offset:         136
        .size:           8
        .value_kind:     hidden_global_offset_y
      - .offset:         144
        .size:           8
        .value_kind:     hidden_global_offset_z
      - .offset:         152
        .size:           2
        .value_kind:     hidden_grid_dims
    .group_segment_fixed_size: 0
    .kernarg_segment_align: 8
    .kernarg_segment_size: 344
    .language:       OpenCL C
    .language_version:
      - 2
      - 0
    .max_flat_workgroup_size: 64
    .name:           _ZL36rocblas_hemvn_kernel_upper_block_sumILi64El19rocblas_complex_numIfEPKPS1_S1_EviT1_lS5_lT2_lT0_lPT3_i
    .private_segment_fixed_size: 0
    .sgpr_count:     26
    .sgpr_spill_count: 0
    .symbol:         _ZL36rocblas_hemvn_kernel_upper_block_sumILi64El19rocblas_complex_numIfEPKPS1_S1_EviT1_lS5_lT2_lT0_lPT3_i.kd
    .uniform_work_group_size: 1
    .uses_dynamic_stack: false
    .vgpr_count:     9
    .vgpr_spill_count: 0
    .wavefront_size: 64
  - .args:
      - .offset:         0
        .size:           4
        .value_kind:     by_value
      - .offset:         4
        .size:           8
        .value_kind:     by_value
      - .offset:         16
        .size:           8
        .value_kind:     by_value
      - .address_space:  global
        .offset:         24
        .size:           8
        .value_kind:     global_buffer
      - .offset:         32
        .size:           8
        .value_kind:     by_value
      - .offset:         40
        .size:           4
        .value_kind:     by_value
      - .offset:         48
        .size:           8
        .value_kind:     by_value
      - .address_space:  global
        .offset:         56
        .size:           8
        .value_kind:     global_buffer
      - .offset:         64
        .size:           8
        .value_kind:     by_value
      - .offset:         72
        .size:           4
        .value_kind:     by_value
      - .offset:         80
        .size:           8
        .value_kind:     by_value
      - .offset:         88
        .size:           8
        .value_kind:     by_value
      - .offset:         96
        .size:           8
        .value_kind:     by_value
      - .address_space:  global
        .offset:         104
        .size:           8
        .value_kind:     global_buffer
      - .offset:         112
        .size:           4
        .value_kind:     by_value
      - .offset:         120
        .size:           4
        .value_kind:     hidden_block_count_x
      - .offset:         124
        .size:           4
        .value_kind:     hidden_block_count_y
      - .offset:         128
        .size:           4
        .value_kind:     hidden_block_count_z
      - .offset:         132
        .size:           2
        .value_kind:     hidden_group_size_x
      - .offset:         134
        .size:           2
        .value_kind:     hidden_group_size_y
      - .offset:         136
        .size:           2
        .value_kind:     hidden_group_size_z
      - .offset:         138
        .size:           2
        .value_kind:     hidden_remainder_x
      - .offset:         140
        .size:           2
        .value_kind:     hidden_remainder_y
      - .offset:         142
        .size:           2
        .value_kind:     hidden_remainder_z
      - .offset:         160
        .size:           8
        .value_kind:     hidden_global_offset_x
      - .offset:         168
        .size:           8
        .value_kind:     hidden_global_offset_y
      - .offset:         176
        .size:           8
        .value_kind:     hidden_global_offset_z
      - .offset:         184
        .size:           2
        .value_kind:     hidden_grid_dims
    .group_segment_fixed_size: 9600
    .kernarg_segment_align: 8
    .kernarg_segment_size: 376
    .language:       OpenCL C
    .language_version:
      - 2
      - 0
    .max_flat_workgroup_size: 256
    .name:           _ZL26rocblas_hemvn_kernel_upperILb1ELi64ELi4ELi33ELi32ELi16Ei19rocblas_complex_numIfEPKPKS1_PS1_EviT6_lT7_lT5_lS8_lS9_lS7_lT8_i
    .private_segment_fixed_size: 0
    .sgpr_count:     48
    .sgpr_spill_count: 0
    .symbol:         _ZL26rocblas_hemvn_kernel_upperILb1ELi64ELi4ELi33ELi32ELi16Ei19rocblas_complex_numIfEPKPKS1_PS1_EviT6_lT7_lT5_lS8_lS9_lS7_lT8_i.kd
    .uniform_work_group_size: 1
    .uses_dynamic_stack: false
    .vgpr_count:     157
    .vgpr_spill_count: 0
    .wavefront_size: 64
  - .args:
      - .offset:         0
        .size:           4
        .value_kind:     by_value
      - .offset:         4
        .size:           8
        .value_kind:     by_value
      - .offset:         16
        .size:           8
        .value_kind:     by_value
      - .offset:         24
        .size:           8
        .value_kind:     by_value
      - .offset:         32
        .size:           8
        .value_kind:     by_value
      - .actual_access:  read_only
        .address_space:  global
        .offset:         40
        .size:           8
        .value_kind:     global_buffer
      - .offset:         48
        .size:           8
        .value_kind:     by_value
      - .offset:         56
        .size:           4
        .value_kind:     by_value
      - .offset:         64
        .size:           8
        .value_kind:     by_value
      - .address_space:  global
        .offset:         72
        .size:           8
        .value_kind:     global_buffer
      - .offset:         80
        .size:           4
        .value_kind:     by_value
      - .offset:         88
        .size:           4
        .value_kind:     hidden_block_count_x
      - .offset:         92
        .size:           4
        .value_kind:     hidden_block_count_y
      - .offset:         96
        .size:           4
        .value_kind:     hidden_block_count_z
      - .offset:         100
        .size:           2
        .value_kind:     hidden_group_size_x
      - .offset:         102
        .size:           2
        .value_kind:     hidden_group_size_y
      - .offset:         104
        .size:           2
        .value_kind:     hidden_group_size_z
      - .offset:         106
        .size:           2
        .value_kind:     hidden_remainder_x
      - .offset:         108
        .size:           2
        .value_kind:     hidden_remainder_y
      - .offset:         110
        .size:           2
        .value_kind:     hidden_remainder_z
      - .offset:         128
        .size:           8
        .value_kind:     hidden_global_offset_x
      - .offset:         136
        .size:           8
        .value_kind:     hidden_global_offset_y
      - .offset:         144
        .size:           8
        .value_kind:     hidden_global_offset_z
      - .offset:         152
        .size:           2
        .value_kind:     hidden_grid_dims
    .group_segment_fixed_size: 0
    .kernarg_segment_align: 8
    .kernarg_segment_size: 344
    .language:       OpenCL C
    .language_version:
      - 2
      - 0
    .max_flat_workgroup_size: 64
    .name:           _ZL36rocblas_hemvn_kernel_upper_block_sumILi64Ei19rocblas_complex_numIfEPKPS1_S1_EviT1_lS5_lT2_lT0_lPT3_i
    .private_segment_fixed_size: 0
    .sgpr_count:     28
    .sgpr_spill_count: 0
    .symbol:         _ZL36rocblas_hemvn_kernel_upper_block_sumILi64Ei19rocblas_complex_numIfEPKPS1_S1_EviT1_lS5_lT2_lT0_lPT3_i.kd
    .uniform_work_group_size: 1
    .uses_dynamic_stack: false
    .vgpr_count:     8
    .vgpr_spill_count: 0
    .wavefront_size: 64
  - .args:
      - .offset:         0
        .size:           4
        .value_kind:     by_value
      - .address_space:  global
        .offset:         8
        .size:           8
        .value_kind:     global_buffer
      - .offset:         16
        .size:           8
        .value_kind:     by_value
      - .address_space:  global
        .offset:         24
        .size:           8
        .value_kind:     global_buffer
      - .offset:         32
        .size:           8
        .value_kind:     by_value
      - .offset:         40
        .size:           8
        .value_kind:     by_value
      - .offset:         48
        .size:           8
        .value_kind:     by_value
      - .address_space:  global
        .offset:         56
        .size:           8
        .value_kind:     global_buffer
      - .offset:         64
        .size:           8
        .value_kind:     by_value
      - .offset:         72
        .size:           8
        .value_kind:     by_value
      - .offset:         80
        .size:           8
        .value_kind:     by_value
      - .address_space:  global
        .offset:         88
        .size:           8
        .value_kind:     global_buffer
      - .offset:         96
        .size:           8
        .value_kind:     by_value
      - .address_space:  global
        .offset:         104
        .size:           8
        .value_kind:     global_buffer
      - .offset:         112
        .size:           4
        .value_kind:     by_value
      - .offset:         120
        .size:           4
        .value_kind:     hidden_block_count_x
      - .offset:         124
        .size:           4
        .value_kind:     hidden_block_count_y
      - .offset:         128
        .size:           4
        .value_kind:     hidden_block_count_z
      - .offset:         132
        .size:           2
        .value_kind:     hidden_group_size_x
      - .offset:         134
        .size:           2
        .value_kind:     hidden_group_size_y
      - .offset:         136
        .size:           2
        .value_kind:     hidden_group_size_z
      - .offset:         138
        .size:           2
        .value_kind:     hidden_remainder_x
      - .offset:         140
        .size:           2
        .value_kind:     hidden_remainder_y
      - .offset:         142
        .size:           2
        .value_kind:     hidden_remainder_z
      - .offset:         160
        .size:           8
        .value_kind:     hidden_global_offset_x
      - .offset:         168
        .size:           8
        .value_kind:     hidden_global_offset_y
      - .offset:         176
        .size:           8
        .value_kind:     hidden_global_offset_z
      - .offset:         184
        .size:           2
        .value_kind:     hidden_grid_dims
    .group_segment_fixed_size: 9600
    .kernarg_segment_align: 8
    .kernarg_segment_size: 376
    .language:       OpenCL C
    .language_version:
      - 2
      - 0
    .max_flat_workgroup_size: 256
    .name:           _ZL26rocblas_hemvn_kernel_lowerILb1ELi64ELi4ELi33ELi32ELi16ElPK19rocblas_complex_numIfEPKS3_PS1_EviT6_lT7_lT5_lS8_lS9_lS7_lT8_i
    .private_segment_fixed_size: 0
    .sgpr_count:     48
    .sgpr_spill_count: 0
    .symbol:         _ZL26rocblas_hemvn_kernel_lowerILb1ELi64ELi4ELi33ELi32ELi16ElPK19rocblas_complex_numIfEPKS3_PS1_EviT6_lT7_lT5_lS8_lS9_lS7_lT8_i.kd
    .uniform_work_group_size: 1
    .uses_dynamic_stack: false
    .vgpr_count:     107
    .vgpr_spill_count: 0
    .wavefront_size: 64
  - .args:
      - .offset:         0
        .size:           4
        .value_kind:     by_value
      - .address_space:  global
        .offset:         8
        .size:           8
        .value_kind:     global_buffer
      - .offset:         16
        .size:           8
        .value_kind:     by_value
      - .address_space:  global
        .offset:         24
        .size:           8
        .value_kind:     global_buffer
      - .offset:         32
        .size:           8
        .value_kind:     by_value
      - .actual_access:  read_only
        .address_space:  global
        .offset:         40
        .size:           8
        .value_kind:     global_buffer
      - .offset:         48
        .size:           8
        .value_kind:     by_value
      - .offset:         56
        .size:           8
        .value_kind:     by_value
      - .offset:         64
        .size:           8
        .value_kind:     by_value
      - .actual_access:  read_only
        .address_space:  global
        .offset:         72
        .size:           8
        .value_kind:     global_buffer
      - .offset:         80
        .size:           4
        .value_kind:     by_value
      - .offset:         88
        .size:           4
        .value_kind:     hidden_block_count_x
      - .offset:         92
        .size:           4
        .value_kind:     hidden_block_count_y
      - .offset:         96
        .size:           4
        .value_kind:     hidden_block_count_z
      - .offset:         100
        .size:           2
        .value_kind:     hidden_group_size_x
      - .offset:         102
        .size:           2
        .value_kind:     hidden_group_size_y
      - .offset:         104
        .size:           2
        .value_kind:     hidden_group_size_z
      - .offset:         106
        .size:           2
        .value_kind:     hidden_remainder_x
      - .offset:         108
        .size:           2
        .value_kind:     hidden_remainder_y
      - .offset:         110
        .size:           2
        .value_kind:     hidden_remainder_z
      - .offset:         128
        .size:           8
        .value_kind:     hidden_global_offset_x
      - .offset:         136
        .size:           8
        .value_kind:     hidden_global_offset_y
      - .offset:         144
        .size:           8
        .value_kind:     hidden_global_offset_z
      - .offset:         152
        .size:           2
        .value_kind:     hidden_grid_dims
    .group_segment_fixed_size: 0
    .kernarg_segment_align: 8
    .kernarg_segment_size: 344
    .language:       OpenCL C
    .language_version:
      - 2
      - 0
    .max_flat_workgroup_size: 64
    .name:           _ZL36rocblas_hemvn_kernel_lower_block_sumILi64ElPK19rocblas_complex_numIfEPKPS1_S1_EviT1_lS7_lT2_lT0_lPT3_i
    .private_segment_fixed_size: 0
    .sgpr_count:     28
    .sgpr_spill_count: 0
    .symbol:         _ZL36rocblas_hemvn_kernel_lower_block_sumILi64ElPK19rocblas_complex_numIfEPKPS1_S1_EviT1_lS7_lT2_lT0_lPT3_i.kd
    .uniform_work_group_size: 1
    .uses_dynamic_stack: false
    .vgpr_count:     8
    .vgpr_spill_count: 0
    .wavefront_size: 64
  - .args:
      - .offset:         0
        .size:           4
        .value_kind:     by_value
      - .address_space:  global
        .offset:         8
        .size:           8
        .value_kind:     global_buffer
      - .offset:         16
        .size:           8
        .value_kind:     by_value
      - .address_space:  global
        .offset:         24
        .size:           8
        .value_kind:     global_buffer
      - .offset:         32
        .size:           8
        .value_kind:     by_value
      - .offset:         40
        .size:           4
        .value_kind:     by_value
      - .offset:         48
        .size:           8
        .value_kind:     by_value
      - .address_space:  global
        .offset:         56
        .size:           8
        .value_kind:     global_buffer
      - .offset:         64
        .size:           8
        .value_kind:     by_value
      - .offset:         72
        .size:           4
        .value_kind:     by_value
      - .offset:         80
        .size:           8
        .value_kind:     by_value
      - .address_space:  global
        .offset:         88
        .size:           8
        .value_kind:     global_buffer
      - .offset:         96
        .size:           8
        .value_kind:     by_value
      - .address_space:  global
        .offset:         104
        .size:           8
        .value_kind:     global_buffer
      - .offset:         112
        .size:           4
        .value_kind:     by_value
      - .offset:         120
        .size:           4
        .value_kind:     hidden_block_count_x
      - .offset:         124
        .size:           4
        .value_kind:     hidden_block_count_y
      - .offset:         128
        .size:           4
        .value_kind:     hidden_block_count_z
      - .offset:         132
        .size:           2
        .value_kind:     hidden_group_size_x
      - .offset:         134
        .size:           2
        .value_kind:     hidden_group_size_y
      - .offset:         136
        .size:           2
        .value_kind:     hidden_group_size_z
      - .offset:         138
        .size:           2
        .value_kind:     hidden_remainder_x
      - .offset:         140
        .size:           2
        .value_kind:     hidden_remainder_y
      - .offset:         142
        .size:           2
        .value_kind:     hidden_remainder_z
      - .offset:         160
        .size:           8
        .value_kind:     hidden_global_offset_x
      - .offset:         168
        .size:           8
        .value_kind:     hidden_global_offset_y
      - .offset:         176
        .size:           8
        .value_kind:     hidden_global_offset_z
      - .offset:         184
        .size:           2
        .value_kind:     hidden_grid_dims
    .group_segment_fixed_size: 9600
    .kernarg_segment_align: 8
    .kernarg_segment_size: 376
    .language:       OpenCL C
    .language_version:
      - 2
      - 0
    .max_flat_workgroup_size: 256
    .name:           _ZL26rocblas_hemvn_kernel_lowerILb1ELi64ELi4ELi33ELi32ELi16EiPK19rocblas_complex_numIfEPKS3_PS1_EviT6_lT7_lT5_lS8_lS9_lS7_lT8_i
    .private_segment_fixed_size: 0
    .sgpr_count:     50
    .sgpr_spill_count: 0
    .symbol:         _ZL26rocblas_hemvn_kernel_lowerILb1ELi64ELi4ELi33ELi32ELi16EiPK19rocblas_complex_numIfEPKS3_PS1_EviT6_lT7_lT5_lS8_lS9_lS7_lT8_i.kd
    .uniform_work_group_size: 1
    .uses_dynamic_stack: false
    .vgpr_count:     105
    .vgpr_spill_count: 0
    .wavefront_size: 64
  - .args:
      - .offset:         0
        .size:           4
        .value_kind:     by_value
      - .address_space:  global
        .offset:         8
        .size:           8
        .value_kind:     global_buffer
      - .offset:         16
        .size:           8
        .value_kind:     by_value
      - .address_space:  global
        .offset:         24
        .size:           8
        .value_kind:     global_buffer
      - .offset:         32
        .size:           8
        .value_kind:     by_value
      - .actual_access:  read_only
        .address_space:  global
        .offset:         40
        .size:           8
        .value_kind:     global_buffer
      - .offset:         48
        .size:           8
        .value_kind:     by_value
      - .offset:         56
        .size:           4
        .value_kind:     by_value
      - .offset:         64
        .size:           8
        .value_kind:     by_value
      - .actual_access:  read_only
        .address_space:  global
        .offset:         72
        .size:           8
        .value_kind:     global_buffer
      - .offset:         80
        .size:           4
        .value_kind:     by_value
      - .offset:         88
        .size:           4
        .value_kind:     hidden_block_count_x
      - .offset:         92
        .size:           4
        .value_kind:     hidden_block_count_y
      - .offset:         96
        .size:           4
        .value_kind:     hidden_block_count_z
      - .offset:         100
        .size:           2
        .value_kind:     hidden_group_size_x
      - .offset:         102
        .size:           2
        .value_kind:     hidden_group_size_y
      - .offset:         104
        .size:           2
        .value_kind:     hidden_group_size_z
      - .offset:         106
        .size:           2
        .value_kind:     hidden_remainder_x
      - .offset:         108
        .size:           2
        .value_kind:     hidden_remainder_y
      - .offset:         110
        .size:           2
        .value_kind:     hidden_remainder_z
      - .offset:         128
        .size:           8
        .value_kind:     hidden_global_offset_x
      - .offset:         136
        .size:           8
        .value_kind:     hidden_global_offset_y
      - .offset:         144
        .size:           8
        .value_kind:     hidden_global_offset_z
      - .offset:         152
        .size:           2
        .value_kind:     hidden_grid_dims
    .group_segment_fixed_size: 0
    .kernarg_segment_align: 8
    .kernarg_segment_size: 344
    .language:       OpenCL C
    .language_version:
      - 2
      - 0
    .max_flat_workgroup_size: 64
    .name:           _ZL36rocblas_hemvn_kernel_lower_block_sumILi64EiPK19rocblas_complex_numIfEPKPS1_S1_EviT1_lS7_lT2_lT0_lPT3_i
    .private_segment_fixed_size: 0
    .sgpr_count:     28
    .sgpr_spill_count: 0
    .symbol:         _ZL36rocblas_hemvn_kernel_lower_block_sumILi64EiPK19rocblas_complex_numIfEPKPS1_S1_EviT1_lS7_lT2_lT0_lPT3_i.kd
    .uniform_work_group_size: 1
    .uses_dynamic_stack: false
    .vgpr_count:     8
    .vgpr_spill_count: 0
    .wavefront_size: 64
  - .args:
      - .offset:         0
        .size:           4
        .value_kind:     by_value
      - .offset:         4
        .size:           8
        .value_kind:     by_value
      - .offset:         16
        .size:           8
        .value_kind:     by_value
      - .address_space:  global
        .offset:         24
        .size:           8
        .value_kind:     global_buffer
      - .offset:         32
        .size:           8
        .value_kind:     by_value
      - .offset:         40
        .size:           8
        .value_kind:     by_value
      - .offset:         48
        .size:           8
        .value_kind:     by_value
      - .address_space:  global
        .offset:         56
        .size:           8
        .value_kind:     global_buffer
      - .offset:         64
        .size:           8
        .value_kind:     by_value
      - .offset:         72
        .size:           8
        .value_kind:     by_value
      - .offset:         80
        .size:           8
        .value_kind:     by_value
      - .offset:         88
        .size:           8
        .value_kind:     by_value
      - .offset:         96
        .size:           8
        .value_kind:     by_value
      - .address_space:  global
        .offset:         104
        .size:           8
        .value_kind:     global_buffer
      - .offset:         112
        .size:           4
        .value_kind:     by_value
      - .offset:         120
        .size:           4
        .value_kind:     hidden_block_count_x
      - .offset:         124
        .size:           4
        .value_kind:     hidden_block_count_y
      - .offset:         128
        .size:           4
        .value_kind:     hidden_block_count_z
      - .offset:         132
        .size:           2
        .value_kind:     hidden_group_size_x
      - .offset:         134
        .size:           2
        .value_kind:     hidden_group_size_y
      - .offset:         136
        .size:           2
        .value_kind:     hidden_group_size_z
      - .offset:         138
        .size:           2
        .value_kind:     hidden_remainder_x
      - .offset:         140
        .size:           2
        .value_kind:     hidden_remainder_y
      - .offset:         142
        .size:           2
        .value_kind:     hidden_remainder_z
      - .offset:         160
        .size:           8
        .value_kind:     hidden_global_offset_x
      - .offset:         168
        .size:           8
        .value_kind:     hidden_global_offset_y
      - .offset:         176
        .size:           8
        .value_kind:     hidden_global_offset_z
      - .offset:         184
        .size:           2
        .value_kind:     hidden_grid_dims
    .group_segment_fixed_size: 9600
    .kernarg_segment_align: 8
    .kernarg_segment_size: 376
    .language:       OpenCL C
    .language_version:
      - 2
      - 0
    .max_flat_workgroup_size: 256
    .name:           _ZL26rocblas_hemvn_kernel_lowerILb1ELi64ELi4ELi33ELi32ELi16El19rocblas_complex_numIfEPKPKS1_PS1_EviT6_lT7_lT5_lS8_lS9_lS7_lT8_i
    .private_segment_fixed_size: 0
    .sgpr_count:     48
    .sgpr_spill_count: 0
    .symbol:         _ZL26rocblas_hemvn_kernel_lowerILb1ELi64ELi4ELi33ELi32ELi16El19rocblas_complex_numIfEPKPKS1_PS1_EviT6_lT7_lT5_lS8_lS9_lS7_lT8_i.kd
    .uniform_work_group_size: 1
    .uses_dynamic_stack: false
    .vgpr_count:     107
    .vgpr_spill_count: 0
    .wavefront_size: 64
  - .args:
      - .offset:         0
        .size:           4
        .value_kind:     by_value
      - .offset:         4
        .size:           8
        .value_kind:     by_value
      - .offset:         16
        .size:           8
        .value_kind:     by_value
      - .offset:         24
        .size:           8
        .value_kind:     by_value
      - .offset:         32
        .size:           8
        .value_kind:     by_value
      - .actual_access:  read_only
        .address_space:  global
        .offset:         40
        .size:           8
        .value_kind:     global_buffer
      - .offset:         48
        .size:           8
        .value_kind:     by_value
      - .offset:         56
        .size:           8
        .value_kind:     by_value
      - .offset:         64
        .size:           8
        .value_kind:     by_value
      - .actual_access:  read_only
        .address_space:  global
        .offset:         72
        .size:           8
        .value_kind:     global_buffer
      - .offset:         80
        .size:           4
        .value_kind:     by_value
      - .offset:         88
        .size:           4
        .value_kind:     hidden_block_count_x
      - .offset:         92
        .size:           4
        .value_kind:     hidden_block_count_y
      - .offset:         96
        .size:           4
        .value_kind:     hidden_block_count_z
      - .offset:         100
        .size:           2
        .value_kind:     hidden_group_size_x
      - .offset:         102
        .size:           2
        .value_kind:     hidden_group_size_y
      - .offset:         104
        .size:           2
        .value_kind:     hidden_group_size_z
      - .offset:         106
        .size:           2
        .value_kind:     hidden_remainder_x
      - .offset:         108
        .size:           2
        .value_kind:     hidden_remainder_y
      - .offset:         110
        .size:           2
        .value_kind:     hidden_remainder_z
      - .offset:         128
        .size:           8
        .value_kind:     hidden_global_offset_x
      - .offset:         136
        .size:           8
        .value_kind:     hidden_global_offset_y
      - .offset:         144
        .size:           8
        .value_kind:     hidden_global_offset_z
      - .offset:         152
        .size:           2
        .value_kind:     hidden_grid_dims
    .group_segment_fixed_size: 0
    .kernarg_segment_align: 8
    .kernarg_segment_size: 344
    .language:       OpenCL C
    .language_version:
      - 2
      - 0
    .max_flat_workgroup_size: 64
    .name:           _ZL36rocblas_hemvn_kernel_lower_block_sumILi64El19rocblas_complex_numIfEPKPS1_S1_EviT1_lS5_lT2_lT0_lPT3_i
    .private_segment_fixed_size: 0
    .sgpr_count:     26
    .sgpr_spill_count: 0
    .symbol:         _ZL36rocblas_hemvn_kernel_lower_block_sumILi64El19rocblas_complex_numIfEPKPS1_S1_EviT1_lS5_lT2_lT0_lPT3_i.kd
    .uniform_work_group_size: 1
    .uses_dynamic_stack: false
    .vgpr_count:     8
    .vgpr_spill_count: 0
    .wavefront_size: 64
  - .args:
      - .offset:         0
        .size:           4
        .value_kind:     by_value
      - .offset:         4
        .size:           8
        .value_kind:     by_value
      - .offset:         16
        .size:           8
        .value_kind:     by_value
      - .address_space:  global
        .offset:         24
        .size:           8
        .value_kind:     global_buffer
      - .offset:         32
        .size:           8
        .value_kind:     by_value
      - .offset:         40
        .size:           4
        .value_kind:     by_value
      - .offset:         48
        .size:           8
        .value_kind:     by_value
      - .address_space:  global
        .offset:         56
        .size:           8
        .value_kind:     global_buffer
      - .offset:         64
        .size:           8
        .value_kind:     by_value
      - .offset:         72
        .size:           4
        .value_kind:     by_value
      - .offset:         80
        .size:           8
        .value_kind:     by_value
      - .offset:         88
        .size:           8
        .value_kind:     by_value
      - .offset:         96
        .size:           8
        .value_kind:     by_value
      - .address_space:  global
        .offset:         104
        .size:           8
        .value_kind:     global_buffer
      - .offset:         112
        .size:           4
        .value_kind:     by_value
      - .offset:         120
        .size:           4
        .value_kind:     hidden_block_count_x
      - .offset:         124
        .size:           4
        .value_kind:     hidden_block_count_y
      - .offset:         128
        .size:           4
        .value_kind:     hidden_block_count_z
      - .offset:         132
        .size:           2
        .value_kind:     hidden_group_size_x
      - .offset:         134
        .size:           2
        .value_kind:     hidden_group_size_y
      - .offset:         136
        .size:           2
        .value_kind:     hidden_group_size_z
      - .offset:         138
        .size:           2
        .value_kind:     hidden_remainder_x
      - .offset:         140
        .size:           2
        .value_kind:     hidden_remainder_y
      - .offset:         142
        .size:           2
        .value_kind:     hidden_remainder_z
      - .offset:         160
        .size:           8
        .value_kind:     hidden_global_offset_x
      - .offset:         168
        .size:           8
        .value_kind:     hidden_global_offset_y
      - .offset:         176
        .size:           8
        .value_kind:     hidden_global_offset_z
      - .offset:         184
        .size:           2
        .value_kind:     hidden_grid_dims
    .group_segment_fixed_size: 9600
    .kernarg_segment_align: 8
    .kernarg_segment_size: 376
    .language:       OpenCL C
    .language_version:
      - 2
      - 0
    .max_flat_workgroup_size: 256
    .name:           _ZL26rocblas_hemvn_kernel_lowerILb1ELi64ELi4ELi33ELi32ELi16Ei19rocblas_complex_numIfEPKPKS1_PS1_EviT6_lT7_lT5_lS8_lS9_lS7_lT8_i
    .private_segment_fixed_size: 0
    .sgpr_count:     50
    .sgpr_spill_count: 0
    .symbol:         _ZL26rocblas_hemvn_kernel_lowerILb1ELi64ELi4ELi33ELi32ELi16Ei19rocblas_complex_numIfEPKPKS1_PS1_EviT6_lT7_lT5_lS8_lS9_lS7_lT8_i.kd
    .uniform_work_group_size: 1
    .uses_dynamic_stack: false
    .vgpr_count:     105
    .vgpr_spill_count: 0
    .wavefront_size: 64
  - .args:
      - .offset:         0
        .size:           4
        .value_kind:     by_value
      - .offset:         4
        .size:           8
        .value_kind:     by_value
      - .offset:         16
        .size:           8
        .value_kind:     by_value
      - .offset:         24
        .size:           8
        .value_kind:     by_value
      - .offset:         32
        .size:           8
        .value_kind:     by_value
      - .actual_access:  read_only
        .address_space:  global
        .offset:         40
        .size:           8
        .value_kind:     global_buffer
      - .offset:         48
        .size:           8
        .value_kind:     by_value
      - .offset:         56
        .size:           4
        .value_kind:     by_value
      - .offset:         64
        .size:           8
        .value_kind:     by_value
      - .actual_access:  read_only
        .address_space:  global
        .offset:         72
        .size:           8
        .value_kind:     global_buffer
      - .offset:         80
        .size:           4
        .value_kind:     by_value
      - .offset:         88
        .size:           4
        .value_kind:     hidden_block_count_x
      - .offset:         92
        .size:           4
        .value_kind:     hidden_block_count_y
      - .offset:         96
        .size:           4
        .value_kind:     hidden_block_count_z
      - .offset:         100
        .size:           2
        .value_kind:     hidden_group_size_x
      - .offset:         102
        .size:           2
        .value_kind:     hidden_group_size_y
      - .offset:         104
        .size:           2
        .value_kind:     hidden_group_size_z
      - .offset:         106
        .size:           2
        .value_kind:     hidden_remainder_x
      - .offset:         108
        .size:           2
        .value_kind:     hidden_remainder_y
      - .offset:         110
        .size:           2
        .value_kind:     hidden_remainder_z
      - .offset:         128
        .size:           8
        .value_kind:     hidden_global_offset_x
      - .offset:         136
        .size:           8
        .value_kind:     hidden_global_offset_y
      - .offset:         144
        .size:           8
        .value_kind:     hidden_global_offset_z
      - .offset:         152
        .size:           2
        .value_kind:     hidden_grid_dims
    .group_segment_fixed_size: 0
    .kernarg_segment_align: 8
    .kernarg_segment_size: 344
    .language:       OpenCL C
    .language_version:
      - 2
      - 0
    .max_flat_workgroup_size: 64
    .name:           _ZL36rocblas_hemvn_kernel_lower_block_sumILi64Ei19rocblas_complex_numIfEPKPS1_S1_EviT1_lS5_lT2_lT0_lPT3_i
    .private_segment_fixed_size: 0
    .sgpr_count:     28
    .sgpr_spill_count: 0
    .symbol:         _ZL36rocblas_hemvn_kernel_lower_block_sumILi64Ei19rocblas_complex_numIfEPKPS1_S1_EviT1_lS5_lT2_lT0_lPT3_i.kd
    .uniform_work_group_size: 1
    .uses_dynamic_stack: false
    .vgpr_count:     8
    .vgpr_spill_count: 0
    .wavefront_size: 64
  - .args:
      - .offset:         0
        .size:           4
        .value_kind:     by_value
      - .address_space:  global
        .offset:         8
        .size:           8
        .value_kind:     global_buffer
      - .offset:         16
        .size:           8
        .value_kind:     by_value
      - .address_space:  global
        .offset:         24
        .size:           8
        .value_kind:     global_buffer
      - .offset:         32
        .size:           8
        .value_kind:     by_value
      - .offset:         40
        .size:           8
        .value_kind:     by_value
      - .offset:         48
        .size:           8
        .value_kind:     by_value
      - .address_space:  global
        .offset:         56
        .size:           8
        .value_kind:     global_buffer
      - .offset:         64
        .size:           8
        .value_kind:     by_value
      - .offset:         72
        .size:           8
        .value_kind:     by_value
      - .offset:         80
        .size:           8
        .value_kind:     by_value
      - .address_space:  global
        .offset:         88
        .size:           8
        .value_kind:     global_buffer
      - .offset:         96
        .size:           8
        .value_kind:     by_value
      - .address_space:  global
        .offset:         104
        .size:           8
        .value_kind:     global_buffer
      - .offset:         112
        .size:           4
        .value_kind:     by_value
      - .offset:         120
        .size:           4
        .value_kind:     hidden_block_count_x
      - .offset:         124
        .size:           4
        .value_kind:     hidden_block_count_y
      - .offset:         128
        .size:           4
        .value_kind:     hidden_block_count_z
      - .offset:         132
        .size:           2
        .value_kind:     hidden_group_size_x
      - .offset:         134
        .size:           2
        .value_kind:     hidden_group_size_y
      - .offset:         136
        .size:           2
        .value_kind:     hidden_group_size_z
      - .offset:         138
        .size:           2
        .value_kind:     hidden_remainder_x
      - .offset:         140
        .size:           2
        .value_kind:     hidden_remainder_y
      - .offset:         142
        .size:           2
        .value_kind:     hidden_remainder_z
      - .offset:         160
        .size:           8
        .value_kind:     hidden_global_offset_x
      - .offset:         168
        .size:           8
        .value_kind:     hidden_global_offset_y
      - .offset:         176
        .size:           8
        .value_kind:     hidden_global_offset_z
      - .offset:         184
        .size:           2
        .value_kind:     hidden_grid_dims
    .group_segment_fixed_size: 19200
    .kernarg_segment_align: 8
    .kernarg_segment_size: 376
    .language:       OpenCL C
    .language_version:
      - 2
      - 0
    .max_flat_workgroup_size: 256
    .name:           _ZL26rocblas_hemvn_kernel_upperILb1ELi64ELi4ELi33ELi32ELi16ElPK19rocblas_complex_numIdEPKS3_PS1_EviT6_lT7_lT5_lS8_lS9_lS7_lT8_i
    .private_segment_fixed_size: 0
    .sgpr_count:     46
    .sgpr_spill_count: 0
    .symbol:         _ZL26rocblas_hemvn_kernel_upperILb1ELi64ELi4ELi33ELi32ELi16ElPK19rocblas_complex_numIdEPKS3_PS1_EviT6_lT7_lT5_lS8_lS9_lS7_lT8_i.kd
    .uniform_work_group_size: 1
    .uses_dynamic_stack: false
    .vgpr_count:     256
    .vgpr_spill_count: 0
    .wavefront_size: 64
  - .args:
      - .offset:         0
        .size:           4
        .value_kind:     by_value
      - .address_space:  global
        .offset:         8
        .size:           8
        .value_kind:     global_buffer
      - .offset:         16
        .size:           8
        .value_kind:     by_value
      - .address_space:  global
        .offset:         24
        .size:           8
        .value_kind:     global_buffer
      - .offset:         32
        .size:           8
        .value_kind:     by_value
      - .actual_access:  read_only
        .address_space:  global
        .offset:         40
        .size:           8
        .value_kind:     global_buffer
      - .offset:         48
        .size:           8
        .value_kind:     by_value
      - .offset:         56
        .size:           8
        .value_kind:     by_value
      - .offset:         64
        .size:           8
        .value_kind:     by_value
      - .address_space:  global
        .offset:         72
        .size:           8
        .value_kind:     global_buffer
      - .offset:         80
        .size:           4
        .value_kind:     by_value
      - .offset:         88
        .size:           4
        .value_kind:     hidden_block_count_x
      - .offset:         92
        .size:           4
        .value_kind:     hidden_block_count_y
      - .offset:         96
        .size:           4
        .value_kind:     hidden_block_count_z
      - .offset:         100
        .size:           2
        .value_kind:     hidden_group_size_x
      - .offset:         102
        .size:           2
        .value_kind:     hidden_group_size_y
      - .offset:         104
        .size:           2
        .value_kind:     hidden_group_size_z
      - .offset:         106
        .size:           2
        .value_kind:     hidden_remainder_x
      - .offset:         108
        .size:           2
        .value_kind:     hidden_remainder_y
      - .offset:         110
        .size:           2
        .value_kind:     hidden_remainder_z
      - .offset:         128
        .size:           8
        .value_kind:     hidden_global_offset_x
      - .offset:         136
        .size:           8
        .value_kind:     hidden_global_offset_y
      - .offset:         144
        .size:           8
        .value_kind:     hidden_global_offset_z
      - .offset:         152
        .size:           2
        .value_kind:     hidden_grid_dims
    .group_segment_fixed_size: 0
    .kernarg_segment_align: 8
    .kernarg_segment_size: 344
    .language:       OpenCL C
    .language_version:
      - 2
      - 0
    .max_flat_workgroup_size: 64
    .name:           _ZL36rocblas_hemvn_kernel_upper_block_sumILi64ElPK19rocblas_complex_numIdEPKPS1_S1_EviT1_lS7_lT2_lT0_lPT3_i
    .private_segment_fixed_size: 0
    .sgpr_count:     32
    .sgpr_spill_count: 0
    .symbol:         _ZL36rocblas_hemvn_kernel_upper_block_sumILi64ElPK19rocblas_complex_numIdEPKPS1_S1_EviT1_lS7_lT2_lT0_lPT3_i.kd
    .uniform_work_group_size: 1
    .uses_dynamic_stack: false
    .vgpr_count:     13
    .vgpr_spill_count: 0
    .wavefront_size: 64
  - .args:
      - .offset:         0
        .size:           4
        .value_kind:     by_value
      - .address_space:  global
        .offset:         8
        .size:           8
        .value_kind:     global_buffer
      - .offset:         16
        .size:           8
        .value_kind:     by_value
      - .address_space:  global
        .offset:         24
        .size:           8
        .value_kind:     global_buffer
      - .offset:         32
        .size:           8
        .value_kind:     by_value
      - .offset:         40
        .size:           4
        .value_kind:     by_value
      - .offset:         48
        .size:           8
        .value_kind:     by_value
      - .address_space:  global
        .offset:         56
        .size:           8
        .value_kind:     global_buffer
      - .offset:         64
        .size:           8
        .value_kind:     by_value
      - .offset:         72
        .size:           4
        .value_kind:     by_value
      - .offset:         80
        .size:           8
        .value_kind:     by_value
      - .address_space:  global
        .offset:         88
        .size:           8
        .value_kind:     global_buffer
      - .offset:         96
        .size:           8
        .value_kind:     by_value
      - .address_space:  global
        .offset:         104
        .size:           8
        .value_kind:     global_buffer
      - .offset:         112
        .size:           4
        .value_kind:     by_value
      - .offset:         120
        .size:           4
        .value_kind:     hidden_block_count_x
      - .offset:         124
        .size:           4
        .value_kind:     hidden_block_count_y
      - .offset:         128
        .size:           4
        .value_kind:     hidden_block_count_z
      - .offset:         132
        .size:           2
        .value_kind:     hidden_group_size_x
      - .offset:         134
        .size:           2
        .value_kind:     hidden_group_size_y
      - .offset:         136
        .size:           2
        .value_kind:     hidden_group_size_z
      - .offset:         138
        .size:           2
        .value_kind:     hidden_remainder_x
      - .offset:         140
        .size:           2
        .value_kind:     hidden_remainder_y
      - .offset:         142
        .size:           2
        .value_kind:     hidden_remainder_z
      - .offset:         160
        .size:           8
        .value_kind:     hidden_global_offset_x
      - .offset:         168
        .size:           8
        .value_kind:     hidden_global_offset_y
      - .offset:         176
        .size:           8
        .value_kind:     hidden_global_offset_z
      - .offset:         184
        .size:           2
        .value_kind:     hidden_grid_dims
    .group_segment_fixed_size: 19200
    .kernarg_segment_align: 8
    .kernarg_segment_size: 376
    .language:       OpenCL C
    .language_version:
      - 2
      - 0
    .max_flat_workgroup_size: 256
    .name:           _ZL26rocblas_hemvn_kernel_upperILb1ELi64ELi4ELi33ELi32ELi16EiPK19rocblas_complex_numIdEPKS3_PS1_EviT6_lT7_lT5_lS8_lS9_lS7_lT8_i
    .private_segment_fixed_size: 0
    .sgpr_count:     48
    .sgpr_spill_count: 0
    .symbol:         _ZL26rocblas_hemvn_kernel_upperILb1ELi64ELi4ELi33ELi32ELi16EiPK19rocblas_complex_numIdEPKS3_PS1_EviT6_lT7_lT5_lS8_lS9_lS7_lT8_i.kd
    .uniform_work_group_size: 1
    .uses_dynamic_stack: false
    .vgpr_count:     239
    .vgpr_spill_count: 0
    .wavefront_size: 64
  - .args:
      - .offset:         0
        .size:           4
        .value_kind:     by_value
      - .address_space:  global
        .offset:         8
        .size:           8
        .value_kind:     global_buffer
      - .offset:         16
        .size:           8
        .value_kind:     by_value
      - .address_space:  global
        .offset:         24
        .size:           8
        .value_kind:     global_buffer
      - .offset:         32
        .size:           8
        .value_kind:     by_value
      - .actual_access:  read_only
        .address_space:  global
        .offset:         40
        .size:           8
        .value_kind:     global_buffer
      - .offset:         48
        .size:           8
        .value_kind:     by_value
      - .offset:         56
        .size:           4
        .value_kind:     by_value
      - .offset:         64
        .size:           8
        .value_kind:     by_value
      - .address_space:  global
        .offset:         72
        .size:           8
        .value_kind:     global_buffer
      - .offset:         80
        .size:           4
        .value_kind:     by_value
      - .offset:         88
        .size:           4
        .value_kind:     hidden_block_count_x
      - .offset:         92
        .size:           4
        .value_kind:     hidden_block_count_y
      - .offset:         96
        .size:           4
        .value_kind:     hidden_block_count_z
      - .offset:         100
        .size:           2
        .value_kind:     hidden_group_size_x
      - .offset:         102
        .size:           2
        .value_kind:     hidden_group_size_y
      - .offset:         104
        .size:           2
        .value_kind:     hidden_group_size_z
      - .offset:         106
        .size:           2
        .value_kind:     hidden_remainder_x
      - .offset:         108
        .size:           2
        .value_kind:     hidden_remainder_y
      - .offset:         110
        .size:           2
        .value_kind:     hidden_remainder_z
      - .offset:         128
        .size:           8
        .value_kind:     hidden_global_offset_x
      - .offset:         136
        .size:           8
        .value_kind:     hidden_global_offset_y
      - .offset:         144
        .size:           8
        .value_kind:     hidden_global_offset_z
      - .offset:         152
        .size:           2
        .value_kind:     hidden_grid_dims
    .group_segment_fixed_size: 0
    .kernarg_segment_align: 8
    .kernarg_segment_size: 344
    .language:       OpenCL C
    .language_version:
      - 2
      - 0
    .max_flat_workgroup_size: 64
    .name:           _ZL36rocblas_hemvn_kernel_upper_block_sumILi64EiPK19rocblas_complex_numIdEPKPS1_S1_EviT1_lS7_lT2_lT0_lPT3_i
    .private_segment_fixed_size: 0
    .sgpr_count:     32
    .sgpr_spill_count: 0
    .symbol:         _ZL36rocblas_hemvn_kernel_upper_block_sumILi64EiPK19rocblas_complex_numIdEPKPS1_S1_EviT1_lS7_lT2_lT0_lPT3_i.kd
    .uniform_work_group_size: 1
    .uses_dynamic_stack: false
    .vgpr_count:     13
    .vgpr_spill_count: 0
    .wavefront_size: 64
  - .args:
      - .offset:         0
        .size:           4
        .value_kind:     by_value
      - .offset:         8
        .size:           16
        .value_kind:     by_value
      - .offset:         24
        .size:           8
        .value_kind:     by_value
      - .address_space:  global
        .offset:         32
        .size:           8
        .value_kind:     global_buffer
      - .offset:         40
        .size:           8
        .value_kind:     by_value
      - .offset:         48
        .size:           8
        .value_kind:     by_value
      - .offset:         56
        .size:           8
        .value_kind:     by_value
      - .address_space:  global
        .offset:         64
        .size:           8
        .value_kind:     global_buffer
      - .offset:         72
        .size:           8
        .value_kind:     by_value
      - .offset:         80
        .size:           8
        .value_kind:     by_value
      - .offset:         88
        .size:           8
        .value_kind:     by_value
      - .offset:         96
        .size:           16
        .value_kind:     by_value
      - .offset:         112
        .size:           8
        .value_kind:     by_value
      - .address_space:  global
        .offset:         120
        .size:           8
        .value_kind:     global_buffer
      - .offset:         128
        .size:           4
        .value_kind:     by_value
      - .offset:         136
        .size:           4
        .value_kind:     hidden_block_count_x
      - .offset:         140
        .size:           4
        .value_kind:     hidden_block_count_y
      - .offset:         144
        .size:           4
        .value_kind:     hidden_block_count_z
      - .offset:         148
        .size:           2
        .value_kind:     hidden_group_size_x
      - .offset:         150
        .size:           2
        .value_kind:     hidden_group_size_y
      - .offset:         152
        .size:           2
        .value_kind:     hidden_group_size_z
      - .offset:         154
        .size:           2
        .value_kind:     hidden_remainder_x
      - .offset:         156
        .size:           2
        .value_kind:     hidden_remainder_y
      - .offset:         158
        .size:           2
        .value_kind:     hidden_remainder_z
      - .offset:         176
        .size:           8
        .value_kind:     hidden_global_offset_x
      - .offset:         184
        .size:           8
        .value_kind:     hidden_global_offset_y
      - .offset:         192
        .size:           8
        .value_kind:     hidden_global_offset_z
      - .offset:         200
        .size:           2
        .value_kind:     hidden_grid_dims
    .group_segment_fixed_size: 19200
    .kernarg_segment_align: 8
    .kernarg_segment_size: 392
    .language:       OpenCL C
    .language_version:
      - 2
      - 0
    .max_flat_workgroup_size: 256
    .name:           _ZL26rocblas_hemvn_kernel_upperILb1ELi64ELi4ELi33ELi32ELi16El19rocblas_complex_numIdEPKPKS1_PS1_EviT6_lT7_lT5_lS8_lS9_lS7_lT8_i
    .private_segment_fixed_size: 0
    .sgpr_count:     46
    .sgpr_spill_count: 0
    .symbol:         _ZL26rocblas_hemvn_kernel_upperILb1ELi64ELi4ELi33ELi32ELi16El19rocblas_complex_numIdEPKPKS1_PS1_EviT6_lT7_lT5_lS8_lS9_lS7_lT8_i.kd
    .uniform_work_group_size: 1
    .uses_dynamic_stack: false
    .vgpr_count:     256
    .vgpr_spill_count: 0
    .wavefront_size: 64
  - .args:
      - .offset:         0
        .size:           4
        .value_kind:     by_value
      - .offset:         8
        .size:           16
        .value_kind:     by_value
      - .offset:         24
        .size:           8
        .value_kind:     by_value
      - .offset:         32
        .size:           16
        .value_kind:     by_value
      - .offset:         48
        .size:           8
        .value_kind:     by_value
      - .actual_access:  read_only
        .address_space:  global
        .offset:         56
        .size:           8
        .value_kind:     global_buffer
      - .offset:         64
        .size:           8
        .value_kind:     by_value
      - .offset:         72
        .size:           8
        .value_kind:     by_value
      - .offset:         80
        .size:           8
        .value_kind:     by_value
      - .address_space:  global
        .offset:         88
        .size:           8
        .value_kind:     global_buffer
      - .offset:         96
        .size:           4
        .value_kind:     by_value
      - .offset:         104
        .size:           4
        .value_kind:     hidden_block_count_x
      - .offset:         108
        .size:           4
        .value_kind:     hidden_block_count_y
      - .offset:         112
        .size:           4
        .value_kind:     hidden_block_count_z
      - .offset:         116
        .size:           2
        .value_kind:     hidden_group_size_x
      - .offset:         118
        .size:           2
        .value_kind:     hidden_group_size_y
      - .offset:         120
        .size:           2
        .value_kind:     hidden_group_size_z
      - .offset:         122
        .size:           2
        .value_kind:     hidden_remainder_x
      - .offset:         124
        .size:           2
        .value_kind:     hidden_remainder_y
      - .offset:         126
        .size:           2
        .value_kind:     hidden_remainder_z
      - .offset:         144
        .size:           8
        .value_kind:     hidden_global_offset_x
      - .offset:         152
        .size:           8
        .value_kind:     hidden_global_offset_y
      - .offset:         160
        .size:           8
        .value_kind:     hidden_global_offset_z
      - .offset:         168
        .size:           2
        .value_kind:     hidden_grid_dims
    .group_segment_fixed_size: 0
    .kernarg_segment_align: 8
    .kernarg_segment_size: 360
    .language:       OpenCL C
    .language_version:
      - 2
      - 0
    .max_flat_workgroup_size: 64
    .name:           _ZL36rocblas_hemvn_kernel_upper_block_sumILi64El19rocblas_complex_numIdEPKPS1_S1_EviT1_lS5_lT2_lT0_lPT3_i
    .private_segment_fixed_size: 0
    .sgpr_count:     32
    .sgpr_spill_count: 0
    .symbol:         _ZL36rocblas_hemvn_kernel_upper_block_sumILi64El19rocblas_complex_numIdEPKPS1_S1_EviT1_lS5_lT2_lT0_lPT3_i.kd
    .uniform_work_group_size: 1
    .uses_dynamic_stack: false
    .vgpr_count:     13
    .vgpr_spill_count: 0
    .wavefront_size: 64
  - .args:
      - .offset:         0
        .size:           4
        .value_kind:     by_value
      - .offset:         8
        .size:           16
        .value_kind:     by_value
      - .offset:         24
        .size:           8
        .value_kind:     by_value
      - .address_space:  global
        .offset:         32
        .size:           8
        .value_kind:     global_buffer
      - .offset:         40
        .size:           8
        .value_kind:     by_value
      - .offset:         48
        .size:           4
        .value_kind:     by_value
      - .offset:         56
        .size:           8
        .value_kind:     by_value
      - .address_space:  global
        .offset:         64
        .size:           8
        .value_kind:     global_buffer
      - .offset:         72
        .size:           8
        .value_kind:     by_value
      - .offset:         80
        .size:           4
        .value_kind:     by_value
      - .offset:         88
        .size:           8
        .value_kind:     by_value
      - .offset:         96
        .size:           16
        .value_kind:     by_value
      - .offset:         112
        .size:           8
        .value_kind:     by_value
      - .address_space:  global
        .offset:         120
        .size:           8
        .value_kind:     global_buffer
      - .offset:         128
        .size:           4
        .value_kind:     by_value
      - .offset:         136
        .size:           4
        .value_kind:     hidden_block_count_x
      - .offset:         140
        .size:           4
        .value_kind:     hidden_block_count_y
      - .offset:         144
        .size:           4
        .value_kind:     hidden_block_count_z
      - .offset:         148
        .size:           2
        .value_kind:     hidden_group_size_x
      - .offset:         150
        .size:           2
        .value_kind:     hidden_group_size_y
      - .offset:         152
        .size:           2
        .value_kind:     hidden_group_size_z
      - .offset:         154
        .size:           2
        .value_kind:     hidden_remainder_x
      - .offset:         156
        .size:           2
        .value_kind:     hidden_remainder_y
      - .offset:         158
        .size:           2
        .value_kind:     hidden_remainder_z
      - .offset:         176
        .size:           8
        .value_kind:     hidden_global_offset_x
      - .offset:         184
        .size:           8
        .value_kind:     hidden_global_offset_y
      - .offset:         192
        .size:           8
        .value_kind:     hidden_global_offset_z
      - .offset:         200
        .size:           2
        .value_kind:     hidden_grid_dims
    .group_segment_fixed_size: 19200
    .kernarg_segment_align: 8
    .kernarg_segment_size: 392
    .language:       OpenCL C
    .language_version:
      - 2
      - 0
    .max_flat_workgroup_size: 256
    .name:           _ZL26rocblas_hemvn_kernel_upperILb1ELi64ELi4ELi33ELi32ELi16Ei19rocblas_complex_numIdEPKPKS1_PS1_EviT6_lT7_lT5_lS8_lS9_lS7_lT8_i
    .private_segment_fixed_size: 0
    .sgpr_count:     48
    .sgpr_spill_count: 0
    .symbol:         _ZL26rocblas_hemvn_kernel_upperILb1ELi64ELi4ELi33ELi32ELi16Ei19rocblas_complex_numIdEPKPKS1_PS1_EviT6_lT7_lT5_lS8_lS9_lS7_lT8_i.kd
    .uniform_work_group_size: 1
    .uses_dynamic_stack: false
    .vgpr_count:     239
    .vgpr_spill_count: 0
    .wavefront_size: 64
  - .args:
      - .offset:         0
        .size:           4
        .value_kind:     by_value
      - .offset:         8
        .size:           16
        .value_kind:     by_value
      - .offset:         24
        .size:           8
        .value_kind:     by_value
      - .offset:         32
        .size:           16
        .value_kind:     by_value
      - .offset:         48
        .size:           8
        .value_kind:     by_value
      - .actual_access:  read_only
        .address_space:  global
        .offset:         56
        .size:           8
        .value_kind:     global_buffer
      - .offset:         64
        .size:           8
        .value_kind:     by_value
      - .offset:         72
        .size:           4
        .value_kind:     by_value
      - .offset:         80
        .size:           8
        .value_kind:     by_value
      - .address_space:  global
        .offset:         88
        .size:           8
        .value_kind:     global_buffer
      - .offset:         96
        .size:           4
        .value_kind:     by_value
      - .offset:         104
        .size:           4
        .value_kind:     hidden_block_count_x
      - .offset:         108
        .size:           4
        .value_kind:     hidden_block_count_y
      - .offset:         112
        .size:           4
        .value_kind:     hidden_block_count_z
      - .offset:         116
        .size:           2
        .value_kind:     hidden_group_size_x
      - .offset:         118
        .size:           2
        .value_kind:     hidden_group_size_y
      - .offset:         120
        .size:           2
        .value_kind:     hidden_group_size_z
      - .offset:         122
        .size:           2
        .value_kind:     hidden_remainder_x
      - .offset:         124
        .size:           2
        .value_kind:     hidden_remainder_y
      - .offset:         126
        .size:           2
        .value_kind:     hidden_remainder_z
      - .offset:         144
        .size:           8
        .value_kind:     hidden_global_offset_x
      - .offset:         152
        .size:           8
        .value_kind:     hidden_global_offset_y
      - .offset:         160
        .size:           8
        .value_kind:     hidden_global_offset_z
      - .offset:         168
        .size:           2
        .value_kind:     hidden_grid_dims
    .group_segment_fixed_size: 0
    .kernarg_segment_align: 8
    .kernarg_segment_size: 360
    .language:       OpenCL C
    .language_version:
      - 2
      - 0
    .max_flat_workgroup_size: 64
    .name:           _ZL36rocblas_hemvn_kernel_upper_block_sumILi64Ei19rocblas_complex_numIdEPKPS1_S1_EviT1_lS5_lT2_lT0_lPT3_i
    .private_segment_fixed_size: 0
    .sgpr_count:     29
    .sgpr_spill_count: 0
    .symbol:         _ZL36rocblas_hemvn_kernel_upper_block_sumILi64Ei19rocblas_complex_numIdEPKPS1_S1_EviT1_lS5_lT2_lT0_lPT3_i.kd
    .uniform_work_group_size: 1
    .uses_dynamic_stack: false
    .vgpr_count:     13
    .vgpr_spill_count: 0
    .wavefront_size: 64
  - .args:
      - .offset:         0
        .size:           4
        .value_kind:     by_value
      - .address_space:  global
        .offset:         8
        .size:           8
        .value_kind:     global_buffer
      - .offset:         16
        .size:           8
        .value_kind:     by_value
      - .address_space:  global
        .offset:         24
        .size:           8
        .value_kind:     global_buffer
      - .offset:         32
        .size:           8
        .value_kind:     by_value
      - .offset:         40
        .size:           8
        .value_kind:     by_value
      - .offset:         48
        .size:           8
        .value_kind:     by_value
      - .address_space:  global
        .offset:         56
        .size:           8
        .value_kind:     global_buffer
      - .offset:         64
        .size:           8
        .value_kind:     by_value
      - .offset:         72
        .size:           8
        .value_kind:     by_value
      - .offset:         80
        .size:           8
        .value_kind:     by_value
      - .address_space:  global
        .offset:         88
        .size:           8
        .value_kind:     global_buffer
      - .offset:         96
        .size:           8
        .value_kind:     by_value
      - .address_space:  global
        .offset:         104
        .size:           8
        .value_kind:     global_buffer
      - .offset:         112
        .size:           4
        .value_kind:     by_value
      - .offset:         120
        .size:           4
        .value_kind:     hidden_block_count_x
      - .offset:         124
        .size:           4
        .value_kind:     hidden_block_count_y
      - .offset:         128
        .size:           4
        .value_kind:     hidden_block_count_z
      - .offset:         132
        .size:           2
        .value_kind:     hidden_group_size_x
      - .offset:         134
        .size:           2
        .value_kind:     hidden_group_size_y
      - .offset:         136
        .size:           2
        .value_kind:     hidden_group_size_z
      - .offset:         138
        .size:           2
        .value_kind:     hidden_remainder_x
      - .offset:         140
        .size:           2
        .value_kind:     hidden_remainder_y
      - .offset:         142
        .size:           2
        .value_kind:     hidden_remainder_z
      - .offset:         160
        .size:           8
        .value_kind:     hidden_global_offset_x
      - .offset:         168
        .size:           8
        .value_kind:     hidden_global_offset_y
      - .offset:         176
        .size:           8
        .value_kind:     hidden_global_offset_z
      - .offset:         184
        .size:           2
        .value_kind:     hidden_grid_dims
    .group_segment_fixed_size: 19200
    .kernarg_segment_align: 8
    .kernarg_segment_size: 376
    .language:       OpenCL C
    .language_version:
      - 2
      - 0
    .max_flat_workgroup_size: 256
    .name:           _ZL26rocblas_hemvn_kernel_lowerILb1ELi64ELi4ELi33ELi32ELi16ElPK19rocblas_complex_numIdEPKS3_PS1_EviT6_lT7_lT5_lS8_lS9_lS7_lT8_i
    .private_segment_fixed_size: 0
    .sgpr_count:     48
    .sgpr_spill_count: 0
    .symbol:         _ZL26rocblas_hemvn_kernel_lowerILb1ELi64ELi4ELi33ELi32ELi16ElPK19rocblas_complex_numIdEPKS3_PS1_EviT6_lT7_lT5_lS8_lS9_lS7_lT8_i.kd
    .uniform_work_group_size: 1
    .uses_dynamic_stack: false
    .vgpr_count:     215
    .vgpr_spill_count: 0
    .wavefront_size: 64
  - .args:
      - .offset:         0
        .size:           4
        .value_kind:     by_value
      - .address_space:  global
        .offset:         8
        .size:           8
        .value_kind:     global_buffer
      - .offset:         16
        .size:           8
        .value_kind:     by_value
      - .address_space:  global
        .offset:         24
        .size:           8
        .value_kind:     global_buffer
      - .offset:         32
        .size:           8
        .value_kind:     by_value
      - .actual_access:  read_only
        .address_space:  global
        .offset:         40
        .size:           8
        .value_kind:     global_buffer
      - .offset:         48
        .size:           8
        .value_kind:     by_value
      - .offset:         56
        .size:           8
        .value_kind:     by_value
      - .offset:         64
        .size:           8
        .value_kind:     by_value
      - .actual_access:  read_only
        .address_space:  global
        .offset:         72
        .size:           8
        .value_kind:     global_buffer
      - .offset:         80
        .size:           4
        .value_kind:     by_value
      - .offset:         88
        .size:           4
        .value_kind:     hidden_block_count_x
      - .offset:         92
        .size:           4
        .value_kind:     hidden_block_count_y
      - .offset:         96
        .size:           4
        .value_kind:     hidden_block_count_z
      - .offset:         100
        .size:           2
        .value_kind:     hidden_group_size_x
      - .offset:         102
        .size:           2
        .value_kind:     hidden_group_size_y
      - .offset:         104
        .size:           2
        .value_kind:     hidden_group_size_z
      - .offset:         106
        .size:           2
        .value_kind:     hidden_remainder_x
      - .offset:         108
        .size:           2
        .value_kind:     hidden_remainder_y
      - .offset:         110
        .size:           2
        .value_kind:     hidden_remainder_z
      - .offset:         128
        .size:           8
        .value_kind:     hidden_global_offset_x
      - .offset:         136
        .size:           8
        .value_kind:     hidden_global_offset_y
      - .offset:         144
        .size:           8
        .value_kind:     hidden_global_offset_z
      - .offset:         152
        .size:           2
        .value_kind:     hidden_grid_dims
    .group_segment_fixed_size: 0
    .kernarg_segment_align: 8
    .kernarg_segment_size: 344
    .language:       OpenCL C
    .language_version:
      - 2
      - 0
    .max_flat_workgroup_size: 64
    .name:           _ZL36rocblas_hemvn_kernel_lower_block_sumILi64ElPK19rocblas_complex_numIdEPKPS1_S1_EviT1_lS7_lT2_lT0_lPT3_i
    .private_segment_fixed_size: 0
    .sgpr_count:     32
    .sgpr_spill_count: 0
    .symbol:         _ZL36rocblas_hemvn_kernel_lower_block_sumILi64ElPK19rocblas_complex_numIdEPKPS1_S1_EviT1_lS7_lT2_lT0_lPT3_i.kd
    .uniform_work_group_size: 1
    .uses_dynamic_stack: false
    .vgpr_count:     12
    .vgpr_spill_count: 0
    .wavefront_size: 64
  - .args:
      - .offset:         0
        .size:           4
        .value_kind:     by_value
      - .address_space:  global
        .offset:         8
        .size:           8
        .value_kind:     global_buffer
      - .offset:         16
        .size:           8
        .value_kind:     by_value
      - .address_space:  global
        .offset:         24
        .size:           8
        .value_kind:     global_buffer
      - .offset:         32
        .size:           8
        .value_kind:     by_value
      - .offset:         40
        .size:           4
        .value_kind:     by_value
      - .offset:         48
        .size:           8
        .value_kind:     by_value
      - .address_space:  global
        .offset:         56
        .size:           8
        .value_kind:     global_buffer
      - .offset:         64
        .size:           8
        .value_kind:     by_value
      - .offset:         72
        .size:           4
        .value_kind:     by_value
      - .offset:         80
        .size:           8
        .value_kind:     by_value
      - .address_space:  global
        .offset:         88
        .size:           8
        .value_kind:     global_buffer
      - .offset:         96
        .size:           8
        .value_kind:     by_value
      - .address_space:  global
        .offset:         104
        .size:           8
        .value_kind:     global_buffer
      - .offset:         112
        .size:           4
        .value_kind:     by_value
      - .offset:         120
        .size:           4
        .value_kind:     hidden_block_count_x
      - .offset:         124
        .size:           4
        .value_kind:     hidden_block_count_y
      - .offset:         128
        .size:           4
        .value_kind:     hidden_block_count_z
      - .offset:         132
        .size:           2
        .value_kind:     hidden_group_size_x
      - .offset:         134
        .size:           2
        .value_kind:     hidden_group_size_y
      - .offset:         136
        .size:           2
        .value_kind:     hidden_group_size_z
      - .offset:         138
        .size:           2
        .value_kind:     hidden_remainder_x
      - .offset:         140
        .size:           2
        .value_kind:     hidden_remainder_y
      - .offset:         142
        .size:           2
        .value_kind:     hidden_remainder_z
      - .offset:         160
        .size:           8
        .value_kind:     hidden_global_offset_x
      - .offset:         168
        .size:           8
        .value_kind:     hidden_global_offset_y
      - .offset:         176
        .size:           8
        .value_kind:     hidden_global_offset_z
      - .offset:         184
        .size:           2
        .value_kind:     hidden_grid_dims
    .group_segment_fixed_size: 19200
    .kernarg_segment_align: 8
    .kernarg_segment_size: 376
    .language:       OpenCL C
    .language_version:
      - 2
      - 0
    .max_flat_workgroup_size: 256
    .name:           _ZL26rocblas_hemvn_kernel_lowerILb1ELi64ELi4ELi33ELi32ELi16EiPK19rocblas_complex_numIdEPKS3_PS1_EviT6_lT7_lT5_lS8_lS9_lS7_lT8_i
    .private_segment_fixed_size: 0
    .sgpr_count:     50
    .sgpr_spill_count: 0
    .symbol:         _ZL26rocblas_hemvn_kernel_lowerILb1ELi64ELi4ELi33ELi32ELi16EiPK19rocblas_complex_numIdEPKS3_PS1_EviT6_lT7_lT5_lS8_lS9_lS7_lT8_i.kd
    .uniform_work_group_size: 1
    .uses_dynamic_stack: false
    .vgpr_count:     213
    .vgpr_spill_count: 0
    .wavefront_size: 64
  - .args:
      - .offset:         0
        .size:           4
        .value_kind:     by_value
      - .address_space:  global
        .offset:         8
        .size:           8
        .value_kind:     global_buffer
      - .offset:         16
        .size:           8
        .value_kind:     by_value
      - .address_space:  global
        .offset:         24
        .size:           8
        .value_kind:     global_buffer
      - .offset:         32
        .size:           8
        .value_kind:     by_value
      - .actual_access:  read_only
        .address_space:  global
        .offset:         40
        .size:           8
        .value_kind:     global_buffer
      - .offset:         48
        .size:           8
        .value_kind:     by_value
      - .offset:         56
        .size:           4
        .value_kind:     by_value
      - .offset:         64
        .size:           8
        .value_kind:     by_value
      - .actual_access:  read_only
        .address_space:  global
        .offset:         72
        .size:           8
        .value_kind:     global_buffer
      - .offset:         80
        .size:           4
        .value_kind:     by_value
      - .offset:         88
        .size:           4
        .value_kind:     hidden_block_count_x
      - .offset:         92
        .size:           4
        .value_kind:     hidden_block_count_y
      - .offset:         96
        .size:           4
        .value_kind:     hidden_block_count_z
      - .offset:         100
        .size:           2
        .value_kind:     hidden_group_size_x
      - .offset:         102
        .size:           2
        .value_kind:     hidden_group_size_y
      - .offset:         104
        .size:           2
        .value_kind:     hidden_group_size_z
      - .offset:         106
        .size:           2
        .value_kind:     hidden_remainder_x
      - .offset:         108
        .size:           2
        .value_kind:     hidden_remainder_y
      - .offset:         110
        .size:           2
        .value_kind:     hidden_remainder_z
      - .offset:         128
        .size:           8
        .value_kind:     hidden_global_offset_x
      - .offset:         136
        .size:           8
        .value_kind:     hidden_global_offset_y
      - .offset:         144
        .size:           8
        .value_kind:     hidden_global_offset_z
      - .offset:         152
        .size:           2
        .value_kind:     hidden_grid_dims
    .group_segment_fixed_size: 0
    .kernarg_segment_align: 8
    .kernarg_segment_size: 344
    .language:       OpenCL C
    .language_version:
      - 2
      - 0
    .max_flat_workgroup_size: 64
    .name:           _ZL36rocblas_hemvn_kernel_lower_block_sumILi64EiPK19rocblas_complex_numIdEPKPS1_S1_EviT1_lS7_lT2_lT0_lPT3_i
    .private_segment_fixed_size: 0
    .sgpr_count:     32
    .sgpr_spill_count: 0
    .symbol:         _ZL36rocblas_hemvn_kernel_lower_block_sumILi64EiPK19rocblas_complex_numIdEPKPS1_S1_EviT1_lS7_lT2_lT0_lPT3_i.kd
    .uniform_work_group_size: 1
    .uses_dynamic_stack: false
    .vgpr_count:     12
    .vgpr_spill_count: 0
    .wavefront_size: 64
  - .args:
      - .offset:         0
        .size:           4
        .value_kind:     by_value
      - .offset:         8
        .size:           16
        .value_kind:     by_value
      - .offset:         24
        .size:           8
        .value_kind:     by_value
      - .address_space:  global
        .offset:         32
        .size:           8
        .value_kind:     global_buffer
      - .offset:         40
        .size:           8
        .value_kind:     by_value
      - .offset:         48
        .size:           8
        .value_kind:     by_value
      - .offset:         56
        .size:           8
        .value_kind:     by_value
      - .address_space:  global
        .offset:         64
        .size:           8
        .value_kind:     global_buffer
      - .offset:         72
        .size:           8
        .value_kind:     by_value
      - .offset:         80
        .size:           8
        .value_kind:     by_value
      - .offset:         88
        .size:           8
        .value_kind:     by_value
      - .offset:         96
        .size:           16
        .value_kind:     by_value
      - .offset:         112
        .size:           8
        .value_kind:     by_value
      - .address_space:  global
        .offset:         120
        .size:           8
        .value_kind:     global_buffer
      - .offset:         128
        .size:           4
        .value_kind:     by_value
      - .offset:         136
        .size:           4
        .value_kind:     hidden_block_count_x
      - .offset:         140
        .size:           4
        .value_kind:     hidden_block_count_y
      - .offset:         144
        .size:           4
        .value_kind:     hidden_block_count_z
      - .offset:         148
        .size:           2
        .value_kind:     hidden_group_size_x
      - .offset:         150
        .size:           2
        .value_kind:     hidden_group_size_y
      - .offset:         152
        .size:           2
        .value_kind:     hidden_group_size_z
      - .offset:         154
        .size:           2
        .value_kind:     hidden_remainder_x
      - .offset:         156
        .size:           2
        .value_kind:     hidden_remainder_y
      - .offset:         158
        .size:           2
        .value_kind:     hidden_remainder_z
      - .offset:         176
        .size:           8
        .value_kind:     hidden_global_offset_x
      - .offset:         184
        .size:           8
        .value_kind:     hidden_global_offset_y
      - .offset:         192
        .size:           8
        .value_kind:     hidden_global_offset_z
      - .offset:         200
        .size:           2
        .value_kind:     hidden_grid_dims
    .group_segment_fixed_size: 19200
    .kernarg_segment_align: 8
    .kernarg_segment_size: 392
    .language:       OpenCL C
    .language_version:
      - 2
      - 0
    .max_flat_workgroup_size: 256
    .name:           _ZL26rocblas_hemvn_kernel_lowerILb1ELi64ELi4ELi33ELi32ELi16El19rocblas_complex_numIdEPKPKS1_PS1_EviT6_lT7_lT5_lS8_lS9_lS7_lT8_i
    .private_segment_fixed_size: 0
    .sgpr_count:     48
    .sgpr_spill_count: 0
    .symbol:         _ZL26rocblas_hemvn_kernel_lowerILb1ELi64ELi4ELi33ELi32ELi16El19rocblas_complex_numIdEPKPKS1_PS1_EviT6_lT7_lT5_lS8_lS9_lS7_lT8_i.kd
    .uniform_work_group_size: 1
    .uses_dynamic_stack: false
    .vgpr_count:     215
    .vgpr_spill_count: 0
    .wavefront_size: 64
  - .args:
      - .offset:         0
        .size:           4
        .value_kind:     by_value
      - .offset:         8
        .size:           16
        .value_kind:     by_value
      - .offset:         24
        .size:           8
        .value_kind:     by_value
      - .offset:         32
        .size:           16
        .value_kind:     by_value
      - .offset:         48
        .size:           8
        .value_kind:     by_value
      - .actual_access:  read_only
        .address_space:  global
        .offset:         56
        .size:           8
        .value_kind:     global_buffer
      - .offset:         64
        .size:           8
        .value_kind:     by_value
      - .offset:         72
        .size:           8
        .value_kind:     by_value
      - .offset:         80
        .size:           8
        .value_kind:     by_value
      - .actual_access:  read_only
        .address_space:  global
        .offset:         88
        .size:           8
        .value_kind:     global_buffer
      - .offset:         96
        .size:           4
        .value_kind:     by_value
      - .offset:         104
        .size:           4
        .value_kind:     hidden_block_count_x
      - .offset:         108
        .size:           4
        .value_kind:     hidden_block_count_y
      - .offset:         112
        .size:           4
        .value_kind:     hidden_block_count_z
      - .offset:         116
        .size:           2
        .value_kind:     hidden_group_size_x
      - .offset:         118
        .size:           2
        .value_kind:     hidden_group_size_y
      - .offset:         120
        .size:           2
        .value_kind:     hidden_group_size_z
      - .offset:         122
        .size:           2
        .value_kind:     hidden_remainder_x
      - .offset:         124
        .size:           2
        .value_kind:     hidden_remainder_y
      - .offset:         126
        .size:           2
        .value_kind:     hidden_remainder_z
      - .offset:         144
        .size:           8
        .value_kind:     hidden_global_offset_x
      - .offset:         152
        .size:           8
        .value_kind:     hidden_global_offset_y
      - .offset:         160
        .size:           8
        .value_kind:     hidden_global_offset_z
      - .offset:         168
        .size:           2
        .value_kind:     hidden_grid_dims
    .group_segment_fixed_size: 0
    .kernarg_segment_align: 8
    .kernarg_segment_size: 360
    .language:       OpenCL C
    .language_version:
      - 2
      - 0
    .max_flat_workgroup_size: 64
    .name:           _ZL36rocblas_hemvn_kernel_lower_block_sumILi64El19rocblas_complex_numIdEPKPS1_S1_EviT1_lS5_lT2_lT0_lPT3_i
    .private_segment_fixed_size: 0
    .sgpr_count:     32
    .sgpr_spill_count: 0
    .symbol:         _ZL36rocblas_hemvn_kernel_lower_block_sumILi64El19rocblas_complex_numIdEPKPS1_S1_EviT1_lS5_lT2_lT0_lPT3_i.kd
    .uniform_work_group_size: 1
    .uses_dynamic_stack: false
    .vgpr_count:     12
    .vgpr_spill_count: 0
    .wavefront_size: 64
  - .args:
      - .offset:         0
        .size:           4
        .value_kind:     by_value
      - .offset:         8
        .size:           16
        .value_kind:     by_value
      - .offset:         24
        .size:           8
        .value_kind:     by_value
      - .address_space:  global
        .offset:         32
        .size:           8
        .value_kind:     global_buffer
      - .offset:         40
        .size:           8
        .value_kind:     by_value
      - .offset:         48
        .size:           4
        .value_kind:     by_value
      - .offset:         56
        .size:           8
        .value_kind:     by_value
      - .address_space:  global
        .offset:         64
        .size:           8
        .value_kind:     global_buffer
      - .offset:         72
        .size:           8
        .value_kind:     by_value
      - .offset:         80
        .size:           4
        .value_kind:     by_value
      - .offset:         88
        .size:           8
        .value_kind:     by_value
      - .offset:         96
        .size:           16
        .value_kind:     by_value
      - .offset:         112
        .size:           8
        .value_kind:     by_value
      - .address_space:  global
        .offset:         120
        .size:           8
        .value_kind:     global_buffer
      - .offset:         128
        .size:           4
        .value_kind:     by_value
      - .offset:         136
        .size:           4
        .value_kind:     hidden_block_count_x
      - .offset:         140
        .size:           4
        .value_kind:     hidden_block_count_y
      - .offset:         144
        .size:           4
        .value_kind:     hidden_block_count_z
      - .offset:         148
        .size:           2
        .value_kind:     hidden_group_size_x
      - .offset:         150
        .size:           2
        .value_kind:     hidden_group_size_y
      - .offset:         152
        .size:           2
        .value_kind:     hidden_group_size_z
      - .offset:         154
        .size:           2
        .value_kind:     hidden_remainder_x
      - .offset:         156
        .size:           2
        .value_kind:     hidden_remainder_y
      - .offset:         158
        .size:           2
        .value_kind:     hidden_remainder_z
      - .offset:         176
        .size:           8
        .value_kind:     hidden_global_offset_x
      - .offset:         184
        .size:           8
        .value_kind:     hidden_global_offset_y
      - .offset:         192
        .size:           8
        .value_kind:     hidden_global_offset_z
      - .offset:         200
        .size:           2
        .value_kind:     hidden_grid_dims
    .group_segment_fixed_size: 19200
    .kernarg_segment_align: 8
    .kernarg_segment_size: 392
    .language:       OpenCL C
    .language_version:
      - 2
      - 0
    .max_flat_workgroup_size: 256
    .name:           _ZL26rocblas_hemvn_kernel_lowerILb1ELi64ELi4ELi33ELi32ELi16Ei19rocblas_complex_numIdEPKPKS1_PS1_EviT6_lT7_lT5_lS8_lS9_lS7_lT8_i
    .private_segment_fixed_size: 0
    .sgpr_count:     50
    .sgpr_spill_count: 0
    .symbol:         _ZL26rocblas_hemvn_kernel_lowerILb1ELi64ELi4ELi33ELi32ELi16Ei19rocblas_complex_numIdEPKPKS1_PS1_EviT6_lT7_lT5_lS8_lS9_lS7_lT8_i.kd
    .uniform_work_group_size: 1
    .uses_dynamic_stack: false
    .vgpr_count:     213
    .vgpr_spill_count: 0
    .wavefront_size: 64
  - .args:
      - .offset:         0
        .size:           4
        .value_kind:     by_value
      - .offset:         8
        .size:           16
        .value_kind:     by_value
      - .offset:         24
        .size:           8
        .value_kind:     by_value
      - .offset:         32
        .size:           16
        .value_kind:     by_value
      - .offset:         48
        .size:           8
        .value_kind:     by_value
      - .actual_access:  read_only
        .address_space:  global
        .offset:         56
        .size:           8
        .value_kind:     global_buffer
      - .offset:         64
        .size:           8
        .value_kind:     by_value
      - .offset:         72
        .size:           4
        .value_kind:     by_value
      - .offset:         80
        .size:           8
        .value_kind:     by_value
      - .actual_access:  read_only
        .address_space:  global
        .offset:         88
        .size:           8
        .value_kind:     global_buffer
      - .offset:         96
        .size:           4
        .value_kind:     by_value
      - .offset:         104
        .size:           4
        .value_kind:     hidden_block_count_x
      - .offset:         108
        .size:           4
        .value_kind:     hidden_block_count_y
      - .offset:         112
        .size:           4
        .value_kind:     hidden_block_count_z
      - .offset:         116
        .size:           2
        .value_kind:     hidden_group_size_x
      - .offset:         118
        .size:           2
        .value_kind:     hidden_group_size_y
      - .offset:         120
        .size:           2
        .value_kind:     hidden_group_size_z
      - .offset:         122
        .size:           2
        .value_kind:     hidden_remainder_x
      - .offset:         124
        .size:           2
        .value_kind:     hidden_remainder_y
      - .offset:         126
        .size:           2
        .value_kind:     hidden_remainder_z
      - .offset:         144
        .size:           8
        .value_kind:     hidden_global_offset_x
      - .offset:         152
        .size:           8
        .value_kind:     hidden_global_offset_y
      - .offset:         160
        .size:           8
        .value_kind:     hidden_global_offset_z
      - .offset:         168
        .size:           2
        .value_kind:     hidden_grid_dims
    .group_segment_fixed_size: 0
    .kernarg_segment_align: 8
    .kernarg_segment_size: 360
    .language:       OpenCL C
    .language_version:
      - 2
      - 0
    .max_flat_workgroup_size: 64
    .name:           _ZL36rocblas_hemvn_kernel_lower_block_sumILi64Ei19rocblas_complex_numIdEPKPS1_S1_EviT1_lS5_lT2_lT0_lPT3_i
    .private_segment_fixed_size: 0
    .sgpr_count:     29
    .sgpr_spill_count: 0
    .symbol:         _ZL36rocblas_hemvn_kernel_lower_block_sumILi64Ei19rocblas_complex_numIdEPKPS1_S1_EviT1_lS5_lT2_lT0_lPT3_i.kd
    .uniform_work_group_size: 1
    .uses_dynamic_stack: false
    .vgpr_count:     12
    .vgpr_spill_count: 0
    .wavefront_size: 64
  - .args:
      - .offset:         0
        .size:           1
        .value_kind:     by_value
      - .offset:         4
        .size:           4
        .value_kind:     by_value
      - .offset:         8
        .size:           8
        .value_kind:     by_value
      - .offset:         16
        .size:           8
        .value_kind:     by_value
      - .address_space:  global
        .offset:         24
        .size:           8
        .value_kind:     global_buffer
      - .offset:         32
        .size:           8
        .value_kind:     by_value
      - .offset:         40
        .size:           8
        .value_kind:     by_value
      - .offset:         48
        .size:           8
        .value_kind:     by_value
      - .address_space:  global
        .offset:         56
        .size:           8
        .value_kind:     global_buffer
      - .offset:         64
        .size:           8
        .value_kind:     by_value
      - .offset:         72
        .size:           8
        .value_kind:     by_value
      - .offset:         80
        .size:           8
        .value_kind:     by_value
      - .offset:         88
        .size:           8
        .value_kind:     by_value
      - .offset:         96
        .size:           8
        .value_kind:     by_value
      - .address_space:  global
        .offset:         104
        .size:           8
        .value_kind:     global_buffer
      - .offset:         112
        .size:           8
        .value_kind:     by_value
      - .offset:         120
        .size:           8
        .value_kind:     by_value
      - .offset:         128
        .size:           8
        .value_kind:     by_value
      - .offset:         136
        .size:           4
        .value_kind:     by_value
    .group_segment_fixed_size: 5248
    .kernarg_segment_align: 8
    .kernarg_segment_size: 140
    .language:       OpenCL C
    .language_version:
      - 2
      - 0
    .max_flat_workgroup_size: 128
    .name:           _ZL50rocblas_symv_kernel_upper_double_buffered_diagonalILi32ELi4E24rocblas_internal_val_ptrIfEPKfPfEvbiT1_lT2_lllS6_lllS5_lT3_llli
    .private_segment_fixed_size: 0
    .sgpr_count:     38
    .sgpr_spill_count: 0
    .symbol:         _ZL50rocblas_symv_kernel_upper_double_buffered_diagonalILi32ELi4E24rocblas_internal_val_ptrIfEPKfPfEvbiT1_lT2_lllS6_lllS5_lT3_llli.kd
    .uniform_work_group_size: 1
    .uses_dynamic_stack: false
    .vgpr_count:     18
    .vgpr_spill_count: 0
    .wavefront_size: 64
  - .args:
      - .offset:         0
        .size:           1
        .value_kind:     by_value
      - .offset:         4
        .size:           4
        .value_kind:     by_value
      - .offset:         8
        .size:           8
        .value_kind:     by_value
      - .offset:         16
        .size:           8
        .value_kind:     by_value
      - .address_space:  global
        .offset:         24
        .size:           8
        .value_kind:     global_buffer
      - .offset:         32
        .size:           8
        .value_kind:     by_value
      - .offset:         40
        .size:           8
        .value_kind:     by_value
      - .offset:         48
        .size:           8
        .value_kind:     by_value
      - .address_space:  global
        .offset:         56
        .size:           8
        .value_kind:     global_buffer
      - .offset:         64
        .size:           8
        .value_kind:     by_value
      - .offset:         72
        .size:           8
        .value_kind:     by_value
      - .offset:         80
        .size:           8
        .value_kind:     by_value
      - .address_space:  global
        .offset:         88
        .size:           8
        .value_kind:     global_buffer
      - .offset:         96
        .size:           8
        .value_kind:     by_value
      - .offset:         104
        .size:           8
        .value_kind:     by_value
      - .offset:         112
        .size:           8
        .value_kind:     by_value
      - .offset:         120
        .size:           4
        .value_kind:     by_value
      - .offset:         128
        .size:           4
        .value_kind:     hidden_block_count_x
      - .offset:         132
        .size:           4
        .value_kind:     hidden_block_count_y
      - .offset:         136
        .size:           4
        .value_kind:     hidden_block_count_z
      - .offset:         140
        .size:           2
        .value_kind:     hidden_group_size_x
      - .offset:         142
        .size:           2
        .value_kind:     hidden_group_size_y
      - .offset:         144
        .size:           2
        .value_kind:     hidden_group_size_z
      - .offset:         146
        .size:           2
        .value_kind:     hidden_remainder_x
      - .offset:         148
        .size:           2
        .value_kind:     hidden_remainder_y
      - .offset:         150
        .size:           2
        .value_kind:     hidden_remainder_z
      - .offset:         168
        .size:           8
        .value_kind:     hidden_global_offset_x
      - .offset:         176
        .size:           8
        .value_kind:     hidden_global_offset_y
      - .offset:         184
        .size:           8
        .value_kind:     hidden_global_offset_z
      - .offset:         192
        .size:           2
        .value_kind:     hidden_grid_dims
    .group_segment_fixed_size: 3200
    .kernarg_segment_align: 8
    .kernarg_segment_size: 384
    .language:       OpenCL C
    .language_version:
      - 2
      - 0
    .max_flat_workgroup_size: 128
    .name:           _ZL54rocblas_symv_kernel_upper_double_buffered_non_diagonalILi32ELi4ELi4E24rocblas_internal_val_ptrIfEPKfPfEvbiT2_lT3_lllS6_lllT4_llli
    .private_segment_fixed_size: 0
    .sgpr_count:     40
    .sgpr_spill_count: 0
    .symbol:         _ZL54rocblas_symv_kernel_upper_double_buffered_non_diagonalILi32ELi4ELi4E24rocblas_internal_val_ptrIfEPKfPfEvbiT2_lT3_lllS6_lllT4_llli.kd
    .uniform_work_group_size: 1
    .uses_dynamic_stack: false
    .vgpr_count:     46
    .vgpr_spill_count: 0
    .wavefront_size: 64
  - .args:
      - .offset:         0
        .size:           1
        .value_kind:     by_value
      - .offset:         4
        .size:           4
        .value_kind:     by_value
      - .offset:         8
        .size:           8
        .value_kind:     by_value
      - .offset:         16
        .size:           8
        .value_kind:     by_value
      - .address_space:  global
        .offset:         24
        .size:           8
        .value_kind:     global_buffer
      - .offset:         32
        .size:           8
        .value_kind:     by_value
      - .offset:         40
        .size:           8
        .value_kind:     by_value
      - .offset:         48
        .size:           8
        .value_kind:     by_value
      - .address_space:  global
        .offset:         56
        .size:           8
        .value_kind:     global_buffer
      - .offset:         64
        .size:           8
        .value_kind:     by_value
      - .offset:         72
        .size:           8
        .value_kind:     by_value
      - .offset:         80
        .size:           8
        .value_kind:     by_value
      - .offset:         88
        .size:           8
        .value_kind:     by_value
      - .offset:         96
        .size:           8
        .value_kind:     by_value
      - .address_space:  global
        .offset:         104
        .size:           8
        .value_kind:     global_buffer
      - .offset:         112
        .size:           8
        .value_kind:     by_value
      - .offset:         120
        .size:           8
        .value_kind:     by_value
      - .offset:         128
        .size:           8
        .value_kind:     by_value
      - .offset:         136
        .size:           4
        .value_kind:     by_value
      - .offset:         140
        .size:           4
        .value_kind:     by_value
      - .offset:         144
        .size:           4
        .value_kind:     hidden_block_count_x
      - .offset:         148
        .size:           4
        .value_kind:     hidden_block_count_y
      - .offset:         152
        .size:           4
        .value_kind:     hidden_block_count_z
      - .offset:         156
        .size:           2
        .value_kind:     hidden_group_size_x
      - .offset:         158
        .size:           2
        .value_kind:     hidden_group_size_y
      - .offset:         160
        .size:           2
        .value_kind:     hidden_group_size_z
      - .offset:         162
        .size:           2
        .value_kind:     hidden_remainder_x
      - .offset:         164
        .size:           2
        .value_kind:     hidden_remainder_y
      - .offset:         166
        .size:           2
        .value_kind:     hidden_remainder_z
      - .offset:         184
        .size:           8
        .value_kind:     hidden_global_offset_x
      - .offset:         192
        .size:           8
        .value_kind:     hidden_global_offset_y
      - .offset:         200
        .size:           8
        .value_kind:     hidden_global_offset_z
      - .offset:         208
        .size:           2
        .value_kind:     hidden_grid_dims
    .group_segment_fixed_size: 6272
    .kernarg_segment_align: 8
    .kernarg_segment_size: 400
    .language:       OpenCL C
    .language_version:
      - 2
      - 0
    .max_flat_workgroup_size: 256
    .name:           _ZL58rocblas_symv_kernel_upper_double_buffered_diagonal_genericILi32ELi8E24rocblas_internal_val_ptrIfEPKfPfEvbiT1_lT2_lllS6_lllS5_lT3_lllii
    .private_segment_fixed_size: 0
    .sgpr_count:     46
    .sgpr_spill_count: 0
    .symbol:         _ZL58rocblas_symv_kernel_upper_double_buffered_diagonal_genericILi32ELi8E24rocblas_internal_val_ptrIfEPKfPfEvbiT1_lT2_lllS6_lllS5_lT3_lllii.kd
    .uniform_work_group_size: 1
    .uses_dynamic_stack: false
    .vgpr_count:     20
    .vgpr_spill_count: 0
    .wavefront_size: 64
  - .args:
      - .offset:         0
        .size:           1
        .value_kind:     by_value
      - .offset:         4
        .size:           4
        .value_kind:     by_value
      - .offset:         8
        .size:           8
        .value_kind:     by_value
      - .offset:         16
        .size:           8
        .value_kind:     by_value
      - .address_space:  global
        .offset:         24
        .size:           8
        .value_kind:     global_buffer
      - .offset:         32
        .size:           8
        .value_kind:     by_value
      - .offset:         40
        .size:           8
        .value_kind:     by_value
      - .offset:         48
        .size:           8
        .value_kind:     by_value
      - .address_space:  global
        .offset:         56
        .size:           8
        .value_kind:     global_buffer
      - .offset:         64
        .size:           8
        .value_kind:     by_value
      - .offset:         72
        .size:           8
        .value_kind:     by_value
      - .offset:         80
        .size:           8
        .value_kind:     by_value
      - .address_space:  global
        .offset:         88
        .size:           8
        .value_kind:     global_buffer
      - .offset:         96
        .size:           8
        .value_kind:     by_value
      - .offset:         104
        .size:           8
        .value_kind:     by_value
      - .offset:         112
        .size:           8
        .value_kind:     by_value
      - .offset:         120
        .size:           4
        .value_kind:     by_value
      - .offset:         124
        .size:           4
        .value_kind:     by_value
      - .offset:         128
        .size:           4
        .value_kind:     hidden_block_count_x
      - .offset:         132
        .size:           4
        .value_kind:     hidden_block_count_y
      - .offset:         136
        .size:           4
        .value_kind:     hidden_block_count_z
      - .offset:         140
        .size:           2
        .value_kind:     hidden_group_size_x
      - .offset:         142
        .size:           2
        .value_kind:     hidden_group_size_y
      - .offset:         144
        .size:           2
        .value_kind:     hidden_group_size_z
      - .offset:         146
        .size:           2
        .value_kind:     hidden_remainder_x
      - .offset:         148
        .size:           2
        .value_kind:     hidden_remainder_y
      - .offset:         150
        .size:           2
        .value_kind:     hidden_remainder_z
      - .offset:         168
        .size:           8
        .value_kind:     hidden_global_offset_x
      - .offset:         176
        .size:           8
        .value_kind:     hidden_global_offset_y
      - .offset:         184
        .size:           8
        .value_kind:     hidden_global_offset_z
      - .offset:         192
        .size:           2
        .value_kind:     hidden_grid_dims
    .group_segment_fixed_size: 4224
    .kernarg_segment_align: 8
    .kernarg_segment_size: 384
    .language:       OpenCL C
    .language_version:
      - 2
      - 0
    .max_flat_workgroup_size: 256
    .name:           _ZL62rocblas_symv_kernel_upper_double_buffered_non_diagonal_genericILi32ELi8ELi2ELi0E24rocblas_internal_val_ptrIfEPKfPfEvbiT3_lT4_lllS6_lllT5_lllii
    .private_segment_fixed_size: 0
    .sgpr_count:     41
    .sgpr_spill_count: 0
    .symbol:         _ZL62rocblas_symv_kernel_upper_double_buffered_non_diagonal_genericILi32ELi8ELi2ELi0E24rocblas_internal_val_ptrIfEPKfPfEvbiT3_lT4_lllS6_lllT5_lllii.kd
    .uniform_work_group_size: 1
    .uses_dynamic_stack: false
    .vgpr_count:     34
    .vgpr_spill_count: 0
    .wavefront_size: 64
  - .args:
      - .offset:         0
        .size:           1
        .value_kind:     by_value
      - .offset:         4
        .size:           4
        .value_kind:     by_value
      - .offset:         8
        .size:           8
        .value_kind:     by_value
      - .offset:         16
        .size:           8
        .value_kind:     by_value
      - .address_space:  global
        .offset:         24
        .size:           8
        .value_kind:     global_buffer
      - .offset:         32
        .size:           8
        .value_kind:     by_value
      - .offset:         40
        .size:           8
        .value_kind:     by_value
      - .offset:         48
        .size:           8
        .value_kind:     by_value
      - .address_space:  global
        .offset:         56
        .size:           8
        .value_kind:     global_buffer
      - .offset:         64
        .size:           8
        .value_kind:     by_value
      - .offset:         72
        .size:           8
        .value_kind:     by_value
      - .offset:         80
        .size:           8
        .value_kind:     by_value
      - .address_space:  global
        .offset:         88
        .size:           8
        .value_kind:     global_buffer
      - .offset:         96
        .size:           8
        .value_kind:     by_value
      - .offset:         104
        .size:           8
        .value_kind:     by_value
      - .offset:         112
        .size:           8
        .value_kind:     by_value
      - .offset:         120
        .size:           4
        .value_kind:     by_value
      - .offset:         124
        .size:           4
        .value_kind:     by_value
      - .offset:         128
        .size:           4
        .value_kind:     hidden_block_count_x
      - .offset:         132
        .size:           4
        .value_kind:     hidden_block_count_y
      - .offset:         136
        .size:           4
        .value_kind:     hidden_block_count_z
      - .offset:         140
        .size:           2
        .value_kind:     hidden_group_size_x
      - .offset:         142
        .size:           2
        .value_kind:     hidden_group_size_y
      - .offset:         144
        .size:           2
        .value_kind:     hidden_group_size_z
      - .offset:         146
        .size:           2
        .value_kind:     hidden_remainder_x
      - .offset:         148
        .size:           2
        .value_kind:     hidden_remainder_y
      - .offset:         150
        .size:           2
        .value_kind:     hidden_remainder_z
      - .offset:         168
        .size:           8
        .value_kind:     hidden_global_offset_x
      - .offset:         176
        .size:           8
        .value_kind:     hidden_global_offset_y
      - .offset:         184
        .size:           8
        .value_kind:     hidden_global_offset_z
      - .offset:         192
        .size:           2
        .value_kind:     hidden_grid_dims
    .group_segment_fixed_size: 4224
    .kernarg_segment_align: 8
    .kernarg_segment_size: 384
    .language:       OpenCL C
    .language_version:
      - 2
      - 0
    .max_flat_workgroup_size: 256
    .name:           _ZL62rocblas_symv_kernel_upper_double_buffered_non_diagonal_genericILi32ELi8ELi2ELi1E24rocblas_internal_val_ptrIfEPKfPfEvbiT3_lT4_lllS6_lllT5_lllii
    .private_segment_fixed_size: 0
    .sgpr_count:     43
    .sgpr_spill_count: 0
    .symbol:         _ZL62rocblas_symv_kernel_upper_double_buffered_non_diagonal_genericILi32ELi8ELi2ELi1E24rocblas_internal_val_ptrIfEPKfPfEvbiT3_lT4_lllS6_lllT5_lllii.kd
    .uniform_work_group_size: 1
    .uses_dynamic_stack: false
    .vgpr_count:     34
    .vgpr_spill_count: 0
    .wavefront_size: 64
  - .args:
      - .offset:         0
        .size:           4
        .value_kind:     by_value
      - .address_space:  global
        .offset:         8
        .size:           8
        .value_kind:     global_buffer
      - .offset:         16
        .size:           8
        .value_kind:     by_value
      - .address_space:  global
        .offset:         24
        .size:           8
        .value_kind:     global_buffer
      - .offset:         32
        .size:           8
        .value_kind:     by_value
      - .offset:         40
        .size:           8
        .value_kind:     by_value
      - .offset:         48
        .size:           8
        .value_kind:     by_value
      - .address_space:  global
        .offset:         56
        .size:           8
        .value_kind:     global_buffer
      - .offset:         64
        .size:           8
        .value_kind:     by_value
      - .offset:         72
        .size:           8
        .value_kind:     by_value
      - .offset:         80
        .size:           8
        .value_kind:     by_value
      - .address_space:  global
        .offset:         88
        .size:           8
        .value_kind:     global_buffer
      - .offset:         96
        .size:           8
        .value_kind:     by_value
      - .address_space:  global
        .offset:         104
        .size:           8
        .value_kind:     global_buffer
      - .offset:         112
        .size:           4
        .value_kind:     by_value
      - .offset:         120
        .size:           4
        .value_kind:     hidden_block_count_x
      - .offset:         124
        .size:           4
        .value_kind:     hidden_block_count_y
      - .offset:         128
        .size:           4
        .value_kind:     hidden_block_count_z
      - .offset:         132
        .size:           2
        .value_kind:     hidden_group_size_x
      - .offset:         134
        .size:           2
        .value_kind:     hidden_group_size_y
      - .offset:         136
        .size:           2
        .value_kind:     hidden_group_size_z
      - .offset:         138
        .size:           2
        .value_kind:     hidden_remainder_x
      - .offset:         140
        .size:           2
        .value_kind:     hidden_remainder_y
      - .offset:         142
        .size:           2
        .value_kind:     hidden_remainder_z
      - .offset:         160
        .size:           8
        .value_kind:     hidden_global_offset_x
      - .offset:         168
        .size:           8
        .value_kind:     hidden_global_offset_y
      - .offset:         176
        .size:           8
        .value_kind:     hidden_global_offset_z
      - .offset:         184
        .size:           2
        .value_kind:     hidden_grid_dims
    .group_segment_fixed_size: 4800
    .kernarg_segment_align: 8
    .kernarg_segment_size: 376
    .language:       OpenCL C
    .language_version:
      - 2
      - 0
    .max_flat_workgroup_size: 256
    .name:           _ZL26rocblas_hemvn_kernel_upperILb0ELi64ELi4ELi33ELi32ELi16ElPKfS1_PfEviT6_lT7_lT5_lS4_lS5_lS3_lT8_i
    .private_segment_fixed_size: 0
    .sgpr_count:     48
    .sgpr_spill_count: 0
    .symbol:         _ZL26rocblas_hemvn_kernel_upperILb0ELi64ELi4ELi33ELi32ELi16ElPKfS1_PfEviT6_lT7_lT5_lS4_lS5_lS3_lT8_i.kd
    .uniform_work_group_size: 1
    .uses_dynamic_stack: false
    .vgpr_count:     108
    .vgpr_spill_count: 0
    .wavefront_size: 64
  - .args:
      - .offset:         0
        .size:           4
        .value_kind:     by_value
      - .address_space:  global
        .offset:         8
        .size:           8
        .value_kind:     global_buffer
      - .offset:         16
        .size:           8
        .value_kind:     by_value
      - .address_space:  global
        .offset:         24
        .size:           8
        .value_kind:     global_buffer
      - .offset:         32
        .size:           8
        .value_kind:     by_value
      - .address_space:  global
        .offset:         40
        .size:           8
        .value_kind:     global_buffer
      - .offset:         48
        .size:           8
        .value_kind:     by_value
      - .offset:         56
        .size:           8
        .value_kind:     by_value
      - .offset:         64
        .size:           8
        .value_kind:     by_value
      - .address_space:  global
        .offset:         72
        .size:           8
        .value_kind:     global_buffer
      - .offset:         80
        .size:           4
        .value_kind:     by_value
      - .offset:         88
        .size:           4
        .value_kind:     hidden_block_count_x
      - .offset:         92
        .size:           4
        .value_kind:     hidden_block_count_y
      - .offset:         96
        .size:           4
        .value_kind:     hidden_block_count_z
      - .offset:         100
        .size:           2
        .value_kind:     hidden_group_size_x
      - .offset:         102
        .size:           2
        .value_kind:     hidden_group_size_y
      - .offset:         104
        .size:           2
        .value_kind:     hidden_group_size_z
      - .offset:         106
        .size:           2
        .value_kind:     hidden_remainder_x
      - .offset:         108
        .size:           2
        .value_kind:     hidden_remainder_y
      - .offset:         110
        .size:           2
        .value_kind:     hidden_remainder_z
      - .offset:         128
        .size:           8
        .value_kind:     hidden_global_offset_x
      - .offset:         136
        .size:           8
        .value_kind:     hidden_global_offset_y
      - .offset:         144
        .size:           8
        .value_kind:     hidden_global_offset_z
      - .offset:         152
        .size:           2
        .value_kind:     hidden_grid_dims
    .group_segment_fixed_size: 0
    .kernarg_segment_align: 8
    .kernarg_segment_size: 344
    .language:       OpenCL C
    .language_version:
      - 2
      - 0
    .max_flat_workgroup_size: 64
    .name:           _ZL36rocblas_hemvn_kernel_upper_block_sumILi64ElPKfPffEviT1_lS3_lT2_lT0_lPT3_i
    .private_segment_fixed_size: 0
    .sgpr_count:     26
    .sgpr_spill_count: 0
    .symbol:         _ZL36rocblas_hemvn_kernel_upper_block_sumILi64ElPKfPffEviT1_lS3_lT2_lT0_lPT3_i.kd
    .uniform_work_group_size: 1
    .uses_dynamic_stack: false
    .vgpr_count:     7
    .vgpr_spill_count: 0
    .wavefront_size: 64
  - .args:
      - .offset:         0
        .size:           4
        .value_kind:     by_value
      - .address_space:  global
        .offset:         8
        .size:           8
        .value_kind:     global_buffer
      - .offset:         16
        .size:           8
        .value_kind:     by_value
      - .address_space:  global
        .offset:         24
        .size:           8
        .value_kind:     global_buffer
      - .offset:         32
        .size:           8
        .value_kind:     by_value
      - .offset:         40
        .size:           4
        .value_kind:     by_value
      - .offset:         48
        .size:           8
        .value_kind:     by_value
      - .address_space:  global
        .offset:         56
        .size:           8
        .value_kind:     global_buffer
      - .offset:         64
        .size:           8
        .value_kind:     by_value
      - .offset:         72
        .size:           4
        .value_kind:     by_value
      - .offset:         80
        .size:           8
        .value_kind:     by_value
      - .address_space:  global
        .offset:         88
        .size:           8
        .value_kind:     global_buffer
      - .offset:         96
        .size:           8
        .value_kind:     by_value
      - .address_space:  global
        .offset:         104
        .size:           8
        .value_kind:     global_buffer
      - .offset:         112
        .size:           4
        .value_kind:     by_value
      - .offset:         120
        .size:           4
        .value_kind:     hidden_block_count_x
      - .offset:         124
        .size:           4
        .value_kind:     hidden_block_count_y
      - .offset:         128
        .size:           4
        .value_kind:     hidden_block_count_z
      - .offset:         132
        .size:           2
        .value_kind:     hidden_group_size_x
      - .offset:         134
        .size:           2
        .value_kind:     hidden_group_size_y
      - .offset:         136
        .size:           2
        .value_kind:     hidden_group_size_z
      - .offset:         138
        .size:           2
        .value_kind:     hidden_remainder_x
      - .offset:         140
        .size:           2
        .value_kind:     hidden_remainder_y
      - .offset:         142
        .size:           2
        .value_kind:     hidden_remainder_z
      - .offset:         160
        .size:           8
        .value_kind:     hidden_global_offset_x
      - .offset:         168
        .size:           8
        .value_kind:     hidden_global_offset_y
      - .offset:         176
        .size:           8
        .value_kind:     hidden_global_offset_z
      - .offset:         184
        .size:           2
        .value_kind:     hidden_grid_dims
    .group_segment_fixed_size: 4800
    .kernarg_segment_align: 8
    .kernarg_segment_size: 376
    .language:       OpenCL C
    .language_version:
      - 2
      - 0
    .max_flat_workgroup_size: 256
    .name:           _ZL26rocblas_hemvn_kernel_upperILb0ELi64ELi4ELi33ELi32ELi16EiPKfS1_PfEviT6_lT7_lT5_lS4_lS5_lS3_lT8_i
    .private_segment_fixed_size: 0
    .sgpr_count:     60
    .sgpr_spill_count: 0
    .symbol:         _ZL26rocblas_hemvn_kernel_upperILb0ELi64ELi4ELi33ELi32ELi16EiPKfS1_PfEviT6_lT7_lT5_lS4_lS5_lS3_lT8_i.kd
    .uniform_work_group_size: 1
    .uses_dynamic_stack: false
    .vgpr_count:     128
    .vgpr_spill_count: 0
    .wavefront_size: 64
  - .args:
      - .offset:         0
        .size:           4
        .value_kind:     by_value
      - .address_space:  global
        .offset:         8
        .size:           8
        .value_kind:     global_buffer
      - .offset:         16
        .size:           8
        .value_kind:     by_value
      - .address_space:  global
        .offset:         24
        .size:           8
        .value_kind:     global_buffer
      - .offset:         32
        .size:           8
        .value_kind:     by_value
      - .address_space:  global
        .offset:         40
        .size:           8
        .value_kind:     global_buffer
      - .offset:         48
        .size:           8
        .value_kind:     by_value
      - .offset:         56
        .size:           4
        .value_kind:     by_value
      - .offset:         64
        .size:           8
        .value_kind:     by_value
      - .address_space:  global
        .offset:         72
        .size:           8
        .value_kind:     global_buffer
      - .offset:         80
        .size:           4
        .value_kind:     by_value
      - .offset:         88
        .size:           4
        .value_kind:     hidden_block_count_x
      - .offset:         92
        .size:           4
        .value_kind:     hidden_block_count_y
      - .offset:         96
        .size:           4
        .value_kind:     hidden_block_count_z
      - .offset:         100
        .size:           2
        .value_kind:     hidden_group_size_x
      - .offset:         102
        .size:           2
        .value_kind:     hidden_group_size_y
      - .offset:         104
        .size:           2
        .value_kind:     hidden_group_size_z
      - .offset:         106
        .size:           2
        .value_kind:     hidden_remainder_x
      - .offset:         108
        .size:           2
        .value_kind:     hidden_remainder_y
      - .offset:         110
        .size:           2
        .value_kind:     hidden_remainder_z
      - .offset:         128
        .size:           8
        .value_kind:     hidden_global_offset_x
      - .offset:         136
        .size:           8
        .value_kind:     hidden_global_offset_y
      - .offset:         144
        .size:           8
        .value_kind:     hidden_global_offset_z
      - .offset:         152
        .size:           2
        .value_kind:     hidden_grid_dims
    .group_segment_fixed_size: 0
    .kernarg_segment_align: 8
    .kernarg_segment_size: 344
    .language:       OpenCL C
    .language_version:
      - 2
      - 0
    .max_flat_workgroup_size: 64
    .name:           _ZL36rocblas_hemvn_kernel_upper_block_sumILi64EiPKfPffEviT1_lS3_lT2_lT0_lPT3_i
    .private_segment_fixed_size: 0
    .sgpr_count:     25
    .sgpr_spill_count: 0
    .symbol:         _ZL36rocblas_hemvn_kernel_upper_block_sumILi64EiPKfPffEviT1_lS3_lT2_lT0_lPT3_i.kd
    .uniform_work_group_size: 1
    .uses_dynamic_stack: false
    .vgpr_count:     6
    .vgpr_spill_count: 0
    .wavefront_size: 64
  - .args:
      - .offset:         0
        .size:           4
        .value_kind:     by_value
      - .offset:         4
        .size:           4
        .value_kind:     by_value
      - .offset:         8
        .size:           8
        .value_kind:     by_value
      - .address_space:  global
        .offset:         16
        .size:           8
        .value_kind:     global_buffer
      - .offset:         24
        .size:           8
        .value_kind:     by_value
      - .offset:         32
        .size:           8
        .value_kind:     by_value
      - .offset:         40
        .size:           8
        .value_kind:     by_value
      - .address_space:  global
        .offset:         48
        .size:           8
        .value_kind:     global_buffer
      - .offset:         56
        .size:           8
        .value_kind:     by_value
      - .offset:         64
        .size:           8
        .value_kind:     by_value
      - .offset:         72
        .size:           8
        .value_kind:     by_value
      - .offset:         80
        .size:           4
        .value_kind:     by_value
      - .offset:         88
        .size:           8
        .value_kind:     by_value
      - .address_space:  global
        .offset:         96
        .size:           8
        .value_kind:     global_buffer
      - .offset:         104
        .size:           4
        .value_kind:     by_value
      - .offset:         112
        .size:           4
        .value_kind:     hidden_block_count_x
      - .offset:         116
        .size:           4
        .value_kind:     hidden_block_count_y
      - .offset:         120
        .size:           4
        .value_kind:     hidden_block_count_z
      - .offset:         124
        .size:           2
        .value_kind:     hidden_group_size_x
      - .offset:         126
        .size:           2
        .value_kind:     hidden_group_size_y
      - .offset:         128
        .size:           2
        .value_kind:     hidden_group_size_z
      - .offset:         130
        .size:           2
        .value_kind:     hidden_remainder_x
      - .offset:         132
        .size:           2
        .value_kind:     hidden_remainder_y
      - .offset:         134
        .size:           2
        .value_kind:     hidden_remainder_z
      - .offset:         152
        .size:           8
        .value_kind:     hidden_global_offset_x
      - .offset:         160
        .size:           8
        .value_kind:     hidden_global_offset_y
      - .offset:         168
        .size:           8
        .value_kind:     hidden_global_offset_z
      - .offset:         176
        .size:           2
        .value_kind:     hidden_grid_dims
    .group_segment_fixed_size: 4800
    .kernarg_segment_align: 8
    .kernarg_segment_size: 368
    .language:       OpenCL C
    .language_version:
      - 2
      - 0
    .max_flat_workgroup_size: 256
    .name:           _ZL26rocblas_hemvn_kernel_upperILb0ELi64ELi4ELi33ELi32ELi16ElfPKfPfEviT6_lT7_lT5_lS4_lS5_lS3_lT8_i
    .private_segment_fixed_size: 0
    .sgpr_count:     48
    .sgpr_spill_count: 0
    .symbol:         _ZL26rocblas_hemvn_kernel_upperILb0ELi64ELi4ELi33ELi32ELi16ElfPKfPfEviT6_lT7_lT5_lS4_lS5_lS3_lT8_i.kd
    .uniform_work_group_size: 1
    .uses_dynamic_stack: false
    .vgpr_count:     108
    .vgpr_spill_count: 0
    .wavefront_size: 64
  - .args:
      - .offset:         0
        .size:           4
        .value_kind:     by_value
      - .offset:         4
        .size:           4
        .value_kind:     by_value
      - .offset:         8
        .size:           8
        .value_kind:     by_value
      - .offset:         16
        .size:           4
        .value_kind:     by_value
      - .offset:         24
        .size:           8
        .value_kind:     by_value
      - .address_space:  global
        .offset:         32
        .size:           8
        .value_kind:     global_buffer
      - .offset:         40
        .size:           8
        .value_kind:     by_value
      - .offset:         48
        .size:           8
        .value_kind:     by_value
      - .offset:         56
        .size:           8
        .value_kind:     by_value
      - .address_space:  global
        .offset:         64
        .size:           8
        .value_kind:     global_buffer
      - .offset:         72
        .size:           4
        .value_kind:     by_value
      - .offset:         80
        .size:           4
        .value_kind:     hidden_block_count_x
      - .offset:         84
        .size:           4
        .value_kind:     hidden_block_count_y
      - .offset:         88
        .size:           4
        .value_kind:     hidden_block_count_z
      - .offset:         92
        .size:           2
        .value_kind:     hidden_group_size_x
      - .offset:         94
        .size:           2
        .value_kind:     hidden_group_size_y
      - .offset:         96
        .size:           2
        .value_kind:     hidden_group_size_z
      - .offset:         98
        .size:           2
        .value_kind:     hidden_remainder_x
      - .offset:         100
        .size:           2
        .value_kind:     hidden_remainder_y
      - .offset:         102
        .size:           2
        .value_kind:     hidden_remainder_z
      - .offset:         120
        .size:           8
        .value_kind:     hidden_global_offset_x
      - .offset:         128
        .size:           8
        .value_kind:     hidden_global_offset_y
      - .offset:         136
        .size:           8
        .value_kind:     hidden_global_offset_z
      - .offset:         144
        .size:           2
        .value_kind:     hidden_grid_dims
    .group_segment_fixed_size: 0
    .kernarg_segment_align: 8
    .kernarg_segment_size: 336
    .language:       OpenCL C
    .language_version:
      - 2
      - 0
    .max_flat_workgroup_size: 64
    .name:           _ZL36rocblas_hemvn_kernel_upper_block_sumILi64ElfPffEviT1_lS1_lT2_lT0_lPT3_i
    .private_segment_fixed_size: 0
    .sgpr_count:     25
    .sgpr_spill_count: 0
    .symbol:         _ZL36rocblas_hemvn_kernel_upper_block_sumILi64ElfPffEviT1_lS1_lT2_lT0_lPT3_i.kd
    .uniform_work_group_size: 1
    .uses_dynamic_stack: false
    .vgpr_count:     7
    .vgpr_spill_count: 0
    .wavefront_size: 64
  - .args:
      - .offset:         0
        .size:           4
        .value_kind:     by_value
      - .offset:         4
        .size:           4
        .value_kind:     by_value
      - .offset:         8
        .size:           8
        .value_kind:     by_value
      - .address_space:  global
        .offset:         16
        .size:           8
        .value_kind:     global_buffer
      - .offset:         24
        .size:           8
        .value_kind:     by_value
      - .offset:         32
        .size:           4
        .value_kind:     by_value
      - .offset:         40
        .size:           8
        .value_kind:     by_value
      - .address_space:  global
        .offset:         48
        .size:           8
        .value_kind:     global_buffer
      - .offset:         56
        .size:           8
        .value_kind:     by_value
      - .offset:         64
        .size:           4
        .value_kind:     by_value
      - .offset:         72
        .size:           8
        .value_kind:     by_value
      - .offset:         80
        .size:           4
        .value_kind:     by_value
      - .offset:         88
        .size:           8
        .value_kind:     by_value
      - .address_space:  global
        .offset:         96
        .size:           8
        .value_kind:     global_buffer
      - .offset:         104
        .size:           4
        .value_kind:     by_value
      - .offset:         112
        .size:           4
        .value_kind:     hidden_block_count_x
      - .offset:         116
        .size:           4
        .value_kind:     hidden_block_count_y
      - .offset:         120
        .size:           4
        .value_kind:     hidden_block_count_z
      - .offset:         124
        .size:           2
        .value_kind:     hidden_group_size_x
      - .offset:         126
        .size:           2
        .value_kind:     hidden_group_size_y
      - .offset:         128
        .size:           2
        .value_kind:     hidden_group_size_z
      - .offset:         130
        .size:           2
        .value_kind:     hidden_remainder_x
      - .offset:         132
        .size:           2
        .value_kind:     hidden_remainder_y
      - .offset:         134
        .size:           2
        .value_kind:     hidden_remainder_z
      - .offset:         152
        .size:           8
        .value_kind:     hidden_global_offset_x
      - .offset:         160
        .size:           8
        .value_kind:     hidden_global_offset_y
      - .offset:         168
        .size:           8
        .value_kind:     hidden_global_offset_z
      - .offset:         176
        .size:           2
        .value_kind:     hidden_grid_dims
    .group_segment_fixed_size: 4800
    .kernarg_segment_align: 8
    .kernarg_segment_size: 368
    .language:       OpenCL C
    .language_version:
      - 2
      - 0
    .max_flat_workgroup_size: 256
    .name:           _ZL26rocblas_hemvn_kernel_upperILb0ELi64ELi4ELi33ELi32ELi16EifPKfPfEviT6_lT7_lT5_lS4_lS5_lS3_lT8_i
    .private_segment_fixed_size: 0
    .sgpr_count:     60
    .sgpr_spill_count: 0
    .symbol:         _ZL26rocblas_hemvn_kernel_upperILb0ELi64ELi4ELi33ELi32ELi16EifPKfPfEviT6_lT7_lT5_lS4_lS5_lS3_lT8_i.kd
    .uniform_work_group_size: 1
    .uses_dynamic_stack: false
    .vgpr_count:     128
    .vgpr_spill_count: 0
    .wavefront_size: 64
  - .args:
      - .offset:         0
        .size:           4
        .value_kind:     by_value
      - .offset:         4
        .size:           4
        .value_kind:     by_value
      - .offset:         8
        .size:           8
        .value_kind:     by_value
      - .offset:         16
        .size:           4
        .value_kind:     by_value
      - .offset:         24
        .size:           8
        .value_kind:     by_value
      - .address_space:  global
        .offset:         32
        .size:           8
        .value_kind:     global_buffer
      - .offset:         40
        .size:           8
        .value_kind:     by_value
      - .offset:         48
        .size:           4
        .value_kind:     by_value
      - .offset:         56
        .size:           8
        .value_kind:     by_value
      - .address_space:  global
        .offset:         64
        .size:           8
        .value_kind:     global_buffer
      - .offset:         72
        .size:           4
        .value_kind:     by_value
      - .offset:         80
        .size:           4
        .value_kind:     hidden_block_count_x
      - .offset:         84
        .size:           4
        .value_kind:     hidden_block_count_y
      - .offset:         88
        .size:           4
        .value_kind:     hidden_block_count_z
      - .offset:         92
        .size:           2
        .value_kind:     hidden_group_size_x
      - .offset:         94
        .size:           2
        .value_kind:     hidden_group_size_y
      - .offset:         96
        .size:           2
        .value_kind:     hidden_group_size_z
      - .offset:         98
        .size:           2
        .value_kind:     hidden_remainder_x
      - .offset:         100
        .size:           2
        .value_kind:     hidden_remainder_y
      - .offset:         102
        .size:           2
        .value_kind:     hidden_remainder_z
      - .offset:         120
        .size:           8
        .value_kind:     hidden_global_offset_x
      - .offset:         128
        .size:           8
        .value_kind:     hidden_global_offset_y
      - .offset:         136
        .size:           8
        .value_kind:     hidden_global_offset_z
      - .offset:         144
        .size:           2
        .value_kind:     hidden_grid_dims
    .group_segment_fixed_size: 0
    .kernarg_segment_align: 8
    .kernarg_segment_size: 336
    .language:       OpenCL C
    .language_version:
      - 2
      - 0
    .max_flat_workgroup_size: 64
    .name:           _ZL36rocblas_hemvn_kernel_upper_block_sumILi64EifPffEviT1_lS1_lT2_lT0_lPT3_i
    .private_segment_fixed_size: 0
    .sgpr_count:     24
    .sgpr_spill_count: 0
    .symbol:         _ZL36rocblas_hemvn_kernel_upper_block_sumILi64EifPffEviT1_lS1_lT2_lT0_lPT3_i.kd
    .uniform_work_group_size: 1
    .uses_dynamic_stack: false
    .vgpr_count:     6
    .vgpr_spill_count: 0
    .wavefront_size: 64
  - .args:
      - .offset:         0
        .size:           1
        .value_kind:     by_value
      - .offset:         4
        .size:           4
        .value_kind:     by_value
      - .offset:         8
        .size:           8
        .value_kind:     by_value
      - .offset:         16
        .size:           8
        .value_kind:     by_value
      - .address_space:  global
        .offset:         24
        .size:           8
        .value_kind:     global_buffer
      - .offset:         32
        .size:           8
        .value_kind:     by_value
      - .offset:         40
        .size:           8
        .value_kind:     by_value
      - .offset:         48
        .size:           8
        .value_kind:     by_value
      - .address_space:  global
        .offset:         56
        .size:           8
        .value_kind:     global_buffer
      - .offset:         64
        .size:           8
        .value_kind:     by_value
      - .offset:         72
        .size:           8
        .value_kind:     by_value
      - .offset:         80
        .size:           8
        .value_kind:     by_value
      - .offset:         88
        .size:           8
        .value_kind:     by_value
      - .offset:         96
        .size:           8
        .value_kind:     by_value
      - .address_space:  global
        .offset:         104
        .size:           8
        .value_kind:     global_buffer
      - .offset:         112
        .size:           8
        .value_kind:     by_value
      - .offset:         120
        .size:           8
        .value_kind:     by_value
      - .offset:         128
        .size:           8
        .value_kind:     by_value
      - .offset:         136
        .size:           4
        .value_kind:     by_value
    .group_segment_fixed_size: 5248
    .kernarg_segment_align: 8
    .kernarg_segment_size: 140
    .language:       OpenCL C
    .language_version:
      - 2
      - 0
    .max_flat_workgroup_size: 128
    .name:           _ZL50rocblas_symv_kernel_lower_double_buffered_diagonalILi32ELi4E24rocblas_internal_val_ptrIfEPKfPfEvbiT1_lT2_lllS6_lllS5_lT3_llli
    .private_segment_fixed_size: 0
    .sgpr_count:     38
    .sgpr_spill_count: 0
    .symbol:         _ZL50rocblas_symv_kernel_lower_double_buffered_diagonalILi32ELi4E24rocblas_internal_val_ptrIfEPKfPfEvbiT1_lT2_lllS6_lllS5_lT3_llli.kd
    .uniform_work_group_size: 1
    .uses_dynamic_stack: false
    .vgpr_count:     21
    .vgpr_spill_count: 0
    .wavefront_size: 64
  - .args:
      - .offset:         0
        .size:           1
        .value_kind:     by_value
      - .offset:         4
        .size:           4
        .value_kind:     by_value
      - .offset:         8
        .size:           8
        .value_kind:     by_value
      - .offset:         16
        .size:           8
        .value_kind:     by_value
      - .address_space:  global
        .offset:         24
        .size:           8
        .value_kind:     global_buffer
      - .offset:         32
        .size:           8
        .value_kind:     by_value
      - .offset:         40
        .size:           8
        .value_kind:     by_value
      - .offset:         48
        .size:           8
        .value_kind:     by_value
      - .address_space:  global
        .offset:         56
        .size:           8
        .value_kind:     global_buffer
      - .offset:         64
        .size:           8
        .value_kind:     by_value
      - .offset:         72
        .size:           8
        .value_kind:     by_value
      - .offset:         80
        .size:           8
        .value_kind:     by_value
      - .address_space:  global
        .offset:         88
        .size:           8
        .value_kind:     global_buffer
      - .offset:         96
        .size:           8
        .value_kind:     by_value
      - .offset:         104
        .size:           8
        .value_kind:     by_value
      - .offset:         112
        .size:           8
        .value_kind:     by_value
      - .offset:         120
        .size:           4
        .value_kind:     by_value
      - .offset:         128
        .size:           4
        .value_kind:     hidden_block_count_x
      - .offset:         132
        .size:           4
        .value_kind:     hidden_block_count_y
      - .offset:         136
        .size:           4
        .value_kind:     hidden_block_count_z
      - .offset:         140
        .size:           2
        .value_kind:     hidden_group_size_x
      - .offset:         142
        .size:           2
        .value_kind:     hidden_group_size_y
      - .offset:         144
        .size:           2
        .value_kind:     hidden_group_size_z
      - .offset:         146
        .size:           2
        .value_kind:     hidden_remainder_x
      - .offset:         148
        .size:           2
        .value_kind:     hidden_remainder_y
      - .offset:         150
        .size:           2
        .value_kind:     hidden_remainder_z
      - .offset:         168
        .size:           8
        .value_kind:     hidden_global_offset_x
      - .offset:         176
        .size:           8
        .value_kind:     hidden_global_offset_y
      - .offset:         184
        .size:           8
        .value_kind:     hidden_global_offset_z
      - .offset:         192
        .size:           2
        .value_kind:     hidden_grid_dims
    .group_segment_fixed_size: 3200
    .kernarg_segment_align: 8
    .kernarg_segment_size: 384
    .language:       OpenCL C
    .language_version:
      - 2
      - 0
    .max_flat_workgroup_size: 128
    .name:           _ZL54rocblas_symv_kernel_lower_double_buffered_non_diagonalILi32ELi4ELi4E24rocblas_internal_val_ptrIfEPKfPfEvbiT2_lT3_lllS6_lllT4_llli
    .private_segment_fixed_size: 0
    .sgpr_count:     34
    .sgpr_spill_count: 0
    .symbol:         _ZL54rocblas_symv_kernel_lower_double_buffered_non_diagonalILi32ELi4ELi4E24rocblas_internal_val_ptrIfEPKfPfEvbiT2_lT3_lllS6_lllT4_llli.kd
    .uniform_work_group_size: 1
    .uses_dynamic_stack: false
    .vgpr_count:     47
    .vgpr_spill_count: 0
    .wavefront_size: 64
  - .args:
      - .offset:         0
        .size:           1
        .value_kind:     by_value
      - .offset:         4
        .size:           4
        .value_kind:     by_value
      - .offset:         8
        .size:           8
        .value_kind:     by_value
      - .offset:         16
        .size:           8
        .value_kind:     by_value
      - .address_space:  global
        .offset:         24
        .size:           8
        .value_kind:     global_buffer
      - .offset:         32
        .size:           8
        .value_kind:     by_value
      - .offset:         40
        .size:           8
        .value_kind:     by_value
      - .offset:         48
        .size:           8
        .value_kind:     by_value
      - .address_space:  global
        .offset:         56
        .size:           8
        .value_kind:     global_buffer
      - .offset:         64
        .size:           8
        .value_kind:     by_value
      - .offset:         72
        .size:           8
        .value_kind:     by_value
      - .offset:         80
        .size:           8
        .value_kind:     by_value
      - .offset:         88
        .size:           8
        .value_kind:     by_value
      - .offset:         96
        .size:           8
        .value_kind:     by_value
      - .address_space:  global
        .offset:         104
        .size:           8
        .value_kind:     global_buffer
      - .offset:         112
        .size:           8
        .value_kind:     by_value
      - .offset:         120
        .size:           8
        .value_kind:     by_value
      - .offset:         128
        .size:           8
        .value_kind:     by_value
      - .offset:         136
        .size:           4
        .value_kind:     by_value
      - .offset:         140
        .size:           4
        .value_kind:     by_value
      - .offset:         144
        .size:           4
        .value_kind:     hidden_block_count_x
      - .offset:         148
        .size:           4
        .value_kind:     hidden_block_count_y
      - .offset:         152
        .size:           4
        .value_kind:     hidden_block_count_z
      - .offset:         156
        .size:           2
        .value_kind:     hidden_group_size_x
      - .offset:         158
        .size:           2
        .value_kind:     hidden_group_size_y
      - .offset:         160
        .size:           2
        .value_kind:     hidden_group_size_z
      - .offset:         162
        .size:           2
        .value_kind:     hidden_remainder_x
      - .offset:         164
        .size:           2
        .value_kind:     hidden_remainder_y
      - .offset:         166
        .size:           2
        .value_kind:     hidden_remainder_z
      - .offset:         184
        .size:           8
        .value_kind:     hidden_global_offset_x
      - .offset:         192
        .size:           8
        .value_kind:     hidden_global_offset_y
      - .offset:         200
        .size:           8
        .value_kind:     hidden_global_offset_z
      - .offset:         208
        .size:           2
        .value_kind:     hidden_grid_dims
    .group_segment_fixed_size: 5248
    .kernarg_segment_align: 8
    .kernarg_segment_size: 400
    .language:       OpenCL C
    .language_version:
      - 2
      - 0
    .max_flat_workgroup_size: 128
    .name:           _ZL58rocblas_symv_kernel_lower_double_buffered_diagonal_genericILi32ELi4E24rocblas_internal_val_ptrIfEPKfPfEvbiT1_lT2_lllS6_lllS5_lT3_lllii
    .private_segment_fixed_size: 0
    .sgpr_count:     42
    .sgpr_spill_count: 0
    .symbol:         _ZL58rocblas_symv_kernel_lower_double_buffered_diagonal_genericILi32ELi4E24rocblas_internal_val_ptrIfEPKfPfEvbiT1_lT2_lllS6_lllS5_lT3_lllii.kd
    .uniform_work_group_size: 1
    .uses_dynamic_stack: false
    .vgpr_count:     27
    .vgpr_spill_count: 0
    .wavefront_size: 64
  - .args:
      - .offset:         0
        .size:           1
        .value_kind:     by_value
      - .offset:         4
        .size:           4
        .value_kind:     by_value
      - .offset:         8
        .size:           8
        .value_kind:     by_value
      - .offset:         16
        .size:           8
        .value_kind:     by_value
      - .address_space:  global
        .offset:         24
        .size:           8
        .value_kind:     global_buffer
      - .offset:         32
        .size:           8
        .value_kind:     by_value
      - .offset:         40
        .size:           8
        .value_kind:     by_value
      - .offset:         48
        .size:           8
        .value_kind:     by_value
      - .address_space:  global
        .offset:         56
        .size:           8
        .value_kind:     global_buffer
      - .offset:         64
        .size:           8
        .value_kind:     by_value
      - .offset:         72
        .size:           8
        .value_kind:     by_value
      - .offset:         80
        .size:           8
        .value_kind:     by_value
      - .address_space:  global
        .offset:         88
        .size:           8
        .value_kind:     global_buffer
      - .offset:         96
        .size:           8
        .value_kind:     by_value
      - .offset:         104
        .size:           8
        .value_kind:     by_value
      - .offset:         112
        .size:           8
        .value_kind:     by_value
      - .offset:         120
        .size:           4
        .value_kind:     by_value
      - .offset:         124
        .size:           4
        .value_kind:     by_value
      - .offset:         128
        .size:           4
        .value_kind:     hidden_block_count_x
      - .offset:         132
        .size:           4
        .value_kind:     hidden_block_count_y
      - .offset:         136
        .size:           4
        .value_kind:     hidden_block_count_z
      - .offset:         140
        .size:           2
        .value_kind:     hidden_group_size_x
      - .offset:         142
        .size:           2
        .value_kind:     hidden_group_size_y
      - .offset:         144
        .size:           2
        .value_kind:     hidden_group_size_z
      - .offset:         146
        .size:           2
        .value_kind:     hidden_remainder_x
      - .offset:         148
        .size:           2
        .value_kind:     hidden_remainder_y
      - .offset:         150
        .size:           2
        .value_kind:     hidden_remainder_z
      - .offset:         168
        .size:           8
        .value_kind:     hidden_global_offset_x
      - .offset:         176
        .size:           8
        .value_kind:     hidden_global_offset_y
      - .offset:         184
        .size:           8
        .value_kind:     hidden_global_offset_z
      - .offset:         192
        .size:           2
        .value_kind:     hidden_grid_dims
    .group_segment_fixed_size: 3200
    .kernarg_segment_align: 8
    .kernarg_segment_size: 384
    .language:       OpenCL C
    .language_version:
      - 2
      - 0
    .max_flat_workgroup_size: 128
    .name:           _ZL62rocblas_symv_kernel_lower_double_buffered_non_diagonal_genericILi32ELi4ELi4E24rocblas_internal_val_ptrIfEPKfPfEvbiT2_lT3_lllS6_lllT4_lllii
    .private_segment_fixed_size: 0
    .sgpr_count:     45
    .sgpr_spill_count: 0
    .symbol:         _ZL62rocblas_symv_kernel_lower_double_buffered_non_diagonal_genericILi32ELi4ELi4E24rocblas_internal_val_ptrIfEPKfPfEvbiT2_lT3_lllS6_lllT4_lllii.kd
    .uniform_work_group_size: 1
    .uses_dynamic_stack: false
    .vgpr_count:     56
    .vgpr_spill_count: 0
    .wavefront_size: 64
  - .args:
      - .offset:         0
        .size:           4
        .value_kind:     by_value
      - .address_space:  global
        .offset:         8
        .size:           8
        .value_kind:     global_buffer
      - .offset:         16
        .size:           8
        .value_kind:     by_value
      - .address_space:  global
        .offset:         24
        .size:           8
        .value_kind:     global_buffer
      - .offset:         32
        .size:           8
        .value_kind:     by_value
      - .offset:         40
        .size:           8
        .value_kind:     by_value
      - .offset:         48
        .size:           8
        .value_kind:     by_value
      - .address_space:  global
        .offset:         56
        .size:           8
        .value_kind:     global_buffer
      - .offset:         64
        .size:           8
        .value_kind:     by_value
      - .offset:         72
        .size:           8
        .value_kind:     by_value
      - .offset:         80
        .size:           8
        .value_kind:     by_value
      - .address_space:  global
        .offset:         88
        .size:           8
        .value_kind:     global_buffer
      - .offset:         96
        .size:           8
        .value_kind:     by_value
      - .address_space:  global
        .offset:         104
        .size:           8
        .value_kind:     global_buffer
      - .offset:         112
        .size:           4
        .value_kind:     by_value
      - .offset:         120
        .size:           4
        .value_kind:     hidden_block_count_x
      - .offset:         124
        .size:           4
        .value_kind:     hidden_block_count_y
      - .offset:         128
        .size:           4
        .value_kind:     hidden_block_count_z
      - .offset:         132
        .size:           2
        .value_kind:     hidden_group_size_x
      - .offset:         134
        .size:           2
        .value_kind:     hidden_group_size_y
      - .offset:         136
        .size:           2
        .value_kind:     hidden_group_size_z
      - .offset:         138
        .size:           2
        .value_kind:     hidden_remainder_x
      - .offset:         140
        .size:           2
        .value_kind:     hidden_remainder_y
      - .offset:         142
        .size:           2
        .value_kind:     hidden_remainder_z
      - .offset:         160
        .size:           8
        .value_kind:     hidden_global_offset_x
      - .offset:         168
        .size:           8
        .value_kind:     hidden_global_offset_y
      - .offset:         176
        .size:           8
        .value_kind:     hidden_global_offset_z
      - .offset:         184
        .size:           2
        .value_kind:     hidden_grid_dims
    .group_segment_fixed_size: 4800
    .kernarg_segment_align: 8
    .kernarg_segment_size: 376
    .language:       OpenCL C
    .language_version:
      - 2
      - 0
    .max_flat_workgroup_size: 256
    .name:           _ZL26rocblas_hemvn_kernel_lowerILb0ELi64ELi4ELi33ELi32ELi16ElPKfS1_PfEviT6_lT7_lT5_lS4_lS5_lS3_lT8_i
    .private_segment_fixed_size: 0
    .sgpr_count:     52
    .sgpr_spill_count: 0
    .symbol:         _ZL26rocblas_hemvn_kernel_lowerILb0ELi64ELi4ELi33ELi32ELi16ElPKfS1_PfEviT6_lT7_lT5_lS4_lS5_lS3_lT8_i.kd
    .uniform_work_group_size: 1
    .uses_dynamic_stack: false
    .vgpr_count:     83
    .vgpr_spill_count: 0
    .wavefront_size: 64
  - .args:
      - .offset:         0
        .size:           4
        .value_kind:     by_value
      - .address_space:  global
        .offset:         8
        .size:           8
        .value_kind:     global_buffer
      - .offset:         16
        .size:           8
        .value_kind:     by_value
      - .address_space:  global
        .offset:         24
        .size:           8
        .value_kind:     global_buffer
      - .offset:         32
        .size:           8
        .value_kind:     by_value
      - .address_space:  global
        .offset:         40
        .size:           8
        .value_kind:     global_buffer
      - .offset:         48
        .size:           8
        .value_kind:     by_value
      - .offset:         56
        .size:           8
        .value_kind:     by_value
      - .offset:         64
        .size:           8
        .value_kind:     by_value
      - .actual_access:  read_only
        .address_space:  global
        .offset:         72
        .size:           8
        .value_kind:     global_buffer
      - .offset:         80
        .size:           4
        .value_kind:     by_value
      - .offset:         88
        .size:           4
        .value_kind:     hidden_block_count_x
      - .offset:         92
        .size:           4
        .value_kind:     hidden_block_count_y
      - .offset:         96
        .size:           4
        .value_kind:     hidden_block_count_z
      - .offset:         100
        .size:           2
        .value_kind:     hidden_group_size_x
      - .offset:         102
        .size:           2
        .value_kind:     hidden_group_size_y
      - .offset:         104
        .size:           2
        .value_kind:     hidden_group_size_z
      - .offset:         106
        .size:           2
        .value_kind:     hidden_remainder_x
      - .offset:         108
        .size:           2
        .value_kind:     hidden_remainder_y
      - .offset:         110
        .size:           2
        .value_kind:     hidden_remainder_z
      - .offset:         128
        .size:           8
        .value_kind:     hidden_global_offset_x
      - .offset:         136
        .size:           8
        .value_kind:     hidden_global_offset_y
      - .offset:         144
        .size:           8
        .value_kind:     hidden_global_offset_z
      - .offset:         152
        .size:           2
        .value_kind:     hidden_grid_dims
    .group_segment_fixed_size: 0
    .kernarg_segment_align: 8
    .kernarg_segment_size: 344
    .language:       OpenCL C
    .language_version:
      - 2
      - 0
    .max_flat_workgroup_size: 64
    .name:           _ZL36rocblas_hemvn_kernel_lower_block_sumILi64ElPKfPffEviT1_lS3_lT2_lT0_lPT3_i
    .private_segment_fixed_size: 0
    .sgpr_count:     24
    .sgpr_spill_count: 0
    .symbol:         _ZL36rocblas_hemvn_kernel_lower_block_sumILi64ElPKfPffEviT1_lS3_lT2_lT0_lPT3_i.kd
    .uniform_work_group_size: 1
    .uses_dynamic_stack: false
    .vgpr_count:     8
    .vgpr_spill_count: 0
    .wavefront_size: 64
  - .args:
      - .offset:         0
        .size:           4
        .value_kind:     by_value
      - .address_space:  global
        .offset:         8
        .size:           8
        .value_kind:     global_buffer
      - .offset:         16
        .size:           8
        .value_kind:     by_value
      - .address_space:  global
        .offset:         24
        .size:           8
        .value_kind:     global_buffer
      - .offset:         32
        .size:           8
        .value_kind:     by_value
      - .offset:         40
        .size:           4
        .value_kind:     by_value
      - .offset:         48
        .size:           8
        .value_kind:     by_value
      - .address_space:  global
        .offset:         56
        .size:           8
        .value_kind:     global_buffer
      - .offset:         64
        .size:           8
        .value_kind:     by_value
      - .offset:         72
        .size:           4
        .value_kind:     by_value
      - .offset:         80
        .size:           8
        .value_kind:     by_value
      - .address_space:  global
        .offset:         88
        .size:           8
        .value_kind:     global_buffer
      - .offset:         96
        .size:           8
        .value_kind:     by_value
      - .address_space:  global
        .offset:         104
        .size:           8
        .value_kind:     global_buffer
      - .offset:         112
        .size:           4
        .value_kind:     by_value
      - .offset:         120
        .size:           4
        .value_kind:     hidden_block_count_x
      - .offset:         124
        .size:           4
        .value_kind:     hidden_block_count_y
      - .offset:         128
        .size:           4
        .value_kind:     hidden_block_count_z
      - .offset:         132
        .size:           2
        .value_kind:     hidden_group_size_x
      - .offset:         134
        .size:           2
        .value_kind:     hidden_group_size_y
      - .offset:         136
        .size:           2
        .value_kind:     hidden_group_size_z
      - .offset:         138
        .size:           2
        .value_kind:     hidden_remainder_x
      - .offset:         140
        .size:           2
        .value_kind:     hidden_remainder_y
      - .offset:         142
        .size:           2
        .value_kind:     hidden_remainder_z
      - .offset:         160
        .size:           8
        .value_kind:     hidden_global_offset_x
      - .offset:         168
        .size:           8
        .value_kind:     hidden_global_offset_y
      - .offset:         176
        .size:           8
        .value_kind:     hidden_global_offset_z
      - .offset:         184
        .size:           2
        .value_kind:     hidden_grid_dims
    .group_segment_fixed_size: 4800
    .kernarg_segment_align: 8
    .kernarg_segment_size: 376
    .language:       OpenCL C
    .language_version:
      - 2
      - 0
    .max_flat_workgroup_size: 256
    .name:           _ZL26rocblas_hemvn_kernel_lowerILb0ELi64ELi4ELi33ELi32ELi16EiPKfS1_PfEviT6_lT7_lT5_lS4_lS5_lS3_lT8_i
    .private_segment_fixed_size: 0
    .sgpr_count:     50
    .sgpr_spill_count: 0
    .symbol:         _ZL26rocblas_hemvn_kernel_lowerILb0ELi64ELi4ELi33ELi32ELi16EiPKfS1_PfEviT6_lT7_lT5_lS4_lS5_lS3_lT8_i.kd
    .uniform_work_group_size: 1
    .uses_dynamic_stack: false
    .vgpr_count:     81
    .vgpr_spill_count: 0
    .wavefront_size: 64
  - .args:
      - .offset:         0
        .size:           4
        .value_kind:     by_value
      - .address_space:  global
        .offset:         8
        .size:           8
        .value_kind:     global_buffer
      - .offset:         16
        .size:           8
        .value_kind:     by_value
      - .address_space:  global
        .offset:         24
        .size:           8
        .value_kind:     global_buffer
      - .offset:         32
        .size:           8
        .value_kind:     by_value
      - .address_space:  global
        .offset:         40
        .size:           8
        .value_kind:     global_buffer
      - .offset:         48
        .size:           8
        .value_kind:     by_value
      - .offset:         56
        .size:           4
        .value_kind:     by_value
      - .offset:         64
        .size:           8
        .value_kind:     by_value
      - .actual_access:  read_only
        .address_space:  global
        .offset:         72
        .size:           8
        .value_kind:     global_buffer
      - .offset:         80
        .size:           4
        .value_kind:     by_value
      - .offset:         88
        .size:           4
        .value_kind:     hidden_block_count_x
      - .offset:         92
        .size:           4
        .value_kind:     hidden_block_count_y
      - .offset:         96
        .size:           4
        .value_kind:     hidden_block_count_z
      - .offset:         100
        .size:           2
        .value_kind:     hidden_group_size_x
      - .offset:         102
        .size:           2
        .value_kind:     hidden_group_size_y
      - .offset:         104
        .size:           2
        .value_kind:     hidden_group_size_z
      - .offset:         106
        .size:           2
        .value_kind:     hidden_remainder_x
      - .offset:         108
        .size:           2
        .value_kind:     hidden_remainder_y
      - .offset:         110
        .size:           2
        .value_kind:     hidden_remainder_z
      - .offset:         128
        .size:           8
        .value_kind:     hidden_global_offset_x
      - .offset:         136
        .size:           8
        .value_kind:     hidden_global_offset_y
      - .offset:         144
        .size:           8
        .value_kind:     hidden_global_offset_z
      - .offset:         152
        .size:           2
        .value_kind:     hidden_grid_dims
    .group_segment_fixed_size: 0
    .kernarg_segment_align: 8
    .kernarg_segment_size: 344
    .language:       OpenCL C
    .language_version:
      - 2
      - 0
    .max_flat_workgroup_size: 64
    .name:           _ZL36rocblas_hemvn_kernel_lower_block_sumILi64EiPKfPffEviT1_lS3_lT2_lT0_lPT3_i
    .private_segment_fixed_size: 0
    .sgpr_count:     24
    .sgpr_spill_count: 0
    .symbol:         _ZL36rocblas_hemvn_kernel_lower_block_sumILi64EiPKfPffEviT1_lS3_lT2_lT0_lPT3_i.kd
    .uniform_work_group_size: 1
    .uses_dynamic_stack: false
    .vgpr_count:     6
    .vgpr_spill_count: 0
    .wavefront_size: 64
  - .args:
      - .offset:         0
        .size:           4
        .value_kind:     by_value
      - .offset:         4
        .size:           4
        .value_kind:     by_value
      - .offset:         8
        .size:           8
        .value_kind:     by_value
      - .address_space:  global
        .offset:         16
        .size:           8
        .value_kind:     global_buffer
      - .offset:         24
        .size:           8
        .value_kind:     by_value
      - .offset:         32
        .size:           8
        .value_kind:     by_value
      - .offset:         40
        .size:           8
        .value_kind:     by_value
      - .address_space:  global
        .offset:         48
        .size:           8
        .value_kind:     global_buffer
      - .offset:         56
        .size:           8
        .value_kind:     by_value
      - .offset:         64
        .size:           8
        .value_kind:     by_value
      - .offset:         72
        .size:           8
        .value_kind:     by_value
      - .offset:         80
        .size:           4
        .value_kind:     by_value
      - .offset:         88
        .size:           8
        .value_kind:     by_value
      - .address_space:  global
        .offset:         96
        .size:           8
        .value_kind:     global_buffer
      - .offset:         104
        .size:           4
        .value_kind:     by_value
      - .offset:         112
        .size:           4
        .value_kind:     hidden_block_count_x
      - .offset:         116
        .size:           4
        .value_kind:     hidden_block_count_y
      - .offset:         120
        .size:           4
        .value_kind:     hidden_block_count_z
      - .offset:         124
        .size:           2
        .value_kind:     hidden_group_size_x
      - .offset:         126
        .size:           2
        .value_kind:     hidden_group_size_y
      - .offset:         128
        .size:           2
        .value_kind:     hidden_group_size_z
      - .offset:         130
        .size:           2
        .value_kind:     hidden_remainder_x
      - .offset:         132
        .size:           2
        .value_kind:     hidden_remainder_y
      - .offset:         134
        .size:           2
        .value_kind:     hidden_remainder_z
      - .offset:         152
        .size:           8
        .value_kind:     hidden_global_offset_x
      - .offset:         160
        .size:           8
        .value_kind:     hidden_global_offset_y
      - .offset:         168
        .size:           8
        .value_kind:     hidden_global_offset_z
      - .offset:         176
        .size:           2
        .value_kind:     hidden_grid_dims
    .group_segment_fixed_size: 4800
    .kernarg_segment_align: 8
    .kernarg_segment_size: 368
    .language:       OpenCL C
    .language_version:
      - 2
      - 0
    .max_flat_workgroup_size: 256
    .name:           _ZL26rocblas_hemvn_kernel_lowerILb0ELi64ELi4ELi33ELi32ELi16ElfPKfPfEviT6_lT7_lT5_lS4_lS5_lS3_lT8_i
    .private_segment_fixed_size: 0
    .sgpr_count:     56
    .sgpr_spill_count: 0
    .symbol:         _ZL26rocblas_hemvn_kernel_lowerILb0ELi64ELi4ELi33ELi32ELi16ElfPKfPfEviT6_lT7_lT5_lS4_lS5_lS3_lT8_i.kd
    .uniform_work_group_size: 1
    .uses_dynamic_stack: false
    .vgpr_count:     83
    .vgpr_spill_count: 0
    .wavefront_size: 64
  - .args:
      - .offset:         0
        .size:           4
        .value_kind:     by_value
      - .offset:         4
        .size:           4
        .value_kind:     by_value
      - .offset:         8
        .size:           8
        .value_kind:     by_value
      - .offset:         16
        .size:           4
        .value_kind:     by_value
      - .offset:         24
        .size:           8
        .value_kind:     by_value
      - .address_space:  global
        .offset:         32
        .size:           8
        .value_kind:     global_buffer
      - .offset:         40
        .size:           8
        .value_kind:     by_value
      - .offset:         48
        .size:           8
        .value_kind:     by_value
      - .offset:         56
        .size:           8
        .value_kind:     by_value
      - .actual_access:  read_only
        .address_space:  global
        .offset:         64
        .size:           8
        .value_kind:     global_buffer
      - .offset:         72
        .size:           4
        .value_kind:     by_value
      - .offset:         80
        .size:           4
        .value_kind:     hidden_block_count_x
      - .offset:         84
        .size:           4
        .value_kind:     hidden_block_count_y
      - .offset:         88
        .size:           4
        .value_kind:     hidden_block_count_z
      - .offset:         92
        .size:           2
        .value_kind:     hidden_group_size_x
      - .offset:         94
        .size:           2
        .value_kind:     hidden_group_size_y
      - .offset:         96
        .size:           2
        .value_kind:     hidden_group_size_z
      - .offset:         98
        .size:           2
        .value_kind:     hidden_remainder_x
      - .offset:         100
        .size:           2
        .value_kind:     hidden_remainder_y
      - .offset:         102
        .size:           2
        .value_kind:     hidden_remainder_z
      - .offset:         120
        .size:           8
        .value_kind:     hidden_global_offset_x
      - .offset:         128
        .size:           8
        .value_kind:     hidden_global_offset_y
      - .offset:         136
        .size:           8
        .value_kind:     hidden_global_offset_z
      - .offset:         144
        .size:           2
        .value_kind:     hidden_grid_dims
    .group_segment_fixed_size: 0
    .kernarg_segment_align: 8
    .kernarg_segment_size: 336
    .language:       OpenCL C
    .language_version:
      - 2
      - 0
    .max_flat_workgroup_size: 64
    .name:           _ZL36rocblas_hemvn_kernel_lower_block_sumILi64ElfPffEviT1_lS1_lT2_lT0_lPT3_i
    .private_segment_fixed_size: 0
    .sgpr_count:     26
    .sgpr_spill_count: 0
    .symbol:         _ZL36rocblas_hemvn_kernel_lower_block_sumILi64ElfPffEviT1_lS1_lT2_lT0_lPT3_i.kd
    .uniform_work_group_size: 1
    .uses_dynamic_stack: false
    .vgpr_count:     8
    .vgpr_spill_count: 0
    .wavefront_size: 64
  - .args:
      - .offset:         0
        .size:           4
        .value_kind:     by_value
      - .offset:         4
        .size:           4
        .value_kind:     by_value
      - .offset:         8
        .size:           8
        .value_kind:     by_value
      - .address_space:  global
        .offset:         16
        .size:           8
        .value_kind:     global_buffer
      - .offset:         24
        .size:           8
        .value_kind:     by_value
      - .offset:         32
        .size:           4
        .value_kind:     by_value
      - .offset:         40
        .size:           8
        .value_kind:     by_value
      - .address_space:  global
        .offset:         48
        .size:           8
        .value_kind:     global_buffer
      - .offset:         56
        .size:           8
        .value_kind:     by_value
      - .offset:         64
        .size:           4
        .value_kind:     by_value
      - .offset:         72
        .size:           8
        .value_kind:     by_value
      - .offset:         80
        .size:           4
        .value_kind:     by_value
      - .offset:         88
        .size:           8
        .value_kind:     by_value
      - .address_space:  global
        .offset:         96
        .size:           8
        .value_kind:     global_buffer
      - .offset:         104
        .size:           4
        .value_kind:     by_value
      - .offset:         112
        .size:           4
        .value_kind:     hidden_block_count_x
      - .offset:         116
        .size:           4
        .value_kind:     hidden_block_count_y
      - .offset:         120
        .size:           4
        .value_kind:     hidden_block_count_z
      - .offset:         124
        .size:           2
        .value_kind:     hidden_group_size_x
      - .offset:         126
        .size:           2
        .value_kind:     hidden_group_size_y
      - .offset:         128
        .size:           2
        .value_kind:     hidden_group_size_z
      - .offset:         130
        .size:           2
        .value_kind:     hidden_remainder_x
      - .offset:         132
        .size:           2
        .value_kind:     hidden_remainder_y
      - .offset:         134
        .size:           2
        .value_kind:     hidden_remainder_z
      - .offset:         152
        .size:           8
        .value_kind:     hidden_global_offset_x
      - .offset:         160
        .size:           8
        .value_kind:     hidden_global_offset_y
      - .offset:         168
        .size:           8
        .value_kind:     hidden_global_offset_z
      - .offset:         176
        .size:           2
        .value_kind:     hidden_grid_dims
    .group_segment_fixed_size: 4800
    .kernarg_segment_align: 8
    .kernarg_segment_size: 368
    .language:       OpenCL C
    .language_version:
      - 2
      - 0
    .max_flat_workgroup_size: 256
    .name:           _ZL26rocblas_hemvn_kernel_lowerILb0ELi64ELi4ELi33ELi32ELi16EifPKfPfEviT6_lT7_lT5_lS4_lS5_lS3_lT8_i
    .private_segment_fixed_size: 0
    .sgpr_count:     50
    .sgpr_spill_count: 0
    .symbol:         _ZL26rocblas_hemvn_kernel_lowerILb0ELi64ELi4ELi33ELi32ELi16EifPKfPfEviT6_lT7_lT5_lS4_lS5_lS3_lT8_i.kd
    .uniform_work_group_size: 1
    .uses_dynamic_stack: false
    .vgpr_count:     81
    .vgpr_spill_count: 0
    .wavefront_size: 64
  - .args:
      - .offset:         0
        .size:           4
        .value_kind:     by_value
      - .offset:         4
        .size:           4
        .value_kind:     by_value
      - .offset:         8
        .size:           8
        .value_kind:     by_value
      - .offset:         16
        .size:           4
        .value_kind:     by_value
      - .offset:         24
        .size:           8
        .value_kind:     by_value
      - .address_space:  global
        .offset:         32
        .size:           8
        .value_kind:     global_buffer
      - .offset:         40
        .size:           8
        .value_kind:     by_value
      - .offset:         48
        .size:           4
        .value_kind:     by_value
      - .offset:         56
        .size:           8
        .value_kind:     by_value
      - .actual_access:  read_only
        .address_space:  global
        .offset:         64
        .size:           8
        .value_kind:     global_buffer
      - .offset:         72
        .size:           4
        .value_kind:     by_value
      - .offset:         80
        .size:           4
        .value_kind:     hidden_block_count_x
      - .offset:         84
        .size:           4
        .value_kind:     hidden_block_count_y
      - .offset:         88
        .size:           4
        .value_kind:     hidden_block_count_z
      - .offset:         92
        .size:           2
        .value_kind:     hidden_group_size_x
      - .offset:         94
        .size:           2
        .value_kind:     hidden_group_size_y
      - .offset:         96
        .size:           2
        .value_kind:     hidden_group_size_z
      - .offset:         98
        .size:           2
        .value_kind:     hidden_remainder_x
      - .offset:         100
        .size:           2
        .value_kind:     hidden_remainder_y
      - .offset:         102
        .size:           2
        .value_kind:     hidden_remainder_z
      - .offset:         120
        .size:           8
        .value_kind:     hidden_global_offset_x
      - .offset:         128
        .size:           8
        .value_kind:     hidden_global_offset_y
      - .offset:         136
        .size:           8
        .value_kind:     hidden_global_offset_z
      - .offset:         144
        .size:           2
        .value_kind:     hidden_grid_dims
    .group_segment_fixed_size: 0
    .kernarg_segment_align: 8
    .kernarg_segment_size: 336
    .language:       OpenCL C
    .language_version:
      - 2
      - 0
    .max_flat_workgroup_size: 64
    .name:           _ZL36rocblas_hemvn_kernel_lower_block_sumILi64EifPffEviT1_lS1_lT2_lT0_lPT3_i
    .private_segment_fixed_size: 0
    .sgpr_count:     24
    .sgpr_spill_count: 0
    .symbol:         _ZL36rocblas_hemvn_kernel_lower_block_sumILi64EifPffEviT1_lS1_lT2_lT0_lPT3_i.kd
    .uniform_work_group_size: 1
    .uses_dynamic_stack: false
    .vgpr_count:     6
    .vgpr_spill_count: 0
    .wavefront_size: 64
  - .args:
      - .offset:         0
        .size:           1
        .value_kind:     by_value
      - .offset:         4
        .size:           4
        .value_kind:     by_value
      - .offset:         8
        .size:           8
        .value_kind:     by_value
      - .offset:         16
        .size:           8
        .value_kind:     by_value
      - .address_space:  global
        .offset:         24
        .size:           8
        .value_kind:     global_buffer
      - .offset:         32
        .size:           8
        .value_kind:     by_value
      - .offset:         40
        .size:           8
        .value_kind:     by_value
      - .offset:         48
        .size:           8
        .value_kind:     by_value
      - .address_space:  global
        .offset:         56
        .size:           8
        .value_kind:     global_buffer
      - .offset:         64
        .size:           8
        .value_kind:     by_value
      - .offset:         72
        .size:           8
        .value_kind:     by_value
      - .offset:         80
        .size:           8
        .value_kind:     by_value
      - .offset:         88
        .size:           8
        .value_kind:     by_value
      - .offset:         96
        .size:           8
        .value_kind:     by_value
      - .address_space:  global
        .offset:         104
        .size:           8
        .value_kind:     global_buffer
      - .offset:         112
        .size:           8
        .value_kind:     by_value
      - .offset:         120
        .size:           8
        .value_kind:     by_value
      - .offset:         128
        .size:           8
        .value_kind:     by_value
      - .offset:         136
        .size:           4
        .value_kind:     by_value
    .group_segment_fixed_size: 10496
    .kernarg_segment_align: 8
    .kernarg_segment_size: 140
    .language:       OpenCL C
    .language_version:
      - 2
      - 0
    .max_flat_workgroup_size: 128
    .name:           _ZL50rocblas_symv_kernel_upper_double_buffered_diagonalILi32ELi4E24rocblas_internal_val_ptrIdEPKdPdEvbiT1_lT2_lllS6_lllS5_lT3_llli
    .private_segment_fixed_size: 0
    .sgpr_count:     36
    .sgpr_spill_count: 0
    .symbol:         _ZL50rocblas_symv_kernel_upper_double_buffered_diagonalILi32ELi4E24rocblas_internal_val_ptrIdEPKdPdEvbiT1_lT2_lllS6_lllS5_lT3_llli.kd
    .uniform_work_group_size: 1
    .uses_dynamic_stack: false
    .vgpr_count:     27
    .vgpr_spill_count: 0
    .wavefront_size: 64
  - .args:
      - .offset:         0
        .size:           1
        .value_kind:     by_value
      - .offset:         4
        .size:           4
        .value_kind:     by_value
      - .offset:         8
        .size:           8
        .value_kind:     by_value
      - .offset:         16
        .size:           8
        .value_kind:     by_value
      - .address_space:  global
        .offset:         24
        .size:           8
        .value_kind:     global_buffer
      - .offset:         32
        .size:           8
        .value_kind:     by_value
      - .offset:         40
        .size:           8
        .value_kind:     by_value
      - .offset:         48
        .size:           8
        .value_kind:     by_value
      - .address_space:  global
        .offset:         56
        .size:           8
        .value_kind:     global_buffer
      - .offset:         64
        .size:           8
        .value_kind:     by_value
      - .offset:         72
        .size:           8
        .value_kind:     by_value
      - .offset:         80
        .size:           8
        .value_kind:     by_value
      - .address_space:  global
        .offset:         88
        .size:           8
        .value_kind:     global_buffer
      - .offset:         96
        .size:           8
        .value_kind:     by_value
      - .offset:         104
        .size:           8
        .value_kind:     by_value
      - .offset:         112
        .size:           8
        .value_kind:     by_value
      - .offset:         120
        .size:           4
        .value_kind:     by_value
      - .offset:         128
        .size:           4
        .value_kind:     hidden_block_count_x
      - .offset:         132
        .size:           4
        .value_kind:     hidden_block_count_y
      - .offset:         136
        .size:           4
        .value_kind:     hidden_block_count_z
      - .offset:         140
        .size:           2
        .value_kind:     hidden_group_size_x
      - .offset:         142
        .size:           2
        .value_kind:     hidden_group_size_y
      - .offset:         144
        .size:           2
        .value_kind:     hidden_group_size_z
      - .offset:         146
        .size:           2
        .value_kind:     hidden_remainder_x
      - .offset:         148
        .size:           2
        .value_kind:     hidden_remainder_y
      - .offset:         150
        .size:           2
        .value_kind:     hidden_remainder_z
      - .offset:         168
        .size:           8
        .value_kind:     hidden_global_offset_x
      - .offset:         176
        .size:           8
        .value_kind:     hidden_global_offset_y
      - .offset:         184
        .size:           8
        .value_kind:     hidden_global_offset_z
      - .offset:         192
        .size:           2
        .value_kind:     hidden_grid_dims
    .group_segment_fixed_size: 6400
    .kernarg_segment_align: 8
    .kernarg_segment_size: 384
    .language:       OpenCL C
    .language_version:
      - 2
      - 0
    .max_flat_workgroup_size: 128
    .name:           _ZL54rocblas_symv_kernel_upper_double_buffered_non_diagonalILi32ELi4ELi4E24rocblas_internal_val_ptrIdEPKdPdEvbiT2_lT3_lllS6_lllT4_llli
    .private_segment_fixed_size: 0
    .sgpr_count:     36
    .sgpr_spill_count: 0
    .symbol:         _ZL54rocblas_symv_kernel_upper_double_buffered_non_diagonalILi32ELi4ELi4E24rocblas_internal_val_ptrIdEPKdPdEvbiT2_lT3_lllS6_lllT4_llli.kd
    .uniform_work_group_size: 1
    .uses_dynamic_stack: false
    .vgpr_count:     71
    .vgpr_spill_count: 0
    .wavefront_size: 64
  - .args:
      - .offset:         0
        .size:           1
        .value_kind:     by_value
      - .offset:         4
        .size:           4
        .value_kind:     by_value
      - .offset:         8
        .size:           8
        .value_kind:     by_value
      - .offset:         16
        .size:           8
        .value_kind:     by_value
      - .address_space:  global
        .offset:         24
        .size:           8
        .value_kind:     global_buffer
      - .offset:         32
        .size:           8
        .value_kind:     by_value
      - .offset:         40
        .size:           8
        .value_kind:     by_value
      - .offset:         48
        .size:           8
        .value_kind:     by_value
      - .address_space:  global
        .offset:         56
        .size:           8
        .value_kind:     global_buffer
      - .offset:         64
        .size:           8
        .value_kind:     by_value
      - .offset:         72
        .size:           8
        .value_kind:     by_value
      - .offset:         80
        .size:           8
        .value_kind:     by_value
      - .offset:         88
        .size:           8
        .value_kind:     by_value
      - .offset:         96
        .size:           8
        .value_kind:     by_value
      - .address_space:  global
        .offset:         104
        .size:           8
        .value_kind:     global_buffer
      - .offset:         112
        .size:           8
        .value_kind:     by_value
      - .offset:         120
        .size:           8
        .value_kind:     by_value
      - .offset:         128
        .size:           8
        .value_kind:     by_value
      - .offset:         136
        .size:           4
        .value_kind:     by_value
      - .offset:         140
        .size:           4
        .value_kind:     by_value
      - .offset:         144
        .size:           4
        .value_kind:     hidden_block_count_x
      - .offset:         148
        .size:           4
        .value_kind:     hidden_block_count_y
      - .offset:         152
        .size:           4
        .value_kind:     hidden_block_count_z
      - .offset:         156
        .size:           2
        .value_kind:     hidden_group_size_x
      - .offset:         158
        .size:           2
        .value_kind:     hidden_group_size_y
      - .offset:         160
        .size:           2
        .value_kind:     hidden_group_size_z
      - .offset:         162
        .size:           2
        .value_kind:     hidden_remainder_x
      - .offset:         164
        .size:           2
        .value_kind:     hidden_remainder_y
      - .offset:         166
        .size:           2
        .value_kind:     hidden_remainder_z
      - .offset:         184
        .size:           8
        .value_kind:     hidden_global_offset_x
      - .offset:         192
        .size:           8
        .value_kind:     hidden_global_offset_y
      - .offset:         200
        .size:           8
        .value_kind:     hidden_global_offset_z
      - .offset:         208
        .size:           2
        .value_kind:     hidden_grid_dims
    .group_segment_fixed_size: 12544
    .kernarg_segment_align: 8
    .kernarg_segment_size: 400
    .language:       OpenCL C
    .language_version:
      - 2
      - 0
    .max_flat_workgroup_size: 256
    .name:           _ZL58rocblas_symv_kernel_upper_double_buffered_diagonal_genericILi32ELi8E24rocblas_internal_val_ptrIdEPKdPdEvbiT1_lT2_lllS6_lllS5_lT3_lllii
    .private_segment_fixed_size: 0
    .sgpr_count:     44
    .sgpr_spill_count: 0
    .symbol:         _ZL58rocblas_symv_kernel_upper_double_buffered_diagonal_genericILi32ELi8E24rocblas_internal_val_ptrIdEPKdPdEvbiT1_lT2_lllS6_lllS5_lT3_lllii.kd
    .uniform_work_group_size: 1
    .uses_dynamic_stack: false
    .vgpr_count:     29
    .vgpr_spill_count: 0
    .wavefront_size: 64
  - .args:
      - .offset:         0
        .size:           1
        .value_kind:     by_value
      - .offset:         4
        .size:           4
        .value_kind:     by_value
      - .offset:         8
        .size:           8
        .value_kind:     by_value
      - .offset:         16
        .size:           8
        .value_kind:     by_value
      - .address_space:  global
        .offset:         24
        .size:           8
        .value_kind:     global_buffer
      - .offset:         32
        .size:           8
        .value_kind:     by_value
      - .offset:         40
        .size:           8
        .value_kind:     by_value
      - .offset:         48
        .size:           8
        .value_kind:     by_value
      - .address_space:  global
        .offset:         56
        .size:           8
        .value_kind:     global_buffer
      - .offset:         64
        .size:           8
        .value_kind:     by_value
      - .offset:         72
        .size:           8
        .value_kind:     by_value
      - .offset:         80
        .size:           8
        .value_kind:     by_value
      - .address_space:  global
        .offset:         88
        .size:           8
        .value_kind:     global_buffer
      - .offset:         96
        .size:           8
        .value_kind:     by_value
      - .offset:         104
        .size:           8
        .value_kind:     by_value
      - .offset:         112
        .size:           8
        .value_kind:     by_value
      - .offset:         120
        .size:           4
        .value_kind:     by_value
      - .offset:         124
        .size:           4
        .value_kind:     by_value
      - .offset:         128
        .size:           4
        .value_kind:     hidden_block_count_x
      - .offset:         132
        .size:           4
        .value_kind:     hidden_block_count_y
      - .offset:         136
        .size:           4
        .value_kind:     hidden_block_count_z
      - .offset:         140
        .size:           2
        .value_kind:     hidden_group_size_x
      - .offset:         142
        .size:           2
        .value_kind:     hidden_group_size_y
      - .offset:         144
        .size:           2
        .value_kind:     hidden_group_size_z
      - .offset:         146
        .size:           2
        .value_kind:     hidden_remainder_x
      - .offset:         148
        .size:           2
        .value_kind:     hidden_remainder_y
      - .offset:         150
        .size:           2
        .value_kind:     hidden_remainder_z
      - .offset:         168
        .size:           8
        .value_kind:     hidden_global_offset_x
      - .offset:         176
        .size:           8
        .value_kind:     hidden_global_offset_y
      - .offset:         184
        .size:           8
        .value_kind:     hidden_global_offset_z
      - .offset:         192
        .size:           2
        .value_kind:     hidden_grid_dims
    .group_segment_fixed_size: 8448
    .kernarg_segment_align: 8
    .kernarg_segment_size: 384
    .language:       OpenCL C
    .language_version:
      - 2
      - 0
    .max_flat_workgroup_size: 256
    .name:           _ZL62rocblas_symv_kernel_upper_double_buffered_non_diagonal_genericILi32ELi8ELi2ELi0E24rocblas_internal_val_ptrIdEPKdPdEvbiT3_lT4_lllS6_lllT5_lllii
    .private_segment_fixed_size: 0
    .sgpr_count:     40
    .sgpr_spill_count: 0
    .symbol:         _ZL62rocblas_symv_kernel_upper_double_buffered_non_diagonal_genericILi32ELi8ELi2ELi0E24rocblas_internal_val_ptrIdEPKdPdEvbiT3_lT4_lllS6_lllT5_lllii.kd
    .uniform_work_group_size: 1
    .uses_dynamic_stack: false
    .vgpr_count:     53
    .vgpr_spill_count: 0
    .wavefront_size: 64
  - .args:
      - .offset:         0
        .size:           1
        .value_kind:     by_value
      - .offset:         4
        .size:           4
        .value_kind:     by_value
      - .offset:         8
        .size:           8
        .value_kind:     by_value
      - .offset:         16
        .size:           8
        .value_kind:     by_value
      - .address_space:  global
        .offset:         24
        .size:           8
        .value_kind:     global_buffer
      - .offset:         32
        .size:           8
        .value_kind:     by_value
      - .offset:         40
        .size:           8
        .value_kind:     by_value
      - .offset:         48
        .size:           8
        .value_kind:     by_value
      - .address_space:  global
        .offset:         56
        .size:           8
        .value_kind:     global_buffer
      - .offset:         64
        .size:           8
        .value_kind:     by_value
      - .offset:         72
        .size:           8
        .value_kind:     by_value
      - .offset:         80
        .size:           8
        .value_kind:     by_value
      - .address_space:  global
        .offset:         88
        .size:           8
        .value_kind:     global_buffer
      - .offset:         96
        .size:           8
        .value_kind:     by_value
      - .offset:         104
        .size:           8
        .value_kind:     by_value
      - .offset:         112
        .size:           8
        .value_kind:     by_value
      - .offset:         120
        .size:           4
        .value_kind:     by_value
      - .offset:         124
        .size:           4
        .value_kind:     by_value
      - .offset:         128
        .size:           4
        .value_kind:     hidden_block_count_x
      - .offset:         132
        .size:           4
        .value_kind:     hidden_block_count_y
      - .offset:         136
        .size:           4
        .value_kind:     hidden_block_count_z
      - .offset:         140
        .size:           2
        .value_kind:     hidden_group_size_x
      - .offset:         142
        .size:           2
        .value_kind:     hidden_group_size_y
      - .offset:         144
        .size:           2
        .value_kind:     hidden_group_size_z
      - .offset:         146
        .size:           2
        .value_kind:     hidden_remainder_x
      - .offset:         148
        .size:           2
        .value_kind:     hidden_remainder_y
      - .offset:         150
        .size:           2
        .value_kind:     hidden_remainder_z
      - .offset:         168
        .size:           8
        .value_kind:     hidden_global_offset_x
      - .offset:         176
        .size:           8
        .value_kind:     hidden_global_offset_y
      - .offset:         184
        .size:           8
        .value_kind:     hidden_global_offset_z
      - .offset:         192
        .size:           2
        .value_kind:     hidden_grid_dims
    .group_segment_fixed_size: 8448
    .kernarg_segment_align: 8
    .kernarg_segment_size: 384
    .language:       OpenCL C
    .language_version:
      - 2
      - 0
    .max_flat_workgroup_size: 256
    .name:           _ZL62rocblas_symv_kernel_upper_double_buffered_non_diagonal_genericILi32ELi8ELi2ELi1E24rocblas_internal_val_ptrIdEPKdPdEvbiT3_lT4_lllS6_lllT5_lllii
    .private_segment_fixed_size: 0
    .sgpr_count:     44
    .sgpr_spill_count: 0
    .symbol:         _ZL62rocblas_symv_kernel_upper_double_buffered_non_diagonal_genericILi32ELi8ELi2ELi1E24rocblas_internal_val_ptrIdEPKdPdEvbiT3_lT4_lllS6_lllT5_lllii.kd
    .uniform_work_group_size: 1
    .uses_dynamic_stack: false
    .vgpr_count:     55
    .vgpr_spill_count: 0
    .wavefront_size: 64
  - .args:
      - .offset:         0
        .size:           4
        .value_kind:     by_value
      - .address_space:  global
        .offset:         8
        .size:           8
        .value_kind:     global_buffer
      - .offset:         16
        .size:           8
        .value_kind:     by_value
      - .address_space:  global
        .offset:         24
        .size:           8
        .value_kind:     global_buffer
      - .offset:         32
        .size:           8
        .value_kind:     by_value
      - .offset:         40
        .size:           8
        .value_kind:     by_value
      - .offset:         48
        .size:           8
        .value_kind:     by_value
      - .address_space:  global
        .offset:         56
        .size:           8
        .value_kind:     global_buffer
      - .offset:         64
        .size:           8
        .value_kind:     by_value
      - .offset:         72
        .size:           8
        .value_kind:     by_value
      - .offset:         80
        .size:           8
        .value_kind:     by_value
      - .address_space:  global
        .offset:         88
        .size:           8
        .value_kind:     global_buffer
      - .offset:         96
        .size:           8
        .value_kind:     by_value
      - .address_space:  global
        .offset:         104
        .size:           8
        .value_kind:     global_buffer
      - .offset:         112
        .size:           4
        .value_kind:     by_value
      - .offset:         120
        .size:           4
        .value_kind:     hidden_block_count_x
      - .offset:         124
        .size:           4
        .value_kind:     hidden_block_count_y
      - .offset:         128
        .size:           4
        .value_kind:     hidden_block_count_z
      - .offset:         132
        .size:           2
        .value_kind:     hidden_group_size_x
      - .offset:         134
        .size:           2
        .value_kind:     hidden_group_size_y
      - .offset:         136
        .size:           2
        .value_kind:     hidden_group_size_z
      - .offset:         138
        .size:           2
        .value_kind:     hidden_remainder_x
      - .offset:         140
        .size:           2
        .value_kind:     hidden_remainder_y
      - .offset:         142
        .size:           2
        .value_kind:     hidden_remainder_z
      - .offset:         160
        .size:           8
        .value_kind:     hidden_global_offset_x
      - .offset:         168
        .size:           8
        .value_kind:     hidden_global_offset_y
      - .offset:         176
        .size:           8
        .value_kind:     hidden_global_offset_z
      - .offset:         184
        .size:           2
        .value_kind:     hidden_grid_dims
    .group_segment_fixed_size: 9600
    .kernarg_segment_align: 8
    .kernarg_segment_size: 376
    .language:       OpenCL C
    .language_version:
      - 2
      - 0
    .max_flat_workgroup_size: 256
    .name:           _ZL26rocblas_hemvn_kernel_upperILb0ELi64ELi4ELi33ELi32ELi16ElPKdS1_PdEviT6_lT7_lT5_lS4_lS5_lS3_lT8_i
    .private_segment_fixed_size: 0
    .sgpr_count:     46
    .sgpr_spill_count: 0
    .symbol:         _ZL26rocblas_hemvn_kernel_upperILb0ELi64ELi4ELi33ELi32ELi16ElPKdS1_PdEviT6_lT7_lT5_lS4_lS5_lS3_lT8_i.kd
    .uniform_work_group_size: 1
    .uses_dynamic_stack: false
    .vgpr_count:     161
    .vgpr_spill_count: 0
    .wavefront_size: 64
  - .args:
      - .offset:         0
        .size:           4
        .value_kind:     by_value
      - .address_space:  global
        .offset:         8
        .size:           8
        .value_kind:     global_buffer
      - .offset:         16
        .size:           8
        .value_kind:     by_value
      - .address_space:  global
        .offset:         24
        .size:           8
        .value_kind:     global_buffer
      - .offset:         32
        .size:           8
        .value_kind:     by_value
      - .address_space:  global
        .offset:         40
        .size:           8
        .value_kind:     global_buffer
      - .offset:         48
        .size:           8
        .value_kind:     by_value
      - .offset:         56
        .size:           8
        .value_kind:     by_value
      - .offset:         64
        .size:           8
        .value_kind:     by_value
      - .address_space:  global
        .offset:         72
        .size:           8
        .value_kind:     global_buffer
      - .offset:         80
        .size:           4
        .value_kind:     by_value
      - .offset:         88
        .size:           4
        .value_kind:     hidden_block_count_x
      - .offset:         92
        .size:           4
        .value_kind:     hidden_block_count_y
      - .offset:         96
        .size:           4
        .value_kind:     hidden_block_count_z
      - .offset:         100
        .size:           2
        .value_kind:     hidden_group_size_x
      - .offset:         102
        .size:           2
        .value_kind:     hidden_group_size_y
      - .offset:         104
        .size:           2
        .value_kind:     hidden_group_size_z
      - .offset:         106
        .size:           2
        .value_kind:     hidden_remainder_x
      - .offset:         108
        .size:           2
        .value_kind:     hidden_remainder_y
      - .offset:         110
        .size:           2
        .value_kind:     hidden_remainder_z
      - .offset:         128
        .size:           8
        .value_kind:     hidden_global_offset_x
      - .offset:         136
        .size:           8
        .value_kind:     hidden_global_offset_y
      - .offset:         144
        .size:           8
        .value_kind:     hidden_global_offset_z
      - .offset:         152
        .size:           2
        .value_kind:     hidden_grid_dims
    .group_segment_fixed_size: 0
    .kernarg_segment_align: 8
    .kernarg_segment_size: 344
    .language:       OpenCL C
    .language_version:
      - 2
      - 0
    .max_flat_workgroup_size: 64
    .name:           _ZL36rocblas_hemvn_kernel_upper_block_sumILi64ElPKdPddEviT1_lS3_lT2_lT0_lPT3_i
    .private_segment_fixed_size: 0
    .sgpr_count:     28
    .sgpr_spill_count: 0
    .symbol:         _ZL36rocblas_hemvn_kernel_upper_block_sumILi64ElPKdPddEviT1_lS3_lT2_lT0_lPT3_i.kd
    .uniform_work_group_size: 1
    .uses_dynamic_stack: false
    .vgpr_count:     9
    .vgpr_spill_count: 0
    .wavefront_size: 64
  - .args:
      - .offset:         0
        .size:           4
        .value_kind:     by_value
      - .address_space:  global
        .offset:         8
        .size:           8
        .value_kind:     global_buffer
      - .offset:         16
        .size:           8
        .value_kind:     by_value
      - .address_space:  global
        .offset:         24
        .size:           8
        .value_kind:     global_buffer
      - .offset:         32
        .size:           8
        .value_kind:     by_value
      - .offset:         40
        .size:           4
        .value_kind:     by_value
      - .offset:         48
        .size:           8
        .value_kind:     by_value
      - .address_space:  global
        .offset:         56
        .size:           8
        .value_kind:     global_buffer
      - .offset:         64
        .size:           8
        .value_kind:     by_value
      - .offset:         72
        .size:           4
        .value_kind:     by_value
      - .offset:         80
        .size:           8
        .value_kind:     by_value
      - .address_space:  global
        .offset:         88
        .size:           8
        .value_kind:     global_buffer
      - .offset:         96
        .size:           8
        .value_kind:     by_value
      - .address_space:  global
        .offset:         104
        .size:           8
        .value_kind:     global_buffer
      - .offset:         112
        .size:           4
        .value_kind:     by_value
      - .offset:         120
        .size:           4
        .value_kind:     hidden_block_count_x
      - .offset:         124
        .size:           4
        .value_kind:     hidden_block_count_y
      - .offset:         128
        .size:           4
        .value_kind:     hidden_block_count_z
      - .offset:         132
        .size:           2
        .value_kind:     hidden_group_size_x
      - .offset:         134
        .size:           2
        .value_kind:     hidden_group_size_y
      - .offset:         136
        .size:           2
        .value_kind:     hidden_group_size_z
      - .offset:         138
        .size:           2
        .value_kind:     hidden_remainder_x
      - .offset:         140
        .size:           2
        .value_kind:     hidden_remainder_y
      - .offset:         142
        .size:           2
        .value_kind:     hidden_remainder_z
      - .offset:         160
        .size:           8
        .value_kind:     hidden_global_offset_x
      - .offset:         168
        .size:           8
        .value_kind:     hidden_global_offset_y
      - .offset:         176
        .size:           8
        .value_kind:     hidden_global_offset_z
      - .offset:         184
        .size:           2
        .value_kind:     hidden_grid_dims
    .group_segment_fixed_size: 9600
    .kernarg_segment_align: 8
    .kernarg_segment_size: 376
    .language:       OpenCL C
    .language_version:
      - 2
      - 0
    .max_flat_workgroup_size: 256
    .name:           _ZL26rocblas_hemvn_kernel_upperILb0ELi64ELi4ELi33ELi32ELi16EiPKdS1_PdEviT6_lT7_lT5_lS4_lS5_lS3_lT8_i
    .private_segment_fixed_size: 0
    .sgpr_count:     66
    .sgpr_spill_count: 0
    .symbol:         _ZL26rocblas_hemvn_kernel_upperILb0ELi64ELi4ELi33ELi32ELi16EiPKdS1_PdEviT6_lT7_lT5_lS4_lS5_lS3_lT8_i.kd
    .uniform_work_group_size: 1
    .uses_dynamic_stack: false
    .vgpr_count:     182
    .vgpr_spill_count: 0
    .wavefront_size: 64
  - .args:
      - .offset:         0
        .size:           4
        .value_kind:     by_value
      - .address_space:  global
        .offset:         8
        .size:           8
        .value_kind:     global_buffer
      - .offset:         16
        .size:           8
        .value_kind:     by_value
      - .address_space:  global
        .offset:         24
        .size:           8
        .value_kind:     global_buffer
      - .offset:         32
        .size:           8
        .value_kind:     by_value
      - .address_space:  global
        .offset:         40
        .size:           8
        .value_kind:     global_buffer
      - .offset:         48
        .size:           8
        .value_kind:     by_value
      - .offset:         56
        .size:           4
        .value_kind:     by_value
      - .offset:         64
        .size:           8
        .value_kind:     by_value
      - .address_space:  global
        .offset:         72
        .size:           8
        .value_kind:     global_buffer
      - .offset:         80
        .size:           4
        .value_kind:     by_value
      - .offset:         88
        .size:           4
        .value_kind:     hidden_block_count_x
      - .offset:         92
        .size:           4
        .value_kind:     hidden_block_count_y
      - .offset:         96
        .size:           4
        .value_kind:     hidden_block_count_z
      - .offset:         100
        .size:           2
        .value_kind:     hidden_group_size_x
      - .offset:         102
        .size:           2
        .value_kind:     hidden_group_size_y
      - .offset:         104
        .size:           2
        .value_kind:     hidden_group_size_z
      - .offset:         106
        .size:           2
        .value_kind:     hidden_remainder_x
      - .offset:         108
        .size:           2
        .value_kind:     hidden_remainder_y
      - .offset:         110
        .size:           2
        .value_kind:     hidden_remainder_z
      - .offset:         128
        .size:           8
        .value_kind:     hidden_global_offset_x
      - .offset:         136
        .size:           8
        .value_kind:     hidden_global_offset_y
      - .offset:         144
        .size:           8
        .value_kind:     hidden_global_offset_z
      - .offset:         152
        .size:           2
        .value_kind:     hidden_grid_dims
    .group_segment_fixed_size: 0
    .kernarg_segment_align: 8
    .kernarg_segment_size: 344
    .language:       OpenCL C
    .language_version:
      - 2
      - 0
    .max_flat_workgroup_size: 64
    .name:           _ZL36rocblas_hemvn_kernel_upper_block_sumILi64EiPKdPddEviT1_lS3_lT2_lT0_lPT3_i
    .private_segment_fixed_size: 0
    .sgpr_count:     30
    .sgpr_spill_count: 0
    .symbol:         _ZL36rocblas_hemvn_kernel_upper_block_sumILi64EiPKdPddEviT1_lS3_lT2_lT0_lPT3_i.kd
    .uniform_work_group_size: 1
    .uses_dynamic_stack: false
    .vgpr_count:     9
    .vgpr_spill_count: 0
    .wavefront_size: 64
  - .args:
      - .offset:         0
        .size:           4
        .value_kind:     by_value
      - .offset:         8
        .size:           8
        .value_kind:     by_value
      - .offset:         16
        .size:           8
        .value_kind:     by_value
      - .address_space:  global
        .offset:         24
        .size:           8
        .value_kind:     global_buffer
      - .offset:         32
        .size:           8
        .value_kind:     by_value
      - .offset:         40
        .size:           8
        .value_kind:     by_value
      - .offset:         48
        .size:           8
        .value_kind:     by_value
      - .address_space:  global
        .offset:         56
        .size:           8
        .value_kind:     global_buffer
      - .offset:         64
        .size:           8
        .value_kind:     by_value
      - .offset:         72
        .size:           8
        .value_kind:     by_value
      - .offset:         80
        .size:           8
        .value_kind:     by_value
      - .offset:         88
        .size:           8
        .value_kind:     by_value
      - .offset:         96
        .size:           8
        .value_kind:     by_value
      - .address_space:  global
        .offset:         104
        .size:           8
        .value_kind:     global_buffer
      - .offset:         112
        .size:           4
        .value_kind:     by_value
      - .offset:         120
        .size:           4
        .value_kind:     hidden_block_count_x
      - .offset:         124
        .size:           4
        .value_kind:     hidden_block_count_y
      - .offset:         128
        .size:           4
        .value_kind:     hidden_block_count_z
      - .offset:         132
        .size:           2
        .value_kind:     hidden_group_size_x
      - .offset:         134
        .size:           2
        .value_kind:     hidden_group_size_y
      - .offset:         136
        .size:           2
        .value_kind:     hidden_group_size_z
      - .offset:         138
        .size:           2
        .value_kind:     hidden_remainder_x
      - .offset:         140
        .size:           2
        .value_kind:     hidden_remainder_y
      - .offset:         142
        .size:           2
        .value_kind:     hidden_remainder_z
      - .offset:         160
        .size:           8
        .value_kind:     hidden_global_offset_x
      - .offset:         168
        .size:           8
        .value_kind:     hidden_global_offset_y
      - .offset:         176
        .size:           8
        .value_kind:     hidden_global_offset_z
      - .offset:         184
        .size:           2
        .value_kind:     hidden_grid_dims
    .group_segment_fixed_size: 9600
    .kernarg_segment_align: 8
    .kernarg_segment_size: 376
    .language:       OpenCL C
    .language_version:
      - 2
      - 0
    .max_flat_workgroup_size: 256
    .name:           _ZL26rocblas_hemvn_kernel_upperILb0ELi64ELi4ELi33ELi32ELi16EldPKdPdEviT6_lT7_lT5_lS4_lS5_lS3_lT8_i
    .private_segment_fixed_size: 0
    .sgpr_count:     46
    .sgpr_spill_count: 0
    .symbol:         _ZL26rocblas_hemvn_kernel_upperILb0ELi64ELi4ELi33ELi32ELi16EldPKdPdEviT6_lT7_lT5_lS4_lS5_lS3_lT8_i.kd
    .uniform_work_group_size: 1
    .uses_dynamic_stack: false
    .vgpr_count:     161
    .vgpr_spill_count: 0
    .wavefront_size: 64
  - .args:
      - .offset:         0
        .size:           4
        .value_kind:     by_value
      - .offset:         8
        .size:           8
        .value_kind:     by_value
      - .offset:         16
        .size:           8
        .value_kind:     by_value
      - .offset:         24
        .size:           8
        .value_kind:     by_value
      - .offset:         32
        .size:           8
        .value_kind:     by_value
      - .address_space:  global
        .offset:         40
        .size:           8
        .value_kind:     global_buffer
      - .offset:         48
        .size:           8
        .value_kind:     by_value
      - .offset:         56
        .size:           8
        .value_kind:     by_value
      - .offset:         64
        .size:           8
        .value_kind:     by_value
      - .address_space:  global
        .offset:         72
        .size:           8
        .value_kind:     global_buffer
      - .offset:         80
        .size:           4
        .value_kind:     by_value
      - .offset:         88
        .size:           4
        .value_kind:     hidden_block_count_x
      - .offset:         92
        .size:           4
        .value_kind:     hidden_block_count_y
      - .offset:         96
        .size:           4
        .value_kind:     hidden_block_count_z
      - .offset:         100
        .size:           2
        .value_kind:     hidden_group_size_x
      - .offset:         102
        .size:           2
        .value_kind:     hidden_group_size_y
      - .offset:         104
        .size:           2
        .value_kind:     hidden_group_size_z
      - .offset:         106
        .size:           2
        .value_kind:     hidden_remainder_x
      - .offset:         108
        .size:           2
        .value_kind:     hidden_remainder_y
      - .offset:         110
        .size:           2
        .value_kind:     hidden_remainder_z
      - .offset:         128
        .size:           8
        .value_kind:     hidden_global_offset_x
      - .offset:         136
        .size:           8
        .value_kind:     hidden_global_offset_y
      - .offset:         144
        .size:           8
        .value_kind:     hidden_global_offset_z
      - .offset:         152
        .size:           2
        .value_kind:     hidden_grid_dims
    .group_segment_fixed_size: 0
    .kernarg_segment_align: 8
    .kernarg_segment_size: 344
    .language:       OpenCL C
    .language_version:
      - 2
      - 0
    .max_flat_workgroup_size: 64
    .name:           _ZL36rocblas_hemvn_kernel_upper_block_sumILi64EldPddEviT1_lS1_lT2_lT0_lPT3_i
    .private_segment_fixed_size: 0
    .sgpr_count:     28
    .sgpr_spill_count: 0
    .symbol:         _ZL36rocblas_hemvn_kernel_upper_block_sumILi64EldPddEviT1_lS1_lT2_lT0_lPT3_i.kd
    .uniform_work_group_size: 1
    .uses_dynamic_stack: false
    .vgpr_count:     9
    .vgpr_spill_count: 0
    .wavefront_size: 64
  - .args:
      - .offset:         0
        .size:           4
        .value_kind:     by_value
      - .offset:         8
        .size:           8
        .value_kind:     by_value
      - .offset:         16
        .size:           8
        .value_kind:     by_value
      - .address_space:  global
        .offset:         24
        .size:           8
        .value_kind:     global_buffer
      - .offset:         32
        .size:           8
        .value_kind:     by_value
      - .offset:         40
        .size:           4
        .value_kind:     by_value
      - .offset:         48
        .size:           8
        .value_kind:     by_value
      - .address_space:  global
        .offset:         56
        .size:           8
        .value_kind:     global_buffer
      - .offset:         64
        .size:           8
        .value_kind:     by_value
      - .offset:         72
        .size:           4
        .value_kind:     by_value
      - .offset:         80
        .size:           8
        .value_kind:     by_value
      - .offset:         88
        .size:           8
        .value_kind:     by_value
      - .offset:         96
        .size:           8
        .value_kind:     by_value
      - .address_space:  global
        .offset:         104
        .size:           8
        .value_kind:     global_buffer
      - .offset:         112
        .size:           4
        .value_kind:     by_value
      - .offset:         120
        .size:           4
        .value_kind:     hidden_block_count_x
      - .offset:         124
        .size:           4
        .value_kind:     hidden_block_count_y
      - .offset:         128
        .size:           4
        .value_kind:     hidden_block_count_z
      - .offset:         132
        .size:           2
        .value_kind:     hidden_group_size_x
      - .offset:         134
        .size:           2
        .value_kind:     hidden_group_size_y
      - .offset:         136
        .size:           2
        .value_kind:     hidden_group_size_z
      - .offset:         138
        .size:           2
        .value_kind:     hidden_remainder_x
      - .offset:         140
        .size:           2
        .value_kind:     hidden_remainder_y
      - .offset:         142
        .size:           2
        .value_kind:     hidden_remainder_z
      - .offset:         160
        .size:           8
        .value_kind:     hidden_global_offset_x
      - .offset:         168
        .size:           8
        .value_kind:     hidden_global_offset_y
      - .offset:         176
        .size:           8
        .value_kind:     hidden_global_offset_z
      - .offset:         184
        .size:           2
        .value_kind:     hidden_grid_dims
    .group_segment_fixed_size: 9600
    .kernarg_segment_align: 8
    .kernarg_segment_size: 376
    .language:       OpenCL C
    .language_version:
      - 2
      - 0
    .max_flat_workgroup_size: 256
    .name:           _ZL26rocblas_hemvn_kernel_upperILb0ELi64ELi4ELi33ELi32ELi16EidPKdPdEviT6_lT7_lT5_lS4_lS5_lS3_lT8_i
    .private_segment_fixed_size: 0
    .sgpr_count:     66
    .sgpr_spill_count: 0
    .symbol:         _ZL26rocblas_hemvn_kernel_upperILb0ELi64ELi4ELi33ELi32ELi16EidPKdPdEviT6_lT7_lT5_lS4_lS5_lS3_lT8_i.kd
    .uniform_work_group_size: 1
    .uses_dynamic_stack: false
    .vgpr_count:     182
    .vgpr_spill_count: 0
    .wavefront_size: 64
  - .args:
      - .offset:         0
        .size:           4
        .value_kind:     by_value
      - .offset:         8
        .size:           8
        .value_kind:     by_value
      - .offset:         16
        .size:           8
        .value_kind:     by_value
      - .offset:         24
        .size:           8
        .value_kind:     by_value
      - .offset:         32
        .size:           8
        .value_kind:     by_value
      - .address_space:  global
        .offset:         40
        .size:           8
        .value_kind:     global_buffer
      - .offset:         48
        .size:           8
        .value_kind:     by_value
      - .offset:         56
        .size:           4
        .value_kind:     by_value
      - .offset:         64
        .size:           8
        .value_kind:     by_value
      - .address_space:  global
        .offset:         72
        .size:           8
        .value_kind:     global_buffer
      - .offset:         80
        .size:           4
        .value_kind:     by_value
      - .offset:         88
        .size:           4
        .value_kind:     hidden_block_count_x
      - .offset:         92
        .size:           4
        .value_kind:     hidden_block_count_y
      - .offset:         96
        .size:           4
        .value_kind:     hidden_block_count_z
      - .offset:         100
        .size:           2
        .value_kind:     hidden_group_size_x
      - .offset:         102
        .size:           2
        .value_kind:     hidden_group_size_y
      - .offset:         104
        .size:           2
        .value_kind:     hidden_group_size_z
      - .offset:         106
        .size:           2
        .value_kind:     hidden_remainder_x
      - .offset:         108
        .size:           2
        .value_kind:     hidden_remainder_y
      - .offset:         110
        .size:           2
        .value_kind:     hidden_remainder_z
      - .offset:         128
        .size:           8
        .value_kind:     hidden_global_offset_x
      - .offset:         136
        .size:           8
        .value_kind:     hidden_global_offset_y
      - .offset:         144
        .size:           8
        .value_kind:     hidden_global_offset_z
      - .offset:         152
        .size:           2
        .value_kind:     hidden_grid_dims
    .group_segment_fixed_size: 0
    .kernarg_segment_align: 8
    .kernarg_segment_size: 344
    .language:       OpenCL C
    .language_version:
      - 2
      - 0
    .max_flat_workgroup_size: 64
    .name:           _ZL36rocblas_hemvn_kernel_upper_block_sumILi64EidPddEviT1_lS1_lT2_lT0_lPT3_i
    .private_segment_fixed_size: 0
    .sgpr_count:     30
    .sgpr_spill_count: 0
    .symbol:         _ZL36rocblas_hemvn_kernel_upper_block_sumILi64EidPddEviT1_lS1_lT2_lT0_lPT3_i.kd
    .uniform_work_group_size: 1
    .uses_dynamic_stack: false
    .vgpr_count:     9
    .vgpr_spill_count: 0
    .wavefront_size: 64
  - .args:
      - .offset:         0
        .size:           1
        .value_kind:     by_value
      - .offset:         4
        .size:           4
        .value_kind:     by_value
      - .offset:         8
        .size:           8
        .value_kind:     by_value
      - .offset:         16
        .size:           8
        .value_kind:     by_value
      - .address_space:  global
        .offset:         24
        .size:           8
        .value_kind:     global_buffer
      - .offset:         32
        .size:           8
        .value_kind:     by_value
      - .offset:         40
        .size:           8
        .value_kind:     by_value
      - .offset:         48
        .size:           8
        .value_kind:     by_value
      - .address_space:  global
        .offset:         56
        .size:           8
        .value_kind:     global_buffer
      - .offset:         64
        .size:           8
        .value_kind:     by_value
      - .offset:         72
        .size:           8
        .value_kind:     by_value
      - .offset:         80
        .size:           8
        .value_kind:     by_value
      - .offset:         88
        .size:           8
        .value_kind:     by_value
      - .offset:         96
        .size:           8
        .value_kind:     by_value
      - .address_space:  global
        .offset:         104
        .size:           8
        .value_kind:     global_buffer
      - .offset:         112
        .size:           8
        .value_kind:     by_value
      - .offset:         120
        .size:           8
        .value_kind:     by_value
      - .offset:         128
        .size:           8
        .value_kind:     by_value
      - .offset:         136
        .size:           4
        .value_kind:     by_value
    .group_segment_fixed_size: 10496
    .kernarg_segment_align: 8
    .kernarg_segment_size: 140
    .language:       OpenCL C
    .language_version:
      - 2
      - 0
    .max_flat_workgroup_size: 128
    .name:           _ZL50rocblas_symv_kernel_lower_double_buffered_diagonalILi32ELi4E24rocblas_internal_val_ptrIdEPKdPdEvbiT1_lT2_lllS6_lllS5_lT3_llli
    .private_segment_fixed_size: 0
    .sgpr_count:     36
    .sgpr_spill_count: 0
    .symbol:         _ZL50rocblas_symv_kernel_lower_double_buffered_diagonalILi32ELi4E24rocblas_internal_val_ptrIdEPKdPdEvbiT1_lT2_lllS6_lllS5_lT3_llli.kd
    .uniform_work_group_size: 1
    .uses_dynamic_stack: false
    .vgpr_count:     29
    .vgpr_spill_count: 0
    .wavefront_size: 64
  - .args:
      - .offset:         0
        .size:           1
        .value_kind:     by_value
      - .offset:         4
        .size:           4
        .value_kind:     by_value
      - .offset:         8
        .size:           8
        .value_kind:     by_value
      - .offset:         16
        .size:           8
        .value_kind:     by_value
      - .address_space:  global
        .offset:         24
        .size:           8
        .value_kind:     global_buffer
      - .offset:         32
        .size:           8
        .value_kind:     by_value
      - .offset:         40
        .size:           8
        .value_kind:     by_value
      - .offset:         48
        .size:           8
        .value_kind:     by_value
      - .address_space:  global
        .offset:         56
        .size:           8
        .value_kind:     global_buffer
      - .offset:         64
        .size:           8
        .value_kind:     by_value
      - .offset:         72
        .size:           8
        .value_kind:     by_value
      - .offset:         80
        .size:           8
        .value_kind:     by_value
      - .address_space:  global
        .offset:         88
        .size:           8
        .value_kind:     global_buffer
      - .offset:         96
        .size:           8
        .value_kind:     by_value
      - .offset:         104
        .size:           8
        .value_kind:     by_value
      - .offset:         112
        .size:           8
        .value_kind:     by_value
      - .offset:         120
        .size:           4
        .value_kind:     by_value
      - .offset:         128
        .size:           4
        .value_kind:     hidden_block_count_x
      - .offset:         132
        .size:           4
        .value_kind:     hidden_block_count_y
      - .offset:         136
        .size:           4
        .value_kind:     hidden_block_count_z
      - .offset:         140
        .size:           2
        .value_kind:     hidden_group_size_x
      - .offset:         142
        .size:           2
        .value_kind:     hidden_group_size_y
      - .offset:         144
        .size:           2
        .value_kind:     hidden_group_size_z
      - .offset:         146
        .size:           2
        .value_kind:     hidden_remainder_x
      - .offset:         148
        .size:           2
        .value_kind:     hidden_remainder_y
      - .offset:         150
        .size:           2
        .value_kind:     hidden_remainder_z
      - .offset:         168
        .size:           8
        .value_kind:     hidden_global_offset_x
      - .offset:         176
        .size:           8
        .value_kind:     hidden_global_offset_y
      - .offset:         184
        .size:           8
        .value_kind:     hidden_global_offset_z
      - .offset:         192
        .size:           2
        .value_kind:     hidden_grid_dims
    .group_segment_fixed_size: 6400
    .kernarg_segment_align: 8
    .kernarg_segment_size: 384
    .language:       OpenCL C
    .language_version:
      - 2
      - 0
    .max_flat_workgroup_size: 128
    .name:           _ZL54rocblas_symv_kernel_lower_double_buffered_non_diagonalILi32ELi4ELi4E24rocblas_internal_val_ptrIdEPKdPdEvbiT2_lT3_lllS6_lllT4_llli
    .private_segment_fixed_size: 0
    .sgpr_count:     33
    .sgpr_spill_count: 0
    .symbol:         _ZL54rocblas_symv_kernel_lower_double_buffered_non_diagonalILi32ELi4ELi4E24rocblas_internal_val_ptrIdEPKdPdEvbiT2_lT3_lllS6_lllT4_llli.kd
    .uniform_work_group_size: 1
    .uses_dynamic_stack: false
    .vgpr_count:     69
    .vgpr_spill_count: 0
    .wavefront_size: 64
  - .args:
      - .offset:         0
        .size:           1
        .value_kind:     by_value
      - .offset:         4
        .size:           4
        .value_kind:     by_value
      - .offset:         8
        .size:           8
        .value_kind:     by_value
      - .offset:         16
        .size:           8
        .value_kind:     by_value
      - .address_space:  global
        .offset:         24
        .size:           8
        .value_kind:     global_buffer
      - .offset:         32
        .size:           8
        .value_kind:     by_value
      - .offset:         40
        .size:           8
        .value_kind:     by_value
      - .offset:         48
        .size:           8
        .value_kind:     by_value
      - .address_space:  global
        .offset:         56
        .size:           8
        .value_kind:     global_buffer
      - .offset:         64
        .size:           8
        .value_kind:     by_value
      - .offset:         72
        .size:           8
        .value_kind:     by_value
      - .offset:         80
        .size:           8
        .value_kind:     by_value
      - .offset:         88
        .size:           8
        .value_kind:     by_value
      - .offset:         96
        .size:           8
        .value_kind:     by_value
      - .address_space:  global
        .offset:         104
        .size:           8
        .value_kind:     global_buffer
      - .offset:         112
        .size:           8
        .value_kind:     by_value
      - .offset:         120
        .size:           8
        .value_kind:     by_value
      - .offset:         128
        .size:           8
        .value_kind:     by_value
      - .offset:         136
        .size:           4
        .value_kind:     by_value
      - .offset:         140
        .size:           4
        .value_kind:     by_value
      - .offset:         144
        .size:           4
        .value_kind:     hidden_block_count_x
      - .offset:         148
        .size:           4
        .value_kind:     hidden_block_count_y
      - .offset:         152
        .size:           4
        .value_kind:     hidden_block_count_z
      - .offset:         156
        .size:           2
        .value_kind:     hidden_group_size_x
      - .offset:         158
        .size:           2
        .value_kind:     hidden_group_size_y
      - .offset:         160
        .size:           2
        .value_kind:     hidden_group_size_z
      - .offset:         162
        .size:           2
        .value_kind:     hidden_remainder_x
      - .offset:         164
        .size:           2
        .value_kind:     hidden_remainder_y
      - .offset:         166
        .size:           2
        .value_kind:     hidden_remainder_z
      - .offset:         184
        .size:           8
        .value_kind:     hidden_global_offset_x
      - .offset:         192
        .size:           8
        .value_kind:     hidden_global_offset_y
      - .offset:         200
        .size:           8
        .value_kind:     hidden_global_offset_z
      - .offset:         208
        .size:           2
        .value_kind:     hidden_grid_dims
    .group_segment_fixed_size: 10496
    .kernarg_segment_align: 8
    .kernarg_segment_size: 400
    .language:       OpenCL C
    .language_version:
      - 2
      - 0
    .max_flat_workgroup_size: 128
    .name:           _ZL58rocblas_symv_kernel_lower_double_buffered_diagonal_genericILi32ELi4E24rocblas_internal_val_ptrIdEPKdPdEvbiT1_lT2_lllS6_lllS5_lT3_lllii
    .private_segment_fixed_size: 0
    .sgpr_count:     42
    .sgpr_spill_count: 0
    .symbol:         _ZL58rocblas_symv_kernel_lower_double_buffered_diagonal_genericILi32ELi4E24rocblas_internal_val_ptrIdEPKdPdEvbiT1_lT2_lllS6_lllS5_lT3_lllii.kd
    .uniform_work_group_size: 1
    .uses_dynamic_stack: false
    .vgpr_count:     32
    .vgpr_spill_count: 0
    .wavefront_size: 64
  - .args:
      - .offset:         0
        .size:           1
        .value_kind:     by_value
      - .offset:         4
        .size:           4
        .value_kind:     by_value
      - .offset:         8
        .size:           8
        .value_kind:     by_value
      - .offset:         16
        .size:           8
        .value_kind:     by_value
      - .address_space:  global
        .offset:         24
        .size:           8
        .value_kind:     global_buffer
      - .offset:         32
        .size:           8
        .value_kind:     by_value
      - .offset:         40
        .size:           8
        .value_kind:     by_value
      - .offset:         48
        .size:           8
        .value_kind:     by_value
      - .address_space:  global
        .offset:         56
        .size:           8
        .value_kind:     global_buffer
      - .offset:         64
        .size:           8
        .value_kind:     by_value
      - .offset:         72
        .size:           8
        .value_kind:     by_value
      - .offset:         80
        .size:           8
        .value_kind:     by_value
      - .address_space:  global
        .offset:         88
        .size:           8
        .value_kind:     global_buffer
      - .offset:         96
        .size:           8
        .value_kind:     by_value
      - .offset:         104
        .size:           8
        .value_kind:     by_value
      - .offset:         112
        .size:           8
        .value_kind:     by_value
      - .offset:         120
        .size:           4
        .value_kind:     by_value
      - .offset:         124
        .size:           4
        .value_kind:     by_value
      - .offset:         128
        .size:           4
        .value_kind:     hidden_block_count_x
      - .offset:         132
        .size:           4
        .value_kind:     hidden_block_count_y
      - .offset:         136
        .size:           4
        .value_kind:     hidden_block_count_z
      - .offset:         140
        .size:           2
        .value_kind:     hidden_group_size_x
      - .offset:         142
        .size:           2
        .value_kind:     hidden_group_size_y
      - .offset:         144
        .size:           2
        .value_kind:     hidden_group_size_z
      - .offset:         146
        .size:           2
        .value_kind:     hidden_remainder_x
      - .offset:         148
        .size:           2
        .value_kind:     hidden_remainder_y
      - .offset:         150
        .size:           2
        .value_kind:     hidden_remainder_z
      - .offset:         168
        .size:           8
        .value_kind:     hidden_global_offset_x
      - .offset:         176
        .size:           8
        .value_kind:     hidden_global_offset_y
      - .offset:         184
        .size:           8
        .value_kind:     hidden_global_offset_z
      - .offset:         192
        .size:           2
        .value_kind:     hidden_grid_dims
    .group_segment_fixed_size: 6400
    .kernarg_segment_align: 8
    .kernarg_segment_size: 384
    .language:       OpenCL C
    .language_version:
      - 2
      - 0
    .max_flat_workgroup_size: 128
    .name:           _ZL62rocblas_symv_kernel_lower_double_buffered_non_diagonal_genericILi32ELi4ELi4E24rocblas_internal_val_ptrIdEPKdPdEvbiT2_lT3_lllS6_lllT4_lllii
    .private_segment_fixed_size: 0
    .sgpr_count:     44
    .sgpr_spill_count: 0
    .symbol:         _ZL62rocblas_symv_kernel_lower_double_buffered_non_diagonal_genericILi32ELi4ELi4E24rocblas_internal_val_ptrIdEPKdPdEvbiT2_lT3_lllS6_lllT4_lllii.kd
    .uniform_work_group_size: 1
    .uses_dynamic_stack: false
    .vgpr_count:     84
    .vgpr_spill_count: 0
    .wavefront_size: 64
  - .args:
      - .offset:         0
        .size:           4
        .value_kind:     by_value
      - .address_space:  global
        .offset:         8
        .size:           8
        .value_kind:     global_buffer
      - .offset:         16
        .size:           8
        .value_kind:     by_value
      - .address_space:  global
        .offset:         24
        .size:           8
        .value_kind:     global_buffer
      - .offset:         32
        .size:           8
        .value_kind:     by_value
      - .offset:         40
        .size:           8
        .value_kind:     by_value
      - .offset:         48
        .size:           8
        .value_kind:     by_value
      - .address_space:  global
        .offset:         56
        .size:           8
        .value_kind:     global_buffer
      - .offset:         64
        .size:           8
        .value_kind:     by_value
      - .offset:         72
        .size:           8
        .value_kind:     by_value
      - .offset:         80
        .size:           8
        .value_kind:     by_value
      - .address_space:  global
        .offset:         88
        .size:           8
        .value_kind:     global_buffer
      - .offset:         96
        .size:           8
        .value_kind:     by_value
      - .address_space:  global
        .offset:         104
        .size:           8
        .value_kind:     global_buffer
      - .offset:         112
        .size:           4
        .value_kind:     by_value
      - .offset:         120
        .size:           4
        .value_kind:     hidden_block_count_x
      - .offset:         124
        .size:           4
        .value_kind:     hidden_block_count_y
      - .offset:         128
        .size:           4
        .value_kind:     hidden_block_count_z
      - .offset:         132
        .size:           2
        .value_kind:     hidden_group_size_x
      - .offset:         134
        .size:           2
        .value_kind:     hidden_group_size_y
      - .offset:         136
        .size:           2
        .value_kind:     hidden_group_size_z
      - .offset:         138
        .size:           2
        .value_kind:     hidden_remainder_x
      - .offset:         140
        .size:           2
        .value_kind:     hidden_remainder_y
      - .offset:         142
        .size:           2
        .value_kind:     hidden_remainder_z
      - .offset:         160
        .size:           8
        .value_kind:     hidden_global_offset_x
      - .offset:         168
        .size:           8
        .value_kind:     hidden_global_offset_y
      - .offset:         176
        .size:           8
        .value_kind:     hidden_global_offset_z
      - .offset:         184
        .size:           2
        .value_kind:     hidden_grid_dims
    .group_segment_fixed_size: 9600
    .kernarg_segment_align: 8
    .kernarg_segment_size: 376
    .language:       OpenCL C
    .language_version:
      - 2
      - 0
    .max_flat_workgroup_size: 256
    .name:           _ZL26rocblas_hemvn_kernel_lowerILb0ELi64ELi4ELi33ELi32ELi16ElPKdS1_PdEviT6_lT7_lT5_lS4_lS5_lS3_lT8_i
    .private_segment_fixed_size: 0
    .sgpr_count:     50
    .sgpr_spill_count: 0
    .symbol:         _ZL26rocblas_hemvn_kernel_lowerILb0ELi64ELi4ELi33ELi32ELi16ElPKdS1_PdEviT6_lT7_lT5_lS4_lS5_lS3_lT8_i.kd
    .uniform_work_group_size: 1
    .uses_dynamic_stack: false
    .vgpr_count:     115
    .vgpr_spill_count: 0
    .wavefront_size: 64
  - .args:
      - .offset:         0
        .size:           4
        .value_kind:     by_value
      - .address_space:  global
        .offset:         8
        .size:           8
        .value_kind:     global_buffer
      - .offset:         16
        .size:           8
        .value_kind:     by_value
      - .address_space:  global
        .offset:         24
        .size:           8
        .value_kind:     global_buffer
      - .offset:         32
        .size:           8
        .value_kind:     by_value
      - .address_space:  global
        .offset:         40
        .size:           8
        .value_kind:     global_buffer
      - .offset:         48
        .size:           8
        .value_kind:     by_value
      - .offset:         56
        .size:           8
        .value_kind:     by_value
      - .offset:         64
        .size:           8
        .value_kind:     by_value
      - .actual_access:  read_only
        .address_space:  global
        .offset:         72
        .size:           8
        .value_kind:     global_buffer
      - .offset:         80
        .size:           4
        .value_kind:     by_value
      - .offset:         88
        .size:           4
        .value_kind:     hidden_block_count_x
      - .offset:         92
        .size:           4
        .value_kind:     hidden_block_count_y
      - .offset:         96
        .size:           4
        .value_kind:     hidden_block_count_z
      - .offset:         100
        .size:           2
        .value_kind:     hidden_group_size_x
      - .offset:         102
        .size:           2
        .value_kind:     hidden_group_size_y
      - .offset:         104
        .size:           2
        .value_kind:     hidden_group_size_z
      - .offset:         106
        .size:           2
        .value_kind:     hidden_remainder_x
      - .offset:         108
        .size:           2
        .value_kind:     hidden_remainder_y
      - .offset:         110
        .size:           2
        .value_kind:     hidden_remainder_z
      - .offset:         128
        .size:           8
        .value_kind:     hidden_global_offset_x
      - .offset:         136
        .size:           8
        .value_kind:     hidden_global_offset_y
      - .offset:         144
        .size:           8
        .value_kind:     hidden_global_offset_z
      - .offset:         152
        .size:           2
        .value_kind:     hidden_grid_dims
    .group_segment_fixed_size: 0
    .kernarg_segment_align: 8
    .kernarg_segment_size: 344
    .language:       OpenCL C
    .language_version:
      - 2
      - 0
    .max_flat_workgroup_size: 64
    .name:           _ZL36rocblas_hemvn_kernel_lower_block_sumILi64ElPKdPddEviT1_lS3_lT2_lT0_lPT3_i
    .private_segment_fixed_size: 0
    .sgpr_count:     26
    .sgpr_spill_count: 0
    .symbol:         _ZL36rocblas_hemvn_kernel_lower_block_sumILi64ElPKdPddEviT1_lS3_lT2_lT0_lPT3_i.kd
    .uniform_work_group_size: 1
    .uses_dynamic_stack: false
    .vgpr_count:     9
    .vgpr_spill_count: 0
    .wavefront_size: 64
  - .args:
      - .offset:         0
        .size:           4
        .value_kind:     by_value
      - .address_space:  global
        .offset:         8
        .size:           8
        .value_kind:     global_buffer
      - .offset:         16
        .size:           8
        .value_kind:     by_value
      - .address_space:  global
        .offset:         24
        .size:           8
        .value_kind:     global_buffer
      - .offset:         32
        .size:           8
        .value_kind:     by_value
      - .offset:         40
        .size:           4
        .value_kind:     by_value
      - .offset:         48
        .size:           8
        .value_kind:     by_value
      - .address_space:  global
        .offset:         56
        .size:           8
        .value_kind:     global_buffer
      - .offset:         64
        .size:           8
        .value_kind:     by_value
      - .offset:         72
        .size:           4
        .value_kind:     by_value
      - .offset:         80
        .size:           8
        .value_kind:     by_value
      - .address_space:  global
        .offset:         88
        .size:           8
        .value_kind:     global_buffer
      - .offset:         96
        .size:           8
        .value_kind:     by_value
      - .address_space:  global
        .offset:         104
        .size:           8
        .value_kind:     global_buffer
      - .offset:         112
        .size:           4
        .value_kind:     by_value
      - .offset:         120
        .size:           4
        .value_kind:     hidden_block_count_x
      - .offset:         124
        .size:           4
        .value_kind:     hidden_block_count_y
      - .offset:         128
        .size:           4
        .value_kind:     hidden_block_count_z
      - .offset:         132
        .size:           2
        .value_kind:     hidden_group_size_x
      - .offset:         134
        .size:           2
        .value_kind:     hidden_group_size_y
      - .offset:         136
        .size:           2
        .value_kind:     hidden_group_size_z
      - .offset:         138
        .size:           2
        .value_kind:     hidden_remainder_x
      - .offset:         140
        .size:           2
        .value_kind:     hidden_remainder_y
      - .offset:         142
        .size:           2
        .value_kind:     hidden_remainder_z
      - .offset:         160
        .size:           8
        .value_kind:     hidden_global_offset_x
      - .offset:         168
        .size:           8
        .value_kind:     hidden_global_offset_y
      - .offset:         176
        .size:           8
        .value_kind:     hidden_global_offset_z
      - .offset:         184
        .size:           2
        .value_kind:     hidden_grid_dims
    .group_segment_fixed_size: 9600
    .kernarg_segment_align: 8
    .kernarg_segment_size: 376
    .language:       OpenCL C
    .language_version:
      - 2
      - 0
    .max_flat_workgroup_size: 256
    .name:           _ZL26rocblas_hemvn_kernel_lowerILb0ELi64ELi4ELi33ELi32ELi16EiPKdS1_PdEviT6_lT7_lT5_lS4_lS5_lS3_lT8_i
    .private_segment_fixed_size: 0
    .sgpr_count:     50
    .sgpr_spill_count: 0
    .symbol:         _ZL26rocblas_hemvn_kernel_lowerILb0ELi64ELi4ELi33ELi32ELi16EiPKdS1_PdEviT6_lT7_lT5_lS4_lS5_lS3_lT8_i.kd
    .uniform_work_group_size: 1
    .uses_dynamic_stack: false
    .vgpr_count:     113
    .vgpr_spill_count: 0
    .wavefront_size: 64
  - .args:
      - .offset:         0
        .size:           4
        .value_kind:     by_value
      - .address_space:  global
        .offset:         8
        .size:           8
        .value_kind:     global_buffer
      - .offset:         16
        .size:           8
        .value_kind:     by_value
      - .address_space:  global
        .offset:         24
        .size:           8
        .value_kind:     global_buffer
      - .offset:         32
        .size:           8
        .value_kind:     by_value
      - .address_space:  global
        .offset:         40
        .size:           8
        .value_kind:     global_buffer
      - .offset:         48
        .size:           8
        .value_kind:     by_value
      - .offset:         56
        .size:           4
        .value_kind:     by_value
      - .offset:         64
        .size:           8
        .value_kind:     by_value
      - .actual_access:  read_only
        .address_space:  global
        .offset:         72
        .size:           8
        .value_kind:     global_buffer
      - .offset:         80
        .size:           4
        .value_kind:     by_value
      - .offset:         88
        .size:           4
        .value_kind:     hidden_block_count_x
      - .offset:         92
        .size:           4
        .value_kind:     hidden_block_count_y
      - .offset:         96
        .size:           4
        .value_kind:     hidden_block_count_z
      - .offset:         100
        .size:           2
        .value_kind:     hidden_group_size_x
      - .offset:         102
        .size:           2
        .value_kind:     hidden_group_size_y
      - .offset:         104
        .size:           2
        .value_kind:     hidden_group_size_z
      - .offset:         106
        .size:           2
        .value_kind:     hidden_remainder_x
      - .offset:         108
        .size:           2
        .value_kind:     hidden_remainder_y
      - .offset:         110
        .size:           2
        .value_kind:     hidden_remainder_z
      - .offset:         128
        .size:           8
        .value_kind:     hidden_global_offset_x
      - .offset:         136
        .size:           8
        .value_kind:     hidden_global_offset_y
      - .offset:         144
        .size:           8
        .value_kind:     hidden_global_offset_z
      - .offset:         152
        .size:           2
        .value_kind:     hidden_grid_dims
    .group_segment_fixed_size: 0
    .kernarg_segment_align: 8
    .kernarg_segment_size: 344
    .language:       OpenCL C
    .language_version:
      - 2
      - 0
    .max_flat_workgroup_size: 64
    .name:           _ZL36rocblas_hemvn_kernel_lower_block_sumILi64EiPKdPddEviT1_lS3_lT2_lT0_lPT3_i
    .private_segment_fixed_size: 0
    .sgpr_count:     25
    .sgpr_spill_count: 0
    .symbol:         _ZL36rocblas_hemvn_kernel_lower_block_sumILi64EiPKdPddEviT1_lS3_lT2_lT0_lPT3_i.kd
    .uniform_work_group_size: 1
    .uses_dynamic_stack: false
    .vgpr_count:     9
    .vgpr_spill_count: 0
    .wavefront_size: 64
  - .args:
      - .offset:         0
        .size:           4
        .value_kind:     by_value
      - .offset:         8
        .size:           8
        .value_kind:     by_value
      - .offset:         16
        .size:           8
        .value_kind:     by_value
      - .address_space:  global
        .offset:         24
        .size:           8
        .value_kind:     global_buffer
      - .offset:         32
        .size:           8
        .value_kind:     by_value
      - .offset:         40
        .size:           8
        .value_kind:     by_value
      - .offset:         48
        .size:           8
        .value_kind:     by_value
      - .address_space:  global
        .offset:         56
        .size:           8
        .value_kind:     global_buffer
      - .offset:         64
        .size:           8
        .value_kind:     by_value
      - .offset:         72
        .size:           8
        .value_kind:     by_value
      - .offset:         80
        .size:           8
        .value_kind:     by_value
      - .offset:         88
        .size:           8
        .value_kind:     by_value
      - .offset:         96
        .size:           8
        .value_kind:     by_value
      - .address_space:  global
        .offset:         104
        .size:           8
        .value_kind:     global_buffer
      - .offset:         112
        .size:           4
        .value_kind:     by_value
      - .offset:         120
        .size:           4
        .value_kind:     hidden_block_count_x
      - .offset:         124
        .size:           4
        .value_kind:     hidden_block_count_y
      - .offset:         128
        .size:           4
        .value_kind:     hidden_block_count_z
      - .offset:         132
        .size:           2
        .value_kind:     hidden_group_size_x
      - .offset:         134
        .size:           2
        .value_kind:     hidden_group_size_y
      - .offset:         136
        .size:           2
        .value_kind:     hidden_group_size_z
      - .offset:         138
        .size:           2
        .value_kind:     hidden_remainder_x
      - .offset:         140
        .size:           2
        .value_kind:     hidden_remainder_y
      - .offset:         142
        .size:           2
        .value_kind:     hidden_remainder_z
      - .offset:         160
        .size:           8
        .value_kind:     hidden_global_offset_x
      - .offset:         168
        .size:           8
        .value_kind:     hidden_global_offset_y
      - .offset:         176
        .size:           8
        .value_kind:     hidden_global_offset_z
      - .offset:         184
        .size:           2
        .value_kind:     hidden_grid_dims
    .group_segment_fixed_size: 9600
    .kernarg_segment_align: 8
    .kernarg_segment_size: 376
    .language:       OpenCL C
    .language_version:
      - 2
      - 0
    .max_flat_workgroup_size: 256
    .name:           _ZL26rocblas_hemvn_kernel_lowerILb0ELi64ELi4ELi33ELi32ELi16EldPKdPdEviT6_lT7_lT5_lS4_lS5_lS3_lT8_i
    .private_segment_fixed_size: 0
    .sgpr_count:     57
    .sgpr_spill_count: 0
    .symbol:         _ZL26rocblas_hemvn_kernel_lowerILb0ELi64ELi4ELi33ELi32ELi16EldPKdPdEviT6_lT7_lT5_lS4_lS5_lS3_lT8_i.kd
    .uniform_work_group_size: 1
    .uses_dynamic_stack: false
    .vgpr_count:     115
    .vgpr_spill_count: 0
    .wavefront_size: 64
  - .args:
      - .offset:         0
        .size:           4
        .value_kind:     by_value
      - .offset:         8
        .size:           8
        .value_kind:     by_value
      - .offset:         16
        .size:           8
        .value_kind:     by_value
      - .offset:         24
        .size:           8
        .value_kind:     by_value
      - .offset:         32
        .size:           8
        .value_kind:     by_value
      - .address_space:  global
        .offset:         40
        .size:           8
        .value_kind:     global_buffer
      - .offset:         48
        .size:           8
        .value_kind:     by_value
      - .offset:         56
        .size:           8
        .value_kind:     by_value
      - .offset:         64
        .size:           8
        .value_kind:     by_value
      - .actual_access:  read_only
        .address_space:  global
        .offset:         72
        .size:           8
        .value_kind:     global_buffer
      - .offset:         80
        .size:           4
        .value_kind:     by_value
      - .offset:         88
        .size:           4
        .value_kind:     hidden_block_count_x
      - .offset:         92
        .size:           4
        .value_kind:     hidden_block_count_y
      - .offset:         96
        .size:           4
        .value_kind:     hidden_block_count_z
      - .offset:         100
        .size:           2
        .value_kind:     hidden_group_size_x
      - .offset:         102
        .size:           2
        .value_kind:     hidden_group_size_y
      - .offset:         104
        .size:           2
        .value_kind:     hidden_group_size_z
      - .offset:         106
        .size:           2
        .value_kind:     hidden_remainder_x
      - .offset:         108
        .size:           2
        .value_kind:     hidden_remainder_y
      - .offset:         110
        .size:           2
        .value_kind:     hidden_remainder_z
      - .offset:         128
        .size:           8
        .value_kind:     hidden_global_offset_x
      - .offset:         136
        .size:           8
        .value_kind:     hidden_global_offset_y
      - .offset:         144
        .size:           8
        .value_kind:     hidden_global_offset_z
      - .offset:         152
        .size:           2
        .value_kind:     hidden_grid_dims
    .group_segment_fixed_size: 0
    .kernarg_segment_align: 8
    .kernarg_segment_size: 344
    .language:       OpenCL C
    .language_version:
      - 2
      - 0
    .max_flat_workgroup_size: 64
    .name:           _ZL36rocblas_hemvn_kernel_lower_block_sumILi64EldPddEviT1_lS1_lT2_lT0_lPT3_i
    .private_segment_fixed_size: 0
    .sgpr_count:     26
    .sgpr_spill_count: 0
    .symbol:         _ZL36rocblas_hemvn_kernel_lower_block_sumILi64EldPddEviT1_lS1_lT2_lT0_lPT3_i.kd
    .uniform_work_group_size: 1
    .uses_dynamic_stack: false
    .vgpr_count:     9
    .vgpr_spill_count: 0
    .wavefront_size: 64
  - .args:
      - .offset:         0
        .size:           4
        .value_kind:     by_value
      - .offset:         8
        .size:           8
        .value_kind:     by_value
      - .offset:         16
        .size:           8
        .value_kind:     by_value
      - .address_space:  global
        .offset:         24
        .size:           8
        .value_kind:     global_buffer
      - .offset:         32
        .size:           8
        .value_kind:     by_value
      - .offset:         40
        .size:           4
        .value_kind:     by_value
      - .offset:         48
        .size:           8
        .value_kind:     by_value
      - .address_space:  global
        .offset:         56
        .size:           8
        .value_kind:     global_buffer
      - .offset:         64
        .size:           8
        .value_kind:     by_value
      - .offset:         72
        .size:           4
        .value_kind:     by_value
      - .offset:         80
        .size:           8
        .value_kind:     by_value
      - .offset:         88
        .size:           8
        .value_kind:     by_value
      - .offset:         96
        .size:           8
        .value_kind:     by_value
      - .address_space:  global
        .offset:         104
        .size:           8
        .value_kind:     global_buffer
      - .offset:         112
        .size:           4
        .value_kind:     by_value
      - .offset:         120
        .size:           4
        .value_kind:     hidden_block_count_x
      - .offset:         124
        .size:           4
        .value_kind:     hidden_block_count_y
      - .offset:         128
        .size:           4
        .value_kind:     hidden_block_count_z
      - .offset:         132
        .size:           2
        .value_kind:     hidden_group_size_x
      - .offset:         134
        .size:           2
        .value_kind:     hidden_group_size_y
      - .offset:         136
        .size:           2
        .value_kind:     hidden_group_size_z
      - .offset:         138
        .size:           2
        .value_kind:     hidden_remainder_x
      - .offset:         140
        .size:           2
        .value_kind:     hidden_remainder_y
      - .offset:         142
        .size:           2
        .value_kind:     hidden_remainder_z
      - .offset:         160
        .size:           8
        .value_kind:     hidden_global_offset_x
      - .offset:         168
        .size:           8
        .value_kind:     hidden_global_offset_y
      - .offset:         176
        .size:           8
        .value_kind:     hidden_global_offset_z
      - .offset:         184
        .size:           2
        .value_kind:     hidden_grid_dims
    .group_segment_fixed_size: 9600
    .kernarg_segment_align: 8
    .kernarg_segment_size: 376
    .language:       OpenCL C
    .language_version:
      - 2
      - 0
    .max_flat_workgroup_size: 256
    .name:           _ZL26rocblas_hemvn_kernel_lowerILb0ELi64ELi4ELi33ELi32ELi16EidPKdPdEviT6_lT7_lT5_lS4_lS5_lS3_lT8_i
    .private_segment_fixed_size: 0
    .sgpr_count:     50
    .sgpr_spill_count: 0
    .symbol:         _ZL26rocblas_hemvn_kernel_lowerILb0ELi64ELi4ELi33ELi32ELi16EidPKdPdEviT6_lT7_lT5_lS4_lS5_lS3_lT8_i.kd
    .uniform_work_group_size: 1
    .uses_dynamic_stack: false
    .vgpr_count:     113
    .vgpr_spill_count: 0
    .wavefront_size: 64
  - .args:
      - .offset:         0
        .size:           4
        .value_kind:     by_value
      - .offset:         8
        .size:           8
        .value_kind:     by_value
      - .offset:         16
        .size:           8
        .value_kind:     by_value
      - .offset:         24
        .size:           8
        .value_kind:     by_value
      - .offset:         32
        .size:           8
        .value_kind:     by_value
      - .address_space:  global
        .offset:         40
        .size:           8
        .value_kind:     global_buffer
      - .offset:         48
        .size:           8
        .value_kind:     by_value
      - .offset:         56
        .size:           4
        .value_kind:     by_value
      - .offset:         64
        .size:           8
        .value_kind:     by_value
      - .actual_access:  read_only
        .address_space:  global
        .offset:         72
        .size:           8
        .value_kind:     global_buffer
      - .offset:         80
        .size:           4
        .value_kind:     by_value
      - .offset:         88
        .size:           4
        .value_kind:     hidden_block_count_x
      - .offset:         92
        .size:           4
        .value_kind:     hidden_block_count_y
      - .offset:         96
        .size:           4
        .value_kind:     hidden_block_count_z
      - .offset:         100
        .size:           2
        .value_kind:     hidden_group_size_x
      - .offset:         102
        .size:           2
        .value_kind:     hidden_group_size_y
      - .offset:         104
        .size:           2
        .value_kind:     hidden_group_size_z
      - .offset:         106
        .size:           2
        .value_kind:     hidden_remainder_x
      - .offset:         108
        .size:           2
        .value_kind:     hidden_remainder_y
      - .offset:         110
        .size:           2
        .value_kind:     hidden_remainder_z
      - .offset:         128
        .size:           8
        .value_kind:     hidden_global_offset_x
      - .offset:         136
        .size:           8
        .value_kind:     hidden_global_offset_y
      - .offset:         144
        .size:           8
        .value_kind:     hidden_global_offset_z
      - .offset:         152
        .size:           2
        .value_kind:     hidden_grid_dims
    .group_segment_fixed_size: 0
    .kernarg_segment_align: 8
    .kernarg_segment_size: 344
    .language:       OpenCL C
    .language_version:
      - 2
      - 0
    .max_flat_workgroup_size: 64
    .name:           _ZL36rocblas_hemvn_kernel_lower_block_sumILi64EidPddEviT1_lS1_lT2_lT0_lPT3_i
    .private_segment_fixed_size: 0
    .sgpr_count:     25
    .sgpr_spill_count: 0
    .symbol:         _ZL36rocblas_hemvn_kernel_lower_block_sumILi64EidPddEviT1_lS1_lT2_lT0_lPT3_i.kd
    .uniform_work_group_size: 1
    .uses_dynamic_stack: false
    .vgpr_count:     9
    .vgpr_spill_count: 0
    .wavefront_size: 64
  - .args:
      - .offset:         0
        .size:           4
        .value_kind:     by_value
      - .address_space:  global
        .offset:         8
        .size:           8
        .value_kind:     global_buffer
      - .offset:         16
        .size:           8
        .value_kind:     by_value
      - .address_space:  global
        .offset:         24
        .size:           8
        .value_kind:     global_buffer
      - .offset:         32
        .size:           8
        .value_kind:     by_value
      - .offset:         40
        .size:           8
        .value_kind:     by_value
      - .offset:         48
        .size:           8
        .value_kind:     by_value
      - .address_space:  global
        .offset:         56
        .size:           8
        .value_kind:     global_buffer
      - .offset:         64
        .size:           8
        .value_kind:     by_value
      - .offset:         72
        .size:           8
        .value_kind:     by_value
      - .offset:         80
        .size:           8
        .value_kind:     by_value
      - .address_space:  global
        .offset:         88
        .size:           8
        .value_kind:     global_buffer
      - .offset:         96
        .size:           8
        .value_kind:     by_value
      - .address_space:  global
        .offset:         104
        .size:           8
        .value_kind:     global_buffer
      - .offset:         112
        .size:           4
        .value_kind:     by_value
      - .offset:         120
        .size:           4
        .value_kind:     hidden_block_count_x
      - .offset:         124
        .size:           4
        .value_kind:     hidden_block_count_y
      - .offset:         128
        .size:           4
        .value_kind:     hidden_block_count_z
      - .offset:         132
        .size:           2
        .value_kind:     hidden_group_size_x
      - .offset:         134
        .size:           2
        .value_kind:     hidden_group_size_y
      - .offset:         136
        .size:           2
        .value_kind:     hidden_group_size_z
      - .offset:         138
        .size:           2
        .value_kind:     hidden_remainder_x
      - .offset:         140
        .size:           2
        .value_kind:     hidden_remainder_y
      - .offset:         142
        .size:           2
        .value_kind:     hidden_remainder_z
      - .offset:         160
        .size:           8
        .value_kind:     hidden_global_offset_x
      - .offset:         168
        .size:           8
        .value_kind:     hidden_global_offset_y
      - .offset:         176
        .size:           8
        .value_kind:     hidden_global_offset_z
      - .offset:         184
        .size:           2
        .value_kind:     hidden_grid_dims
    .group_segment_fixed_size: 9600
    .kernarg_segment_align: 8
    .kernarg_segment_size: 376
    .language:       OpenCL C
    .language_version:
      - 2
      - 0
    .max_flat_workgroup_size: 256
    .name:           _ZL26rocblas_hemvn_kernel_upperILb0ELi64ELi4ELi33ELi32ELi16ElPK19rocblas_complex_numIfES3_PS1_EviT6_lT7_lT5_lS6_lS7_lS5_lT8_i
    .private_segment_fixed_size: 0
    .sgpr_count:     46
    .sgpr_spill_count: 0
    .symbol:         _ZL26rocblas_hemvn_kernel_upperILb0ELi64ELi4ELi33ELi32ELi16ElPK19rocblas_complex_numIfES3_PS1_EviT6_lT7_lT5_lS6_lS7_lS5_lT8_i.kd
    .uniform_work_group_size: 1
    .uses_dynamic_stack: false
    .vgpr_count:     146
    .vgpr_spill_count: 0
    .wavefront_size: 64
  - .args:
      - .offset:         0
        .size:           4
        .value_kind:     by_value
      - .address_space:  global
        .offset:         8
        .size:           8
        .value_kind:     global_buffer
      - .offset:         16
        .size:           8
        .value_kind:     by_value
      - .address_space:  global
        .offset:         24
        .size:           8
        .value_kind:     global_buffer
      - .offset:         32
        .size:           8
        .value_kind:     by_value
      - .offset:         40
        .size:           4
        .value_kind:     by_value
      - .offset:         48
        .size:           8
        .value_kind:     by_value
      - .address_space:  global
        .offset:         56
        .size:           8
        .value_kind:     global_buffer
      - .offset:         64
        .size:           8
        .value_kind:     by_value
      - .offset:         72
        .size:           4
        .value_kind:     by_value
      - .offset:         80
        .size:           8
        .value_kind:     by_value
      - .address_space:  global
        .offset:         88
        .size:           8
        .value_kind:     global_buffer
      - .offset:         96
        .size:           8
        .value_kind:     by_value
      - .address_space:  global
        .offset:         104
        .size:           8
        .value_kind:     global_buffer
      - .offset:         112
        .size:           4
        .value_kind:     by_value
      - .offset:         120
        .size:           4
        .value_kind:     hidden_block_count_x
      - .offset:         124
        .size:           4
        .value_kind:     hidden_block_count_y
      - .offset:         128
        .size:           4
        .value_kind:     hidden_block_count_z
      - .offset:         132
        .size:           2
        .value_kind:     hidden_group_size_x
      - .offset:         134
        .size:           2
        .value_kind:     hidden_group_size_y
      - .offset:         136
        .size:           2
        .value_kind:     hidden_group_size_z
      - .offset:         138
        .size:           2
        .value_kind:     hidden_remainder_x
      - .offset:         140
        .size:           2
        .value_kind:     hidden_remainder_y
      - .offset:         142
        .size:           2
        .value_kind:     hidden_remainder_z
      - .offset:         160
        .size:           8
        .value_kind:     hidden_global_offset_x
      - .offset:         168
        .size:           8
        .value_kind:     hidden_global_offset_y
      - .offset:         176
        .size:           8
        .value_kind:     hidden_global_offset_z
      - .offset:         184
        .size:           2
        .value_kind:     hidden_grid_dims
    .group_segment_fixed_size: 9600
    .kernarg_segment_align: 8
    .kernarg_segment_size: 376
    .language:       OpenCL C
    .language_version:
      - 2
      - 0
    .max_flat_workgroup_size: 256
    .name:           _ZL26rocblas_hemvn_kernel_upperILb0ELi64ELi4ELi33ELi32ELi16EiPK19rocblas_complex_numIfES3_PS1_EviT6_lT7_lT5_lS6_lS7_lS5_lT8_i
    .private_segment_fixed_size: 0
    .sgpr_count:     48
    .sgpr_spill_count: 0
    .symbol:         _ZL26rocblas_hemvn_kernel_upperILb0ELi64ELi4ELi33ELi32ELi16EiPK19rocblas_complex_numIfES3_PS1_EviT6_lT7_lT5_lS6_lS7_lS5_lT8_i.kd
    .uniform_work_group_size: 1
    .uses_dynamic_stack: false
    .vgpr_count:     157
    .vgpr_spill_count: 0
    .wavefront_size: 64
  - .args:
      - .offset:         0
        .size:           4
        .value_kind:     by_value
      - .offset:         4
        .size:           8
        .value_kind:     by_value
      - .offset:         16
        .size:           8
        .value_kind:     by_value
      - .address_space:  global
        .offset:         24
        .size:           8
        .value_kind:     global_buffer
      - .offset:         32
        .size:           8
        .value_kind:     by_value
      - .offset:         40
        .size:           8
        .value_kind:     by_value
      - .offset:         48
        .size:           8
        .value_kind:     by_value
      - .address_space:  global
        .offset:         56
        .size:           8
        .value_kind:     global_buffer
      - .offset:         64
        .size:           8
        .value_kind:     by_value
      - .offset:         72
        .size:           8
        .value_kind:     by_value
      - .offset:         80
        .size:           8
        .value_kind:     by_value
      - .offset:         88
        .size:           8
        .value_kind:     by_value
      - .offset:         96
        .size:           8
        .value_kind:     by_value
      - .address_space:  global
        .offset:         104
        .size:           8
        .value_kind:     global_buffer
      - .offset:         112
        .size:           4
        .value_kind:     by_value
      - .offset:         120
        .size:           4
        .value_kind:     hidden_block_count_x
      - .offset:         124
        .size:           4
        .value_kind:     hidden_block_count_y
      - .offset:         128
        .size:           4
        .value_kind:     hidden_block_count_z
      - .offset:         132
        .size:           2
        .value_kind:     hidden_group_size_x
      - .offset:         134
        .size:           2
        .value_kind:     hidden_group_size_y
      - .offset:         136
        .size:           2
        .value_kind:     hidden_group_size_z
      - .offset:         138
        .size:           2
        .value_kind:     hidden_remainder_x
      - .offset:         140
        .size:           2
        .value_kind:     hidden_remainder_y
      - .offset:         142
        .size:           2
        .value_kind:     hidden_remainder_z
      - .offset:         160
        .size:           8
        .value_kind:     hidden_global_offset_x
      - .offset:         168
        .size:           8
        .value_kind:     hidden_global_offset_y
      - .offset:         176
        .size:           8
        .value_kind:     hidden_global_offset_z
      - .offset:         184
        .size:           2
        .value_kind:     hidden_grid_dims
    .group_segment_fixed_size: 9600
    .kernarg_segment_align: 8
    .kernarg_segment_size: 376
    .language:       OpenCL C
    .language_version:
      - 2
      - 0
    .max_flat_workgroup_size: 256
    .name:           _ZL26rocblas_hemvn_kernel_upperILb0ELi64ELi4ELi33ELi32ELi16El19rocblas_complex_numIfEPKS1_PS1_EviT6_lT7_lT5_lS6_lS7_lS5_lT8_i
    .private_segment_fixed_size: 0
    .sgpr_count:     46
    .sgpr_spill_count: 0
    .symbol:         _ZL26rocblas_hemvn_kernel_upperILb0ELi64ELi4ELi33ELi32ELi16El19rocblas_complex_numIfEPKS1_PS1_EviT6_lT7_lT5_lS6_lS7_lS5_lT8_i.kd
    .uniform_work_group_size: 1
    .uses_dynamic_stack: false
    .vgpr_count:     146
    .vgpr_spill_count: 0
    .wavefront_size: 64
  - .args:
      - .offset:         0
        .size:           4
        .value_kind:     by_value
      - .offset:         4
        .size:           8
        .value_kind:     by_value
      - .offset:         16
        .size:           8
        .value_kind:     by_value
      - .address_space:  global
        .offset:         24
        .size:           8
        .value_kind:     global_buffer
      - .offset:         32
        .size:           8
        .value_kind:     by_value
      - .offset:         40
        .size:           4
        .value_kind:     by_value
      - .offset:         48
        .size:           8
        .value_kind:     by_value
      - .address_space:  global
        .offset:         56
        .size:           8
        .value_kind:     global_buffer
      - .offset:         64
        .size:           8
        .value_kind:     by_value
      - .offset:         72
        .size:           4
        .value_kind:     by_value
      - .offset:         80
        .size:           8
        .value_kind:     by_value
      - .offset:         88
        .size:           8
        .value_kind:     by_value
      - .offset:         96
        .size:           8
        .value_kind:     by_value
      - .address_space:  global
        .offset:         104
        .size:           8
        .value_kind:     global_buffer
      - .offset:         112
        .size:           4
        .value_kind:     by_value
      - .offset:         120
        .size:           4
        .value_kind:     hidden_block_count_x
      - .offset:         124
        .size:           4
        .value_kind:     hidden_block_count_y
      - .offset:         128
        .size:           4
        .value_kind:     hidden_block_count_z
      - .offset:         132
        .size:           2
        .value_kind:     hidden_group_size_x
      - .offset:         134
        .size:           2
        .value_kind:     hidden_group_size_y
      - .offset:         136
        .size:           2
        .value_kind:     hidden_group_size_z
      - .offset:         138
        .size:           2
        .value_kind:     hidden_remainder_x
      - .offset:         140
        .size:           2
        .value_kind:     hidden_remainder_y
      - .offset:         142
        .size:           2
        .value_kind:     hidden_remainder_z
      - .offset:         160
        .size:           8
        .value_kind:     hidden_global_offset_x
      - .offset:         168
        .size:           8
        .value_kind:     hidden_global_offset_y
      - .offset:         176
        .size:           8
        .value_kind:     hidden_global_offset_z
      - .offset:         184
        .size:           2
        .value_kind:     hidden_grid_dims
    .group_segment_fixed_size: 9600
    .kernarg_segment_align: 8
    .kernarg_segment_size: 376
    .language:       OpenCL C
    .language_version:
      - 2
      - 0
    .max_flat_workgroup_size: 256
    .name:           _ZL26rocblas_hemvn_kernel_upperILb0ELi64ELi4ELi33ELi32ELi16Ei19rocblas_complex_numIfEPKS1_PS1_EviT6_lT7_lT5_lS6_lS7_lS5_lT8_i
    .private_segment_fixed_size: 0
    .sgpr_count:     48
    .sgpr_spill_count: 0
    .symbol:         _ZL26rocblas_hemvn_kernel_upperILb0ELi64ELi4ELi33ELi32ELi16Ei19rocblas_complex_numIfEPKS1_PS1_EviT6_lT7_lT5_lS6_lS7_lS5_lT8_i.kd
    .uniform_work_group_size: 1
    .uses_dynamic_stack: false
    .vgpr_count:     157
    .vgpr_spill_count: 0
    .wavefront_size: 64
  - .args:
      - .offset:         0
        .size:           4
        .value_kind:     by_value
      - .address_space:  global
        .offset:         8
        .size:           8
        .value_kind:     global_buffer
      - .offset:         16
        .size:           8
        .value_kind:     by_value
      - .address_space:  global
        .offset:         24
        .size:           8
        .value_kind:     global_buffer
      - .offset:         32
        .size:           8
        .value_kind:     by_value
      - .offset:         40
        .size:           8
        .value_kind:     by_value
      - .offset:         48
        .size:           8
        .value_kind:     by_value
      - .address_space:  global
        .offset:         56
        .size:           8
        .value_kind:     global_buffer
      - .offset:         64
        .size:           8
        .value_kind:     by_value
      - .offset:         72
        .size:           8
        .value_kind:     by_value
      - .offset:         80
        .size:           8
        .value_kind:     by_value
      - .address_space:  global
        .offset:         88
        .size:           8
        .value_kind:     global_buffer
      - .offset:         96
        .size:           8
        .value_kind:     by_value
      - .address_space:  global
        .offset:         104
        .size:           8
        .value_kind:     global_buffer
      - .offset:         112
        .size:           4
        .value_kind:     by_value
      - .offset:         120
        .size:           4
        .value_kind:     hidden_block_count_x
      - .offset:         124
        .size:           4
        .value_kind:     hidden_block_count_y
      - .offset:         128
        .size:           4
        .value_kind:     hidden_block_count_z
      - .offset:         132
        .size:           2
        .value_kind:     hidden_group_size_x
      - .offset:         134
        .size:           2
        .value_kind:     hidden_group_size_y
      - .offset:         136
        .size:           2
        .value_kind:     hidden_group_size_z
      - .offset:         138
        .size:           2
        .value_kind:     hidden_remainder_x
      - .offset:         140
        .size:           2
        .value_kind:     hidden_remainder_y
      - .offset:         142
        .size:           2
        .value_kind:     hidden_remainder_z
      - .offset:         160
        .size:           8
        .value_kind:     hidden_global_offset_x
      - .offset:         168
        .size:           8
        .value_kind:     hidden_global_offset_y
      - .offset:         176
        .size:           8
        .value_kind:     hidden_global_offset_z
      - .offset:         184
        .size:           2
        .value_kind:     hidden_grid_dims
    .group_segment_fixed_size: 9600
    .kernarg_segment_align: 8
    .kernarg_segment_size: 376
    .language:       OpenCL C
    .language_version:
      - 2
      - 0
    .max_flat_workgroup_size: 256
    .name:           _ZL26rocblas_hemvn_kernel_lowerILb0ELi64ELi4ELi33ELi32ELi16ElPK19rocblas_complex_numIfES3_PS1_EviT6_lT7_lT5_lS6_lS7_lS5_lT8_i
    .private_segment_fixed_size: 0
    .sgpr_count:     50
    .sgpr_spill_count: 0
    .symbol:         _ZL26rocblas_hemvn_kernel_lowerILb0ELi64ELi4ELi33ELi32ELi16ElPK19rocblas_complex_numIfES3_PS1_EviT6_lT7_lT5_lS6_lS7_lS5_lT8_i.kd
    .uniform_work_group_size: 1
    .uses_dynamic_stack: false
    .vgpr_count:     121
    .vgpr_spill_count: 0
    .wavefront_size: 64
  - .args:
      - .offset:         0
        .size:           4
        .value_kind:     by_value
      - .address_space:  global
        .offset:         8
        .size:           8
        .value_kind:     global_buffer
      - .offset:         16
        .size:           8
        .value_kind:     by_value
      - .address_space:  global
        .offset:         24
        .size:           8
        .value_kind:     global_buffer
      - .offset:         32
        .size:           8
        .value_kind:     by_value
      - .offset:         40
        .size:           4
        .value_kind:     by_value
      - .offset:         48
        .size:           8
        .value_kind:     by_value
      - .address_space:  global
        .offset:         56
        .size:           8
        .value_kind:     global_buffer
      - .offset:         64
        .size:           8
        .value_kind:     by_value
      - .offset:         72
        .size:           4
        .value_kind:     by_value
      - .offset:         80
        .size:           8
        .value_kind:     by_value
      - .address_space:  global
        .offset:         88
        .size:           8
        .value_kind:     global_buffer
      - .offset:         96
        .size:           8
        .value_kind:     by_value
      - .address_space:  global
        .offset:         104
        .size:           8
        .value_kind:     global_buffer
      - .offset:         112
        .size:           4
        .value_kind:     by_value
      - .offset:         120
        .size:           4
        .value_kind:     hidden_block_count_x
      - .offset:         124
        .size:           4
        .value_kind:     hidden_block_count_y
      - .offset:         128
        .size:           4
        .value_kind:     hidden_block_count_z
      - .offset:         132
        .size:           2
        .value_kind:     hidden_group_size_x
      - .offset:         134
        .size:           2
        .value_kind:     hidden_group_size_y
      - .offset:         136
        .size:           2
        .value_kind:     hidden_group_size_z
      - .offset:         138
        .size:           2
        .value_kind:     hidden_remainder_x
      - .offset:         140
        .size:           2
        .value_kind:     hidden_remainder_y
      - .offset:         142
        .size:           2
        .value_kind:     hidden_remainder_z
      - .offset:         160
        .size:           8
        .value_kind:     hidden_global_offset_x
      - .offset:         168
        .size:           8
        .value_kind:     hidden_global_offset_y
      - .offset:         176
        .size:           8
        .value_kind:     hidden_global_offset_z
      - .offset:         184
        .size:           2
        .value_kind:     hidden_grid_dims
    .group_segment_fixed_size: 9600
    .kernarg_segment_align: 8
    .kernarg_segment_size: 376
    .language:       OpenCL C
    .language_version:
      - 2
      - 0
    .max_flat_workgroup_size: 256
    .name:           _ZL26rocblas_hemvn_kernel_lowerILb0ELi64ELi4ELi33ELi32ELi16EiPK19rocblas_complex_numIfES3_PS1_EviT6_lT7_lT5_lS6_lS7_lS5_lT8_i
    .private_segment_fixed_size: 0
    .sgpr_count:     50
    .sgpr_spill_count: 0
    .symbol:         _ZL26rocblas_hemvn_kernel_lowerILb0ELi64ELi4ELi33ELi32ELi16EiPK19rocblas_complex_numIfES3_PS1_EviT6_lT7_lT5_lS6_lS7_lS5_lT8_i.kd
    .uniform_work_group_size: 1
    .uses_dynamic_stack: false
    .vgpr_count:     119
    .vgpr_spill_count: 0
    .wavefront_size: 64
  - .args:
      - .offset:         0
        .size:           4
        .value_kind:     by_value
      - .offset:         4
        .size:           8
        .value_kind:     by_value
      - .offset:         16
        .size:           8
        .value_kind:     by_value
      - .address_space:  global
        .offset:         24
        .size:           8
        .value_kind:     global_buffer
      - .offset:         32
        .size:           8
        .value_kind:     by_value
      - .offset:         40
        .size:           8
        .value_kind:     by_value
      - .offset:         48
        .size:           8
        .value_kind:     by_value
      - .address_space:  global
        .offset:         56
        .size:           8
        .value_kind:     global_buffer
      - .offset:         64
        .size:           8
        .value_kind:     by_value
      - .offset:         72
        .size:           8
        .value_kind:     by_value
      - .offset:         80
        .size:           8
        .value_kind:     by_value
      - .offset:         88
        .size:           8
        .value_kind:     by_value
      - .offset:         96
        .size:           8
        .value_kind:     by_value
      - .address_space:  global
        .offset:         104
        .size:           8
        .value_kind:     global_buffer
      - .offset:         112
        .size:           4
        .value_kind:     by_value
      - .offset:         120
        .size:           4
        .value_kind:     hidden_block_count_x
      - .offset:         124
        .size:           4
        .value_kind:     hidden_block_count_y
      - .offset:         128
        .size:           4
        .value_kind:     hidden_block_count_z
      - .offset:         132
        .size:           2
        .value_kind:     hidden_group_size_x
      - .offset:         134
        .size:           2
        .value_kind:     hidden_group_size_y
      - .offset:         136
        .size:           2
        .value_kind:     hidden_group_size_z
      - .offset:         138
        .size:           2
        .value_kind:     hidden_remainder_x
      - .offset:         140
        .size:           2
        .value_kind:     hidden_remainder_y
      - .offset:         142
        .size:           2
        .value_kind:     hidden_remainder_z
      - .offset:         160
        .size:           8
        .value_kind:     hidden_global_offset_x
      - .offset:         168
        .size:           8
        .value_kind:     hidden_global_offset_y
      - .offset:         176
        .size:           8
        .value_kind:     hidden_global_offset_z
      - .offset:         184
        .size:           2
        .value_kind:     hidden_grid_dims
    .group_segment_fixed_size: 9600
    .kernarg_segment_align: 8
    .kernarg_segment_size: 376
    .language:       OpenCL C
    .language_version:
      - 2
      - 0
    .max_flat_workgroup_size: 256
    .name:           _ZL26rocblas_hemvn_kernel_lowerILb0ELi64ELi4ELi33ELi32ELi16El19rocblas_complex_numIfEPKS1_PS1_EviT6_lT7_lT5_lS6_lS7_lS5_lT8_i
    .private_segment_fixed_size: 0
    .sgpr_count:     57
    .sgpr_spill_count: 0
    .symbol:         _ZL26rocblas_hemvn_kernel_lowerILb0ELi64ELi4ELi33ELi32ELi16El19rocblas_complex_numIfEPKS1_PS1_EviT6_lT7_lT5_lS6_lS7_lS5_lT8_i.kd
    .uniform_work_group_size: 1
    .uses_dynamic_stack: false
    .vgpr_count:     121
    .vgpr_spill_count: 0
    .wavefront_size: 64
  - .args:
      - .offset:         0
        .size:           4
        .value_kind:     by_value
      - .offset:         4
        .size:           8
        .value_kind:     by_value
      - .offset:         16
        .size:           8
        .value_kind:     by_value
      - .address_space:  global
        .offset:         24
        .size:           8
        .value_kind:     global_buffer
      - .offset:         32
        .size:           8
        .value_kind:     by_value
      - .offset:         40
        .size:           4
        .value_kind:     by_value
      - .offset:         48
        .size:           8
        .value_kind:     by_value
      - .address_space:  global
        .offset:         56
        .size:           8
        .value_kind:     global_buffer
      - .offset:         64
        .size:           8
        .value_kind:     by_value
      - .offset:         72
        .size:           4
        .value_kind:     by_value
      - .offset:         80
        .size:           8
        .value_kind:     by_value
      - .offset:         88
        .size:           8
        .value_kind:     by_value
      - .offset:         96
        .size:           8
        .value_kind:     by_value
      - .address_space:  global
        .offset:         104
        .size:           8
        .value_kind:     global_buffer
      - .offset:         112
        .size:           4
        .value_kind:     by_value
      - .offset:         120
        .size:           4
        .value_kind:     hidden_block_count_x
      - .offset:         124
        .size:           4
        .value_kind:     hidden_block_count_y
      - .offset:         128
        .size:           4
        .value_kind:     hidden_block_count_z
      - .offset:         132
        .size:           2
        .value_kind:     hidden_group_size_x
      - .offset:         134
        .size:           2
        .value_kind:     hidden_group_size_y
      - .offset:         136
        .size:           2
        .value_kind:     hidden_group_size_z
      - .offset:         138
        .size:           2
        .value_kind:     hidden_remainder_x
      - .offset:         140
        .size:           2
        .value_kind:     hidden_remainder_y
      - .offset:         142
        .size:           2
        .value_kind:     hidden_remainder_z
      - .offset:         160
        .size:           8
        .value_kind:     hidden_global_offset_x
      - .offset:         168
        .size:           8
        .value_kind:     hidden_global_offset_y
      - .offset:         176
        .size:           8
        .value_kind:     hidden_global_offset_z
      - .offset:         184
        .size:           2
        .value_kind:     hidden_grid_dims
    .group_segment_fixed_size: 9600
    .kernarg_segment_align: 8
    .kernarg_segment_size: 376
    .language:       OpenCL C
    .language_version:
      - 2
      - 0
    .max_flat_workgroup_size: 256
    .name:           _ZL26rocblas_hemvn_kernel_lowerILb0ELi64ELi4ELi33ELi32ELi16Ei19rocblas_complex_numIfEPKS1_PS1_EviT6_lT7_lT5_lS6_lS7_lS5_lT8_i
    .private_segment_fixed_size: 0
    .sgpr_count:     50
    .sgpr_spill_count: 0
    .symbol:         _ZL26rocblas_hemvn_kernel_lowerILb0ELi64ELi4ELi33ELi32ELi16Ei19rocblas_complex_numIfEPKS1_PS1_EviT6_lT7_lT5_lS6_lS7_lS5_lT8_i.kd
    .uniform_work_group_size: 1
    .uses_dynamic_stack: false
    .vgpr_count:     119
    .vgpr_spill_count: 0
    .wavefront_size: 64
  - .args:
      - .offset:         0
        .size:           4
        .value_kind:     by_value
      - .address_space:  global
        .offset:         8
        .size:           8
        .value_kind:     global_buffer
      - .offset:         16
        .size:           8
        .value_kind:     by_value
      - .address_space:  global
        .offset:         24
        .size:           8
        .value_kind:     global_buffer
      - .offset:         32
        .size:           8
        .value_kind:     by_value
      - .offset:         40
        .size:           8
        .value_kind:     by_value
      - .offset:         48
        .size:           8
        .value_kind:     by_value
      - .address_space:  global
        .offset:         56
        .size:           8
        .value_kind:     global_buffer
      - .offset:         64
        .size:           8
        .value_kind:     by_value
      - .offset:         72
        .size:           8
        .value_kind:     by_value
      - .offset:         80
        .size:           8
        .value_kind:     by_value
      - .address_space:  global
        .offset:         88
        .size:           8
        .value_kind:     global_buffer
      - .offset:         96
        .size:           8
        .value_kind:     by_value
      - .address_space:  global
        .offset:         104
        .size:           8
        .value_kind:     global_buffer
      - .offset:         112
        .size:           4
        .value_kind:     by_value
      - .offset:         120
        .size:           4
        .value_kind:     hidden_block_count_x
      - .offset:         124
        .size:           4
        .value_kind:     hidden_block_count_y
      - .offset:         128
        .size:           4
        .value_kind:     hidden_block_count_z
      - .offset:         132
        .size:           2
        .value_kind:     hidden_group_size_x
      - .offset:         134
        .size:           2
        .value_kind:     hidden_group_size_y
      - .offset:         136
        .size:           2
        .value_kind:     hidden_group_size_z
      - .offset:         138
        .size:           2
        .value_kind:     hidden_remainder_x
      - .offset:         140
        .size:           2
        .value_kind:     hidden_remainder_y
      - .offset:         142
        .size:           2
        .value_kind:     hidden_remainder_z
      - .offset:         160
        .size:           8
        .value_kind:     hidden_global_offset_x
      - .offset:         168
        .size:           8
        .value_kind:     hidden_global_offset_y
      - .offset:         176
        .size:           8
        .value_kind:     hidden_global_offset_z
      - .offset:         184
        .size:           2
        .value_kind:     hidden_grid_dims
    .group_segment_fixed_size: 19200
    .kernarg_segment_align: 8
    .kernarg_segment_size: 376
    .language:       OpenCL C
    .language_version:
      - 2
      - 0
    .max_flat_workgroup_size: 256
    .name:           _ZL26rocblas_hemvn_kernel_upperILb0ELi64ELi4ELi33ELi32ELi16ElPK19rocblas_complex_numIdES3_PS1_EviT6_lT7_lT5_lS6_lS7_lS5_lT8_i
    .private_segment_fixed_size: 0
    .sgpr_count:     46
    .sgpr_spill_count: 0
    .symbol:         _ZL26rocblas_hemvn_kernel_upperILb0ELi64ELi4ELi33ELi32ELi16ElPK19rocblas_complex_numIdES3_PS1_EviT6_lT7_lT5_lS6_lS7_lS5_lT8_i.kd
    .uniform_work_group_size: 1
    .uses_dynamic_stack: false
    .vgpr_count:     256
    .vgpr_spill_count: 0
    .wavefront_size: 64
  - .args:
      - .offset:         0
        .size:           4
        .value_kind:     by_value
      - .address_space:  global
        .offset:         8
        .size:           8
        .value_kind:     global_buffer
      - .offset:         16
        .size:           8
        .value_kind:     by_value
      - .address_space:  global
        .offset:         24
        .size:           8
        .value_kind:     global_buffer
      - .offset:         32
        .size:           8
        .value_kind:     by_value
      - .offset:         40
        .size:           4
        .value_kind:     by_value
      - .offset:         48
        .size:           8
        .value_kind:     by_value
      - .address_space:  global
        .offset:         56
        .size:           8
        .value_kind:     global_buffer
      - .offset:         64
        .size:           8
        .value_kind:     by_value
      - .offset:         72
        .size:           4
        .value_kind:     by_value
      - .offset:         80
        .size:           8
        .value_kind:     by_value
      - .address_space:  global
        .offset:         88
        .size:           8
        .value_kind:     global_buffer
      - .offset:         96
        .size:           8
        .value_kind:     by_value
      - .address_space:  global
        .offset:         104
        .size:           8
        .value_kind:     global_buffer
      - .offset:         112
        .size:           4
        .value_kind:     by_value
      - .offset:         120
        .size:           4
        .value_kind:     hidden_block_count_x
      - .offset:         124
        .size:           4
        .value_kind:     hidden_block_count_y
      - .offset:         128
        .size:           4
        .value_kind:     hidden_block_count_z
      - .offset:         132
        .size:           2
        .value_kind:     hidden_group_size_x
      - .offset:         134
        .size:           2
        .value_kind:     hidden_group_size_y
      - .offset:         136
        .size:           2
        .value_kind:     hidden_group_size_z
      - .offset:         138
        .size:           2
        .value_kind:     hidden_remainder_x
      - .offset:         140
        .size:           2
        .value_kind:     hidden_remainder_y
      - .offset:         142
        .size:           2
        .value_kind:     hidden_remainder_z
      - .offset:         160
        .size:           8
        .value_kind:     hidden_global_offset_x
      - .offset:         168
        .size:           8
        .value_kind:     hidden_global_offset_y
      - .offset:         176
        .size:           8
        .value_kind:     hidden_global_offset_z
      - .offset:         184
        .size:           2
        .value_kind:     hidden_grid_dims
    .group_segment_fixed_size: 19200
    .kernarg_segment_align: 8
    .kernarg_segment_size: 376
    .language:       OpenCL C
    .language_version:
      - 2
      - 0
    .max_flat_workgroup_size: 256
    .name:           _ZL26rocblas_hemvn_kernel_upperILb0ELi64ELi4ELi33ELi32ELi16EiPK19rocblas_complex_numIdES3_PS1_EviT6_lT7_lT5_lS6_lS7_lS5_lT8_i
    .private_segment_fixed_size: 0
    .sgpr_count:     48
    .sgpr_spill_count: 0
    .symbol:         _ZL26rocblas_hemvn_kernel_upperILb0ELi64ELi4ELi33ELi32ELi16EiPK19rocblas_complex_numIdES3_PS1_EviT6_lT7_lT5_lS6_lS7_lS5_lT8_i.kd
    .uniform_work_group_size: 1
    .uses_dynamic_stack: false
    .vgpr_count:     239
    .vgpr_spill_count: 0
    .wavefront_size: 64
  - .args:
      - .offset:         0
        .size:           4
        .value_kind:     by_value
      - .offset:         8
        .size:           16
        .value_kind:     by_value
      - .offset:         24
        .size:           8
        .value_kind:     by_value
      - .address_space:  global
        .offset:         32
        .size:           8
        .value_kind:     global_buffer
      - .offset:         40
        .size:           8
        .value_kind:     by_value
      - .offset:         48
        .size:           8
        .value_kind:     by_value
      - .offset:         56
        .size:           8
        .value_kind:     by_value
      - .address_space:  global
        .offset:         64
        .size:           8
        .value_kind:     global_buffer
      - .offset:         72
        .size:           8
        .value_kind:     by_value
      - .offset:         80
        .size:           8
        .value_kind:     by_value
      - .offset:         88
        .size:           8
        .value_kind:     by_value
      - .offset:         96
        .size:           16
        .value_kind:     by_value
      - .offset:         112
        .size:           8
        .value_kind:     by_value
      - .address_space:  global
        .offset:         120
        .size:           8
        .value_kind:     global_buffer
      - .offset:         128
        .size:           4
        .value_kind:     by_value
      - .offset:         136
        .size:           4
        .value_kind:     hidden_block_count_x
      - .offset:         140
        .size:           4
        .value_kind:     hidden_block_count_y
      - .offset:         144
        .size:           4
        .value_kind:     hidden_block_count_z
      - .offset:         148
        .size:           2
        .value_kind:     hidden_group_size_x
      - .offset:         150
        .size:           2
        .value_kind:     hidden_group_size_y
      - .offset:         152
        .size:           2
        .value_kind:     hidden_group_size_z
      - .offset:         154
        .size:           2
        .value_kind:     hidden_remainder_x
      - .offset:         156
        .size:           2
        .value_kind:     hidden_remainder_y
      - .offset:         158
        .size:           2
        .value_kind:     hidden_remainder_z
      - .offset:         176
        .size:           8
        .value_kind:     hidden_global_offset_x
      - .offset:         184
        .size:           8
        .value_kind:     hidden_global_offset_y
      - .offset:         192
        .size:           8
        .value_kind:     hidden_global_offset_z
      - .offset:         200
        .size:           2
        .value_kind:     hidden_grid_dims
    .group_segment_fixed_size: 19200
    .kernarg_segment_align: 8
    .kernarg_segment_size: 392
    .language:       OpenCL C
    .language_version:
      - 2
      - 0
    .max_flat_workgroup_size: 256
    .name:           _ZL26rocblas_hemvn_kernel_upperILb0ELi64ELi4ELi33ELi32ELi16El19rocblas_complex_numIdEPKS1_PS1_EviT6_lT7_lT5_lS6_lS7_lS5_lT8_i
    .private_segment_fixed_size: 0
    .sgpr_count:     46
    .sgpr_spill_count: 0
    .symbol:         _ZL26rocblas_hemvn_kernel_upperILb0ELi64ELi4ELi33ELi32ELi16El19rocblas_complex_numIdEPKS1_PS1_EviT6_lT7_lT5_lS6_lS7_lS5_lT8_i.kd
    .uniform_work_group_size: 1
    .uses_dynamic_stack: false
    .vgpr_count:     256
    .vgpr_spill_count: 0
    .wavefront_size: 64
  - .args:
      - .offset:         0
        .size:           4
        .value_kind:     by_value
      - .offset:         8
        .size:           16
        .value_kind:     by_value
      - .offset:         24
        .size:           8
        .value_kind:     by_value
      - .address_space:  global
        .offset:         32
        .size:           8
        .value_kind:     global_buffer
      - .offset:         40
        .size:           8
        .value_kind:     by_value
      - .offset:         48
        .size:           4
        .value_kind:     by_value
      - .offset:         56
        .size:           8
        .value_kind:     by_value
      - .address_space:  global
        .offset:         64
        .size:           8
        .value_kind:     global_buffer
      - .offset:         72
        .size:           8
        .value_kind:     by_value
      - .offset:         80
        .size:           4
        .value_kind:     by_value
      - .offset:         88
        .size:           8
        .value_kind:     by_value
      - .offset:         96
        .size:           16
        .value_kind:     by_value
      - .offset:         112
        .size:           8
        .value_kind:     by_value
      - .address_space:  global
        .offset:         120
        .size:           8
        .value_kind:     global_buffer
      - .offset:         128
        .size:           4
        .value_kind:     by_value
      - .offset:         136
        .size:           4
        .value_kind:     hidden_block_count_x
      - .offset:         140
        .size:           4
        .value_kind:     hidden_block_count_y
      - .offset:         144
        .size:           4
        .value_kind:     hidden_block_count_z
      - .offset:         148
        .size:           2
        .value_kind:     hidden_group_size_x
      - .offset:         150
        .size:           2
        .value_kind:     hidden_group_size_y
      - .offset:         152
        .size:           2
        .value_kind:     hidden_group_size_z
      - .offset:         154
        .size:           2
        .value_kind:     hidden_remainder_x
      - .offset:         156
        .size:           2
        .value_kind:     hidden_remainder_y
      - .offset:         158
        .size:           2
        .value_kind:     hidden_remainder_z
      - .offset:         176
        .size:           8
        .value_kind:     hidden_global_offset_x
      - .offset:         184
        .size:           8
        .value_kind:     hidden_global_offset_y
      - .offset:         192
        .size:           8
        .value_kind:     hidden_global_offset_z
      - .offset:         200
        .size:           2
        .value_kind:     hidden_grid_dims
    .group_segment_fixed_size: 19200
    .kernarg_segment_align: 8
    .kernarg_segment_size: 392
    .language:       OpenCL C
    .language_version:
      - 2
      - 0
    .max_flat_workgroup_size: 256
    .name:           _ZL26rocblas_hemvn_kernel_upperILb0ELi64ELi4ELi33ELi32ELi16Ei19rocblas_complex_numIdEPKS1_PS1_EviT6_lT7_lT5_lS6_lS7_lS5_lT8_i
    .private_segment_fixed_size: 0
    .sgpr_count:     48
    .sgpr_spill_count: 0
    .symbol:         _ZL26rocblas_hemvn_kernel_upperILb0ELi64ELi4ELi33ELi32ELi16Ei19rocblas_complex_numIdEPKS1_PS1_EviT6_lT7_lT5_lS6_lS7_lS5_lT8_i.kd
    .uniform_work_group_size: 1
    .uses_dynamic_stack: false
    .vgpr_count:     239
    .vgpr_spill_count: 0
    .wavefront_size: 64
  - .args:
      - .offset:         0
        .size:           4
        .value_kind:     by_value
      - .address_space:  global
        .offset:         8
        .size:           8
        .value_kind:     global_buffer
      - .offset:         16
        .size:           8
        .value_kind:     by_value
      - .address_space:  global
        .offset:         24
        .size:           8
        .value_kind:     global_buffer
      - .offset:         32
        .size:           8
        .value_kind:     by_value
      - .offset:         40
        .size:           8
        .value_kind:     by_value
      - .offset:         48
        .size:           8
        .value_kind:     by_value
      - .address_space:  global
        .offset:         56
        .size:           8
        .value_kind:     global_buffer
      - .offset:         64
        .size:           8
        .value_kind:     by_value
      - .offset:         72
        .size:           8
        .value_kind:     by_value
      - .offset:         80
        .size:           8
        .value_kind:     by_value
      - .address_space:  global
        .offset:         88
        .size:           8
        .value_kind:     global_buffer
      - .offset:         96
        .size:           8
        .value_kind:     by_value
      - .address_space:  global
        .offset:         104
        .size:           8
        .value_kind:     global_buffer
      - .offset:         112
        .size:           4
        .value_kind:     by_value
      - .offset:         120
        .size:           4
        .value_kind:     hidden_block_count_x
      - .offset:         124
        .size:           4
        .value_kind:     hidden_block_count_y
      - .offset:         128
        .size:           4
        .value_kind:     hidden_block_count_z
      - .offset:         132
        .size:           2
        .value_kind:     hidden_group_size_x
      - .offset:         134
        .size:           2
        .value_kind:     hidden_group_size_y
      - .offset:         136
        .size:           2
        .value_kind:     hidden_group_size_z
      - .offset:         138
        .size:           2
        .value_kind:     hidden_remainder_x
      - .offset:         140
        .size:           2
        .value_kind:     hidden_remainder_y
      - .offset:         142
        .size:           2
        .value_kind:     hidden_remainder_z
      - .offset:         160
        .size:           8
        .value_kind:     hidden_global_offset_x
      - .offset:         168
        .size:           8
        .value_kind:     hidden_global_offset_y
      - .offset:         176
        .size:           8
        .value_kind:     hidden_global_offset_z
      - .offset:         184
        .size:           2
        .value_kind:     hidden_grid_dims
    .group_segment_fixed_size: 19200
    .kernarg_segment_align: 8
    .kernarg_segment_size: 376
    .language:       OpenCL C
    .language_version:
      - 2
      - 0
    .max_flat_workgroup_size: 256
    .name:           _ZL26rocblas_hemvn_kernel_lowerILb0ELi64ELi4ELi33ELi32ELi16ElPK19rocblas_complex_numIdES3_PS1_EviT6_lT7_lT5_lS6_lS7_lS5_lT8_i
    .private_segment_fixed_size: 0
    .sgpr_count:     48
    .sgpr_spill_count: 0
    .symbol:         _ZL26rocblas_hemvn_kernel_lowerILb0ELi64ELi4ELi33ELi32ELi16ElPK19rocblas_complex_numIdES3_PS1_EviT6_lT7_lT5_lS6_lS7_lS5_lT8_i.kd
    .uniform_work_group_size: 1
    .uses_dynamic_stack: false
    .vgpr_count:     215
    .vgpr_spill_count: 0
    .wavefront_size: 64
  - .args:
      - .offset:         0
        .size:           4
        .value_kind:     by_value
      - .address_space:  global
        .offset:         8
        .size:           8
        .value_kind:     global_buffer
      - .offset:         16
        .size:           8
        .value_kind:     by_value
      - .address_space:  global
        .offset:         24
        .size:           8
        .value_kind:     global_buffer
      - .offset:         32
        .size:           8
        .value_kind:     by_value
      - .offset:         40
        .size:           4
        .value_kind:     by_value
      - .offset:         48
        .size:           8
        .value_kind:     by_value
      - .address_space:  global
        .offset:         56
        .size:           8
        .value_kind:     global_buffer
      - .offset:         64
        .size:           8
        .value_kind:     by_value
      - .offset:         72
        .size:           4
        .value_kind:     by_value
      - .offset:         80
        .size:           8
        .value_kind:     by_value
      - .address_space:  global
        .offset:         88
        .size:           8
        .value_kind:     global_buffer
      - .offset:         96
        .size:           8
        .value_kind:     by_value
      - .address_space:  global
        .offset:         104
        .size:           8
        .value_kind:     global_buffer
      - .offset:         112
        .size:           4
        .value_kind:     by_value
      - .offset:         120
        .size:           4
        .value_kind:     hidden_block_count_x
      - .offset:         124
        .size:           4
        .value_kind:     hidden_block_count_y
      - .offset:         128
        .size:           4
        .value_kind:     hidden_block_count_z
      - .offset:         132
        .size:           2
        .value_kind:     hidden_group_size_x
      - .offset:         134
        .size:           2
        .value_kind:     hidden_group_size_y
      - .offset:         136
        .size:           2
        .value_kind:     hidden_group_size_z
      - .offset:         138
        .size:           2
        .value_kind:     hidden_remainder_x
      - .offset:         140
        .size:           2
        .value_kind:     hidden_remainder_y
      - .offset:         142
        .size:           2
        .value_kind:     hidden_remainder_z
      - .offset:         160
        .size:           8
        .value_kind:     hidden_global_offset_x
      - .offset:         168
        .size:           8
        .value_kind:     hidden_global_offset_y
      - .offset:         176
        .size:           8
        .value_kind:     hidden_global_offset_z
      - .offset:         184
        .size:           2
        .value_kind:     hidden_grid_dims
    .group_segment_fixed_size: 19200
    .kernarg_segment_align: 8
    .kernarg_segment_size: 376
    .language:       OpenCL C
    .language_version:
      - 2
      - 0
    .max_flat_workgroup_size: 256
    .name:           _ZL26rocblas_hemvn_kernel_lowerILb0ELi64ELi4ELi33ELi32ELi16EiPK19rocblas_complex_numIdES3_PS1_EviT6_lT7_lT5_lS6_lS7_lS5_lT8_i
    .private_segment_fixed_size: 0
    .sgpr_count:     50
    .sgpr_spill_count: 0
    .symbol:         _ZL26rocblas_hemvn_kernel_lowerILb0ELi64ELi4ELi33ELi32ELi16EiPK19rocblas_complex_numIdES3_PS1_EviT6_lT7_lT5_lS6_lS7_lS5_lT8_i.kd
    .uniform_work_group_size: 1
    .uses_dynamic_stack: false
    .vgpr_count:     213
    .vgpr_spill_count: 0
    .wavefront_size: 64
  - .args:
      - .offset:         0
        .size:           4
        .value_kind:     by_value
      - .offset:         8
        .size:           16
        .value_kind:     by_value
      - .offset:         24
        .size:           8
        .value_kind:     by_value
      - .address_space:  global
        .offset:         32
        .size:           8
        .value_kind:     global_buffer
      - .offset:         40
        .size:           8
        .value_kind:     by_value
      - .offset:         48
        .size:           8
        .value_kind:     by_value
      - .offset:         56
        .size:           8
        .value_kind:     by_value
      - .address_space:  global
        .offset:         64
        .size:           8
        .value_kind:     global_buffer
      - .offset:         72
        .size:           8
        .value_kind:     by_value
      - .offset:         80
        .size:           8
        .value_kind:     by_value
      - .offset:         88
        .size:           8
        .value_kind:     by_value
      - .offset:         96
        .size:           16
        .value_kind:     by_value
      - .offset:         112
        .size:           8
        .value_kind:     by_value
      - .address_space:  global
        .offset:         120
        .size:           8
        .value_kind:     global_buffer
      - .offset:         128
        .size:           4
        .value_kind:     by_value
      - .offset:         136
        .size:           4
        .value_kind:     hidden_block_count_x
      - .offset:         140
        .size:           4
        .value_kind:     hidden_block_count_y
      - .offset:         144
        .size:           4
        .value_kind:     hidden_block_count_z
      - .offset:         148
        .size:           2
        .value_kind:     hidden_group_size_x
      - .offset:         150
        .size:           2
        .value_kind:     hidden_group_size_y
      - .offset:         152
        .size:           2
        .value_kind:     hidden_group_size_z
      - .offset:         154
        .size:           2
        .value_kind:     hidden_remainder_x
      - .offset:         156
        .size:           2
        .value_kind:     hidden_remainder_y
      - .offset:         158
        .size:           2
        .value_kind:     hidden_remainder_z
      - .offset:         176
        .size:           8
        .value_kind:     hidden_global_offset_x
      - .offset:         184
        .size:           8
        .value_kind:     hidden_global_offset_y
      - .offset:         192
        .size:           8
        .value_kind:     hidden_global_offset_z
      - .offset:         200
        .size:           2
        .value_kind:     hidden_grid_dims
    .group_segment_fixed_size: 19200
    .kernarg_segment_align: 8
    .kernarg_segment_size: 392
    .language:       OpenCL C
    .language_version:
      - 2
      - 0
    .max_flat_workgroup_size: 256
    .name:           _ZL26rocblas_hemvn_kernel_lowerILb0ELi64ELi4ELi33ELi32ELi16El19rocblas_complex_numIdEPKS1_PS1_EviT6_lT7_lT5_lS6_lS7_lS5_lT8_i
    .private_segment_fixed_size: 0
    .sgpr_count:     57
    .sgpr_spill_count: 0
    .symbol:         _ZL26rocblas_hemvn_kernel_lowerILb0ELi64ELi4ELi33ELi32ELi16El19rocblas_complex_numIdEPKS1_PS1_EviT6_lT7_lT5_lS6_lS7_lS5_lT8_i.kd
    .uniform_work_group_size: 1
    .uses_dynamic_stack: false
    .vgpr_count:     215
    .vgpr_spill_count: 0
    .wavefront_size: 64
  - .args:
      - .offset:         0
        .size:           4
        .value_kind:     by_value
      - .offset:         8
        .size:           16
        .value_kind:     by_value
      - .offset:         24
        .size:           8
        .value_kind:     by_value
      - .address_space:  global
        .offset:         32
        .size:           8
        .value_kind:     global_buffer
      - .offset:         40
        .size:           8
        .value_kind:     by_value
      - .offset:         48
        .size:           4
        .value_kind:     by_value
      - .offset:         56
        .size:           8
        .value_kind:     by_value
      - .address_space:  global
        .offset:         64
        .size:           8
        .value_kind:     global_buffer
      - .offset:         72
        .size:           8
        .value_kind:     by_value
      - .offset:         80
        .size:           4
        .value_kind:     by_value
      - .offset:         88
        .size:           8
        .value_kind:     by_value
      - .offset:         96
        .size:           16
        .value_kind:     by_value
      - .offset:         112
        .size:           8
        .value_kind:     by_value
      - .address_space:  global
        .offset:         120
        .size:           8
        .value_kind:     global_buffer
      - .offset:         128
        .size:           4
        .value_kind:     by_value
      - .offset:         136
        .size:           4
        .value_kind:     hidden_block_count_x
      - .offset:         140
        .size:           4
        .value_kind:     hidden_block_count_y
      - .offset:         144
        .size:           4
        .value_kind:     hidden_block_count_z
      - .offset:         148
        .size:           2
        .value_kind:     hidden_group_size_x
      - .offset:         150
        .size:           2
        .value_kind:     hidden_group_size_y
      - .offset:         152
        .size:           2
        .value_kind:     hidden_group_size_z
      - .offset:         154
        .size:           2
        .value_kind:     hidden_remainder_x
      - .offset:         156
        .size:           2
        .value_kind:     hidden_remainder_y
      - .offset:         158
        .size:           2
        .value_kind:     hidden_remainder_z
      - .offset:         176
        .size:           8
        .value_kind:     hidden_global_offset_x
      - .offset:         184
        .size:           8
        .value_kind:     hidden_global_offset_y
      - .offset:         192
        .size:           8
        .value_kind:     hidden_global_offset_z
      - .offset:         200
        .size:           2
        .value_kind:     hidden_grid_dims
    .group_segment_fixed_size: 19200
    .kernarg_segment_align: 8
    .kernarg_segment_size: 392
    .language:       OpenCL C
    .language_version:
      - 2
      - 0
    .max_flat_workgroup_size: 256
    .name:           _ZL26rocblas_hemvn_kernel_lowerILb0ELi64ELi4ELi33ELi32ELi16Ei19rocblas_complex_numIdEPKS1_PS1_EviT6_lT7_lT5_lS6_lS7_lS5_lT8_i
    .private_segment_fixed_size: 0
    .sgpr_count:     50
    .sgpr_spill_count: 0
    .symbol:         _ZL26rocblas_hemvn_kernel_lowerILb0ELi64ELi4ELi33ELi32ELi16Ei19rocblas_complex_numIdEPKS1_PS1_EviT6_lT7_lT5_lS6_lS7_lS5_lT8_i.kd
    .uniform_work_group_size: 1
    .uses_dynamic_stack: false
    .vgpr_count:     213
    .vgpr_spill_count: 0
    .wavefront_size: 64
  - .args:
      - .offset:         0
        .size:           1
        .value_kind:     by_value
      - .offset:         4
        .size:           4
        .value_kind:     by_value
      - .offset:         8
        .size:           8
        .value_kind:     by_value
      - .offset:         16
        .size:           8
        .value_kind:     by_value
      - .address_space:  global
        .offset:         24
        .size:           8
        .value_kind:     global_buffer
      - .offset:         32
        .size:           8
        .value_kind:     by_value
      - .offset:         40
        .size:           8
        .value_kind:     by_value
      - .offset:         48
        .size:           8
        .value_kind:     by_value
      - .address_space:  global
        .offset:         56
        .size:           8
        .value_kind:     global_buffer
      - .offset:         64
        .size:           8
        .value_kind:     by_value
      - .offset:         72
        .size:           8
        .value_kind:     by_value
      - .offset:         80
        .size:           8
        .value_kind:     by_value
      - .offset:         88
        .size:           8
        .value_kind:     by_value
      - .offset:         96
        .size:           8
        .value_kind:     by_value
      - .actual_access:  read_only
        .address_space:  global
        .offset:         104
        .size:           8
        .value_kind:     global_buffer
      - .offset:         112
        .size:           8
        .value_kind:     by_value
      - .offset:         120
        .size:           8
        .value_kind:     by_value
      - .offset:         128
        .size:           8
        .value_kind:     by_value
      - .offset:         136
        .size:           4
        .value_kind:     by_value
    .group_segment_fixed_size: 5248
    .kernarg_segment_align: 8
    .kernarg_segment_size: 140
    .language:       OpenCL C
    .language_version:
      - 2
      - 0
    .max_flat_workgroup_size: 128
    .name:           _ZL50rocblas_symv_kernel_upper_double_buffered_diagonalILi32ELi4E24rocblas_internal_val_ptrIfEPKPKfPKPfEvbiT1_lT2_lllSA_lllS9_lT3_llli
    .private_segment_fixed_size: 0
    .sgpr_count:     33
    .sgpr_spill_count: 0
    .symbol:         _ZL50rocblas_symv_kernel_upper_double_buffered_diagonalILi32ELi4E24rocblas_internal_val_ptrIfEPKPKfPKPfEvbiT1_lT2_lllSA_lllS9_lT3_llli.kd
    .uniform_work_group_size: 1
    .uses_dynamic_stack: false
    .vgpr_count:     18
    .vgpr_spill_count: 0
    .wavefront_size: 64
  - .args:
      - .offset:         0
        .size:           1
        .value_kind:     by_value
      - .offset:         4
        .size:           4
        .value_kind:     by_value
      - .offset:         8
        .size:           8
        .value_kind:     by_value
      - .offset:         16
        .size:           8
        .value_kind:     by_value
      - .address_space:  global
        .offset:         24
        .size:           8
        .value_kind:     global_buffer
      - .offset:         32
        .size:           8
        .value_kind:     by_value
      - .offset:         40
        .size:           8
        .value_kind:     by_value
      - .offset:         48
        .size:           8
        .value_kind:     by_value
      - .address_space:  global
        .offset:         56
        .size:           8
        .value_kind:     global_buffer
      - .offset:         64
        .size:           8
        .value_kind:     by_value
      - .offset:         72
        .size:           8
        .value_kind:     by_value
      - .offset:         80
        .size:           8
        .value_kind:     by_value
      - .actual_access:  read_only
        .address_space:  global
        .offset:         88
        .size:           8
        .value_kind:     global_buffer
      - .offset:         96
        .size:           8
        .value_kind:     by_value
      - .offset:         104
        .size:           8
        .value_kind:     by_value
      - .offset:         112
        .size:           8
        .value_kind:     by_value
      - .offset:         120
        .size:           4
        .value_kind:     by_value
      - .offset:         128
        .size:           4
        .value_kind:     hidden_block_count_x
      - .offset:         132
        .size:           4
        .value_kind:     hidden_block_count_y
      - .offset:         136
        .size:           4
        .value_kind:     hidden_block_count_z
      - .offset:         140
        .size:           2
        .value_kind:     hidden_group_size_x
      - .offset:         142
        .size:           2
        .value_kind:     hidden_group_size_y
      - .offset:         144
        .size:           2
        .value_kind:     hidden_group_size_z
      - .offset:         146
        .size:           2
        .value_kind:     hidden_remainder_x
      - .offset:         148
        .size:           2
        .value_kind:     hidden_remainder_y
      - .offset:         150
        .size:           2
        .value_kind:     hidden_remainder_z
      - .offset:         168
        .size:           8
        .value_kind:     hidden_global_offset_x
      - .offset:         176
        .size:           8
        .value_kind:     hidden_global_offset_y
      - .offset:         184
        .size:           8
        .value_kind:     hidden_global_offset_z
      - .offset:         192
        .size:           2
        .value_kind:     hidden_grid_dims
    .group_segment_fixed_size: 3200
    .kernarg_segment_align: 8
    .kernarg_segment_size: 384
    .language:       OpenCL C
    .language_version:
      - 2
      - 0
    .max_flat_workgroup_size: 128
    .name:           _ZL54rocblas_symv_kernel_upper_double_buffered_non_diagonalILi32ELi4ELi4E24rocblas_internal_val_ptrIfEPKPKfPKPfEvbiT2_lT3_lllSA_lllT4_llli
    .private_segment_fixed_size: 0
    .sgpr_count:     34
    .sgpr_spill_count: 0
    .symbol:         _ZL54rocblas_symv_kernel_upper_double_buffered_non_diagonalILi32ELi4ELi4E24rocblas_internal_val_ptrIfEPKPKfPKPfEvbiT2_lT3_lllSA_lllT4_llli.kd
    .uniform_work_group_size: 1
    .uses_dynamic_stack: false
    .vgpr_count:     46
    .vgpr_spill_count: 0
    .wavefront_size: 64
  - .args:
      - .offset:         0
        .size:           1
        .value_kind:     by_value
      - .offset:         4
        .size:           4
        .value_kind:     by_value
      - .offset:         8
        .size:           8
        .value_kind:     by_value
      - .offset:         16
        .size:           8
        .value_kind:     by_value
      - .address_space:  global
        .offset:         24
        .size:           8
        .value_kind:     global_buffer
      - .offset:         32
        .size:           8
        .value_kind:     by_value
      - .offset:         40
        .size:           8
        .value_kind:     by_value
      - .offset:         48
        .size:           8
        .value_kind:     by_value
      - .address_space:  global
        .offset:         56
        .size:           8
        .value_kind:     global_buffer
      - .offset:         64
        .size:           8
        .value_kind:     by_value
      - .offset:         72
        .size:           8
        .value_kind:     by_value
      - .offset:         80
        .size:           8
        .value_kind:     by_value
      - .offset:         88
        .size:           8
        .value_kind:     by_value
      - .offset:         96
        .size:           8
        .value_kind:     by_value
      - .actual_access:  read_only
        .address_space:  global
        .offset:         104
        .size:           8
        .value_kind:     global_buffer
      - .offset:         112
        .size:           8
        .value_kind:     by_value
      - .offset:         120
        .size:           8
        .value_kind:     by_value
      - .offset:         128
        .size:           8
        .value_kind:     by_value
      - .offset:         136
        .size:           4
        .value_kind:     by_value
      - .offset:         140
        .size:           4
        .value_kind:     by_value
      - .offset:         144
        .size:           4
        .value_kind:     hidden_block_count_x
      - .offset:         148
        .size:           4
        .value_kind:     hidden_block_count_y
      - .offset:         152
        .size:           4
        .value_kind:     hidden_block_count_z
      - .offset:         156
        .size:           2
        .value_kind:     hidden_group_size_x
      - .offset:         158
        .size:           2
        .value_kind:     hidden_group_size_y
      - .offset:         160
        .size:           2
        .value_kind:     hidden_group_size_z
      - .offset:         162
        .size:           2
        .value_kind:     hidden_remainder_x
      - .offset:         164
        .size:           2
        .value_kind:     hidden_remainder_y
      - .offset:         166
        .size:           2
        .value_kind:     hidden_remainder_z
      - .offset:         184
        .size:           8
        .value_kind:     hidden_global_offset_x
      - .offset:         192
        .size:           8
        .value_kind:     hidden_global_offset_y
      - .offset:         200
        .size:           8
        .value_kind:     hidden_global_offset_z
      - .offset:         208
        .size:           2
        .value_kind:     hidden_grid_dims
    .group_segment_fixed_size: 6272
    .kernarg_segment_align: 8
    .kernarg_segment_size: 400
    .language:       OpenCL C
    .language_version:
      - 2
      - 0
    .max_flat_workgroup_size: 256
    .name:           _ZL58rocblas_symv_kernel_upper_double_buffered_diagonal_genericILi32ELi8E24rocblas_internal_val_ptrIfEPKPKfPKPfEvbiT1_lT2_lllSA_lllS9_lT3_lllii
    .private_segment_fixed_size: 0
    .sgpr_count:     36
    .sgpr_spill_count: 0
    .symbol:         _ZL58rocblas_symv_kernel_upper_double_buffered_diagonal_genericILi32ELi8E24rocblas_internal_val_ptrIfEPKPKfPKPfEvbiT1_lT2_lllSA_lllS9_lT3_lllii.kd
    .uniform_work_group_size: 1
    .uses_dynamic_stack: false
    .vgpr_count:     20
    .vgpr_spill_count: 0
    .wavefront_size: 64
  - .args:
      - .offset:         0
        .size:           1
        .value_kind:     by_value
      - .offset:         4
        .size:           4
        .value_kind:     by_value
      - .offset:         8
        .size:           8
        .value_kind:     by_value
      - .offset:         16
        .size:           8
        .value_kind:     by_value
      - .address_space:  global
        .offset:         24
        .size:           8
        .value_kind:     global_buffer
      - .offset:         32
        .size:           8
        .value_kind:     by_value
      - .offset:         40
        .size:           8
        .value_kind:     by_value
      - .offset:         48
        .size:           8
        .value_kind:     by_value
      - .address_space:  global
        .offset:         56
        .size:           8
        .value_kind:     global_buffer
      - .offset:         64
        .size:           8
        .value_kind:     by_value
      - .offset:         72
        .size:           8
        .value_kind:     by_value
      - .offset:         80
        .size:           8
        .value_kind:     by_value
      - .actual_access:  read_only
        .address_space:  global
        .offset:         88
        .size:           8
        .value_kind:     global_buffer
      - .offset:         96
        .size:           8
        .value_kind:     by_value
      - .offset:         104
        .size:           8
        .value_kind:     by_value
      - .offset:         112
        .size:           8
        .value_kind:     by_value
      - .offset:         120
        .size:           4
        .value_kind:     by_value
      - .offset:         124
        .size:           4
        .value_kind:     by_value
      - .offset:         128
        .size:           4
        .value_kind:     hidden_block_count_x
      - .offset:         132
        .size:           4
        .value_kind:     hidden_block_count_y
      - .offset:         136
        .size:           4
        .value_kind:     hidden_block_count_z
      - .offset:         140
        .size:           2
        .value_kind:     hidden_group_size_x
      - .offset:         142
        .size:           2
        .value_kind:     hidden_group_size_y
      - .offset:         144
        .size:           2
        .value_kind:     hidden_group_size_z
      - .offset:         146
        .size:           2
        .value_kind:     hidden_remainder_x
      - .offset:         148
        .size:           2
        .value_kind:     hidden_remainder_y
      - .offset:         150
        .size:           2
        .value_kind:     hidden_remainder_z
      - .offset:         168
        .size:           8
        .value_kind:     hidden_global_offset_x
      - .offset:         176
        .size:           8
        .value_kind:     hidden_global_offset_y
      - .offset:         184
        .size:           8
        .value_kind:     hidden_global_offset_z
      - .offset:         192
        .size:           2
        .value_kind:     hidden_grid_dims
    .group_segment_fixed_size: 4224
    .kernarg_segment_align: 8
    .kernarg_segment_size: 384
    .language:       OpenCL C
    .language_version:
      - 2
      - 0
    .max_flat_workgroup_size: 256
    .name:           _ZL62rocblas_symv_kernel_upper_double_buffered_non_diagonal_genericILi32ELi8ELi2ELi0E24rocblas_internal_val_ptrIfEPKPKfPKPfEvbiT3_lT4_lllSA_lllT5_lllii
    .private_segment_fixed_size: 0
    .sgpr_count:     40
    .sgpr_spill_count: 0
    .symbol:         _ZL62rocblas_symv_kernel_upper_double_buffered_non_diagonal_genericILi32ELi8ELi2ELi0E24rocblas_internal_val_ptrIfEPKPKfPKPfEvbiT3_lT4_lllSA_lllT5_lllii.kd
    .uniform_work_group_size: 1
    .uses_dynamic_stack: false
    .vgpr_count:     38
    .vgpr_spill_count: 0
    .wavefront_size: 64
  - .args:
      - .offset:         0
        .size:           1
        .value_kind:     by_value
      - .offset:         4
        .size:           4
        .value_kind:     by_value
      - .offset:         8
        .size:           8
        .value_kind:     by_value
      - .offset:         16
        .size:           8
        .value_kind:     by_value
      - .address_space:  global
        .offset:         24
        .size:           8
        .value_kind:     global_buffer
      - .offset:         32
        .size:           8
        .value_kind:     by_value
      - .offset:         40
        .size:           8
        .value_kind:     by_value
      - .offset:         48
        .size:           8
        .value_kind:     by_value
      - .address_space:  global
        .offset:         56
        .size:           8
        .value_kind:     global_buffer
      - .offset:         64
        .size:           8
        .value_kind:     by_value
      - .offset:         72
        .size:           8
        .value_kind:     by_value
      - .offset:         80
        .size:           8
        .value_kind:     by_value
      - .actual_access:  read_only
        .address_space:  global
        .offset:         88
        .size:           8
        .value_kind:     global_buffer
      - .offset:         96
        .size:           8
        .value_kind:     by_value
      - .offset:         104
        .size:           8
        .value_kind:     by_value
      - .offset:         112
        .size:           8
        .value_kind:     by_value
      - .offset:         120
        .size:           4
        .value_kind:     by_value
      - .offset:         124
        .size:           4
        .value_kind:     by_value
      - .offset:         128
        .size:           4
        .value_kind:     hidden_block_count_x
      - .offset:         132
        .size:           4
        .value_kind:     hidden_block_count_y
      - .offset:         136
        .size:           4
        .value_kind:     hidden_block_count_z
      - .offset:         140
        .size:           2
        .value_kind:     hidden_group_size_x
      - .offset:         142
        .size:           2
        .value_kind:     hidden_group_size_y
      - .offset:         144
        .size:           2
        .value_kind:     hidden_group_size_z
      - .offset:         146
        .size:           2
        .value_kind:     hidden_remainder_x
      - .offset:         148
        .size:           2
        .value_kind:     hidden_remainder_y
      - .offset:         150
        .size:           2
        .value_kind:     hidden_remainder_z
      - .offset:         168
        .size:           8
        .value_kind:     hidden_global_offset_x
      - .offset:         176
        .size:           8
        .value_kind:     hidden_global_offset_y
      - .offset:         184
        .size:           8
        .value_kind:     hidden_global_offset_z
      - .offset:         192
        .size:           2
        .value_kind:     hidden_grid_dims
    .group_segment_fixed_size: 4224
    .kernarg_segment_align: 8
    .kernarg_segment_size: 384
    .language:       OpenCL C
    .language_version:
      - 2
      - 0
    .max_flat_workgroup_size: 256
    .name:           _ZL62rocblas_symv_kernel_upper_double_buffered_non_diagonal_genericILi32ELi8ELi2ELi1E24rocblas_internal_val_ptrIfEPKPKfPKPfEvbiT3_lT4_lllSA_lllT5_lllii
    .private_segment_fixed_size: 0
    .sgpr_count:     41
    .sgpr_spill_count: 0
    .symbol:         _ZL62rocblas_symv_kernel_upper_double_buffered_non_diagonal_genericILi32ELi8ELi2ELi1E24rocblas_internal_val_ptrIfEPKPKfPKPfEvbiT3_lT4_lllSA_lllT5_lllii.kd
    .uniform_work_group_size: 1
    .uses_dynamic_stack: false
    .vgpr_count:     40
    .vgpr_spill_count: 0
    .wavefront_size: 64
  - .args:
      - .offset:         0
        .size:           4
        .value_kind:     by_value
      - .address_space:  global
        .offset:         8
        .size:           8
        .value_kind:     global_buffer
      - .offset:         16
        .size:           8
        .value_kind:     by_value
      - .address_space:  global
        .offset:         24
        .size:           8
        .value_kind:     global_buffer
      - .offset:         32
        .size:           8
        .value_kind:     by_value
      - .offset:         40
        .size:           8
        .value_kind:     by_value
      - .offset:         48
        .size:           8
        .value_kind:     by_value
      - .address_space:  global
        .offset:         56
        .size:           8
        .value_kind:     global_buffer
      - .offset:         64
        .size:           8
        .value_kind:     by_value
      - .offset:         72
        .size:           8
        .value_kind:     by_value
      - .offset:         80
        .size:           8
        .value_kind:     by_value
      - .address_space:  global
        .offset:         88
        .size:           8
        .value_kind:     global_buffer
      - .offset:         96
        .size:           8
        .value_kind:     by_value
      - .address_space:  global
        .offset:         104
        .size:           8
        .value_kind:     global_buffer
      - .offset:         112
        .size:           4
        .value_kind:     by_value
      - .offset:         120
        .size:           4
        .value_kind:     hidden_block_count_x
      - .offset:         124
        .size:           4
        .value_kind:     hidden_block_count_y
      - .offset:         128
        .size:           4
        .value_kind:     hidden_block_count_z
      - .offset:         132
        .size:           2
        .value_kind:     hidden_group_size_x
      - .offset:         134
        .size:           2
        .value_kind:     hidden_group_size_y
      - .offset:         136
        .size:           2
        .value_kind:     hidden_group_size_z
      - .offset:         138
        .size:           2
        .value_kind:     hidden_remainder_x
      - .offset:         140
        .size:           2
        .value_kind:     hidden_remainder_y
      - .offset:         142
        .size:           2
        .value_kind:     hidden_remainder_z
      - .offset:         160
        .size:           8
        .value_kind:     hidden_global_offset_x
      - .offset:         168
        .size:           8
        .value_kind:     hidden_global_offset_y
      - .offset:         176
        .size:           8
        .value_kind:     hidden_global_offset_z
      - .offset:         184
        .size:           2
        .value_kind:     hidden_grid_dims
    .group_segment_fixed_size: 4800
    .kernarg_segment_align: 8
    .kernarg_segment_size: 376
    .language:       OpenCL C
    .language_version:
      - 2
      - 0
    .max_flat_workgroup_size: 256
    .name:           _ZL26rocblas_hemvn_kernel_upperILb0ELi64ELi4ELi33ELi32ELi16ElPKfPKS1_PfEviT6_lT7_lT5_lS6_lS7_lS5_lT8_i
    .private_segment_fixed_size: 0
    .sgpr_count:     48
    .sgpr_spill_count: 0
    .symbol:         _ZL26rocblas_hemvn_kernel_upperILb0ELi64ELi4ELi33ELi32ELi16ElPKfPKS1_PfEviT6_lT7_lT5_lS6_lS7_lS5_lT8_i.kd
    .uniform_work_group_size: 1
    .uses_dynamic_stack: false
    .vgpr_count:     108
    .vgpr_spill_count: 0
    .wavefront_size: 64
  - .args:
      - .offset:         0
        .size:           4
        .value_kind:     by_value
      - .address_space:  global
        .offset:         8
        .size:           8
        .value_kind:     global_buffer
      - .offset:         16
        .size:           8
        .value_kind:     by_value
      - .address_space:  global
        .offset:         24
        .size:           8
        .value_kind:     global_buffer
      - .offset:         32
        .size:           8
        .value_kind:     by_value
      - .actual_access:  read_only
        .address_space:  global
        .offset:         40
        .size:           8
        .value_kind:     global_buffer
      - .offset:         48
        .size:           8
        .value_kind:     by_value
      - .offset:         56
        .size:           8
        .value_kind:     by_value
      - .offset:         64
        .size:           8
        .value_kind:     by_value
      - .address_space:  global
        .offset:         72
        .size:           8
        .value_kind:     global_buffer
      - .offset:         80
        .size:           4
        .value_kind:     by_value
      - .offset:         88
        .size:           4
        .value_kind:     hidden_block_count_x
      - .offset:         92
        .size:           4
        .value_kind:     hidden_block_count_y
      - .offset:         96
        .size:           4
        .value_kind:     hidden_block_count_z
      - .offset:         100
        .size:           2
        .value_kind:     hidden_group_size_x
      - .offset:         102
        .size:           2
        .value_kind:     hidden_group_size_y
      - .offset:         104
        .size:           2
        .value_kind:     hidden_group_size_z
      - .offset:         106
        .size:           2
        .value_kind:     hidden_remainder_x
      - .offset:         108
        .size:           2
        .value_kind:     hidden_remainder_y
      - .offset:         110
        .size:           2
        .value_kind:     hidden_remainder_z
      - .offset:         128
        .size:           8
        .value_kind:     hidden_global_offset_x
      - .offset:         136
        .size:           8
        .value_kind:     hidden_global_offset_y
      - .offset:         144
        .size:           8
        .value_kind:     hidden_global_offset_z
      - .offset:         152
        .size:           2
        .value_kind:     hidden_grid_dims
    .group_segment_fixed_size: 0
    .kernarg_segment_align: 8
    .kernarg_segment_size: 344
    .language:       OpenCL C
    .language_version:
      - 2
      - 0
    .max_flat_workgroup_size: 64
    .name:           _ZL36rocblas_hemvn_kernel_upper_block_sumILi64ElPKfPKPffEviT1_lS5_lT2_lT0_lPT3_i
    .private_segment_fixed_size: 0
    .sgpr_count:     24
    .sgpr_spill_count: 0
    .symbol:         _ZL36rocblas_hemvn_kernel_upper_block_sumILi64ElPKfPKPffEviT1_lS5_lT2_lT0_lPT3_i.kd
    .uniform_work_group_size: 1
    .uses_dynamic_stack: false
    .vgpr_count:     7
    .vgpr_spill_count: 0
    .wavefront_size: 64
  - .args:
      - .offset:         0
        .size:           4
        .value_kind:     by_value
      - .address_space:  global
        .offset:         8
        .size:           8
        .value_kind:     global_buffer
      - .offset:         16
        .size:           8
        .value_kind:     by_value
      - .address_space:  global
        .offset:         24
        .size:           8
        .value_kind:     global_buffer
      - .offset:         32
        .size:           8
        .value_kind:     by_value
      - .offset:         40
        .size:           4
        .value_kind:     by_value
      - .offset:         48
        .size:           8
        .value_kind:     by_value
      - .address_space:  global
        .offset:         56
        .size:           8
        .value_kind:     global_buffer
      - .offset:         64
        .size:           8
        .value_kind:     by_value
      - .offset:         72
        .size:           4
        .value_kind:     by_value
      - .offset:         80
        .size:           8
        .value_kind:     by_value
      - .address_space:  global
        .offset:         88
        .size:           8
        .value_kind:     global_buffer
      - .offset:         96
        .size:           8
        .value_kind:     by_value
      - .address_space:  global
        .offset:         104
        .size:           8
        .value_kind:     global_buffer
      - .offset:         112
        .size:           4
        .value_kind:     by_value
      - .offset:         120
        .size:           4
        .value_kind:     hidden_block_count_x
      - .offset:         124
        .size:           4
        .value_kind:     hidden_block_count_y
      - .offset:         128
        .size:           4
        .value_kind:     hidden_block_count_z
      - .offset:         132
        .size:           2
        .value_kind:     hidden_group_size_x
      - .offset:         134
        .size:           2
        .value_kind:     hidden_group_size_y
      - .offset:         136
        .size:           2
        .value_kind:     hidden_group_size_z
      - .offset:         138
        .size:           2
        .value_kind:     hidden_remainder_x
      - .offset:         140
        .size:           2
        .value_kind:     hidden_remainder_y
      - .offset:         142
        .size:           2
        .value_kind:     hidden_remainder_z
      - .offset:         160
        .size:           8
        .value_kind:     hidden_global_offset_x
      - .offset:         168
        .size:           8
        .value_kind:     hidden_global_offset_y
      - .offset:         176
        .size:           8
        .value_kind:     hidden_global_offset_z
      - .offset:         184
        .size:           2
        .value_kind:     hidden_grid_dims
    .group_segment_fixed_size: 4800
    .kernarg_segment_align: 8
    .kernarg_segment_size: 376
    .language:       OpenCL C
    .language_version:
      - 2
      - 0
    .max_flat_workgroup_size: 256
    .name:           _ZL26rocblas_hemvn_kernel_upperILb0ELi64ELi4ELi33ELi32ELi16EiPKfPKS1_PfEviT6_lT7_lT5_lS6_lS7_lS5_lT8_i
    .private_segment_fixed_size: 0
    .sgpr_count:     65
    .sgpr_spill_count: 0
    .symbol:         _ZL26rocblas_hemvn_kernel_upperILb0ELi64ELi4ELi33ELi32ELi16EiPKfPKS1_PfEviT6_lT7_lT5_lS6_lS7_lS5_lT8_i.kd
    .uniform_work_group_size: 1
    .uses_dynamic_stack: false
    .vgpr_count:     128
    .vgpr_spill_count: 0
    .wavefront_size: 64
  - .args:
      - .offset:         0
        .size:           4
        .value_kind:     by_value
      - .address_space:  global
        .offset:         8
        .size:           8
        .value_kind:     global_buffer
      - .offset:         16
        .size:           8
        .value_kind:     by_value
      - .address_space:  global
        .offset:         24
        .size:           8
        .value_kind:     global_buffer
      - .offset:         32
        .size:           8
        .value_kind:     by_value
      - .actual_access:  read_only
        .address_space:  global
        .offset:         40
        .size:           8
        .value_kind:     global_buffer
      - .offset:         48
        .size:           8
        .value_kind:     by_value
      - .offset:         56
        .size:           4
        .value_kind:     by_value
      - .offset:         64
        .size:           8
        .value_kind:     by_value
      - .address_space:  global
        .offset:         72
        .size:           8
        .value_kind:     global_buffer
      - .offset:         80
        .size:           4
        .value_kind:     by_value
      - .offset:         88
        .size:           4
        .value_kind:     hidden_block_count_x
      - .offset:         92
        .size:           4
        .value_kind:     hidden_block_count_y
      - .offset:         96
        .size:           4
        .value_kind:     hidden_block_count_z
      - .offset:         100
        .size:           2
        .value_kind:     hidden_group_size_x
      - .offset:         102
        .size:           2
        .value_kind:     hidden_group_size_y
      - .offset:         104
        .size:           2
        .value_kind:     hidden_group_size_z
      - .offset:         106
        .size:           2
        .value_kind:     hidden_remainder_x
      - .offset:         108
        .size:           2
        .value_kind:     hidden_remainder_y
      - .offset:         110
        .size:           2
        .value_kind:     hidden_remainder_z
      - .offset:         128
        .size:           8
        .value_kind:     hidden_global_offset_x
      - .offset:         136
        .size:           8
        .value_kind:     hidden_global_offset_y
      - .offset:         144
        .size:           8
        .value_kind:     hidden_global_offset_z
      - .offset:         152
        .size:           2
        .value_kind:     hidden_grid_dims
    .group_segment_fixed_size: 0
    .kernarg_segment_align: 8
    .kernarg_segment_size: 344
    .language:       OpenCL C
    .language_version:
      - 2
      - 0
    .max_flat_workgroup_size: 64
    .name:           _ZL36rocblas_hemvn_kernel_upper_block_sumILi64EiPKfPKPffEviT1_lS5_lT2_lT0_lPT3_i
    .private_segment_fixed_size: 0
    .sgpr_count:     24
    .sgpr_spill_count: 0
    .symbol:         _ZL36rocblas_hemvn_kernel_upper_block_sumILi64EiPKfPKPffEviT1_lS5_lT2_lT0_lPT3_i.kd
    .uniform_work_group_size: 1
    .uses_dynamic_stack: false
    .vgpr_count:     6
    .vgpr_spill_count: 0
    .wavefront_size: 64
  - .args:
      - .offset:         0
        .size:           4
        .value_kind:     by_value
      - .offset:         4
        .size:           4
        .value_kind:     by_value
      - .offset:         8
        .size:           8
        .value_kind:     by_value
      - .address_space:  global
        .offset:         16
        .size:           8
        .value_kind:     global_buffer
      - .offset:         24
        .size:           8
        .value_kind:     by_value
      - .offset:         32
        .size:           8
        .value_kind:     by_value
      - .offset:         40
        .size:           8
        .value_kind:     by_value
      - .address_space:  global
        .offset:         48
        .size:           8
        .value_kind:     global_buffer
      - .offset:         56
        .size:           8
        .value_kind:     by_value
      - .offset:         64
        .size:           8
        .value_kind:     by_value
      - .offset:         72
        .size:           8
        .value_kind:     by_value
      - .offset:         80
        .size:           4
        .value_kind:     by_value
      - .offset:         88
        .size:           8
        .value_kind:     by_value
      - .address_space:  global
        .offset:         96
        .size:           8
        .value_kind:     global_buffer
      - .offset:         104
        .size:           4
        .value_kind:     by_value
      - .offset:         112
        .size:           4
        .value_kind:     hidden_block_count_x
      - .offset:         116
        .size:           4
        .value_kind:     hidden_block_count_y
      - .offset:         120
        .size:           4
        .value_kind:     hidden_block_count_z
      - .offset:         124
        .size:           2
        .value_kind:     hidden_group_size_x
      - .offset:         126
        .size:           2
        .value_kind:     hidden_group_size_y
      - .offset:         128
        .size:           2
        .value_kind:     hidden_group_size_z
      - .offset:         130
        .size:           2
        .value_kind:     hidden_remainder_x
      - .offset:         132
        .size:           2
        .value_kind:     hidden_remainder_y
      - .offset:         134
        .size:           2
        .value_kind:     hidden_remainder_z
      - .offset:         152
        .size:           8
        .value_kind:     hidden_global_offset_x
      - .offset:         160
        .size:           8
        .value_kind:     hidden_global_offset_y
      - .offset:         168
        .size:           8
        .value_kind:     hidden_global_offset_z
      - .offset:         176
        .size:           2
        .value_kind:     hidden_grid_dims
    .group_segment_fixed_size: 4800
    .kernarg_segment_align: 8
    .kernarg_segment_size: 368
    .language:       OpenCL C
    .language_version:
      - 2
      - 0
    .max_flat_workgroup_size: 256
    .name:           _ZL26rocblas_hemvn_kernel_upperILb0ELi64ELi4ELi33ELi32ELi16ElfPKPKfPfEviT6_lT7_lT5_lS6_lS7_lS5_lT8_i
    .private_segment_fixed_size: 0
    .sgpr_count:     48
    .sgpr_spill_count: 0
    .symbol:         _ZL26rocblas_hemvn_kernel_upperILb0ELi64ELi4ELi33ELi32ELi16ElfPKPKfPfEviT6_lT7_lT5_lS6_lS7_lS5_lT8_i.kd
    .uniform_work_group_size: 1
    .uses_dynamic_stack: false
    .vgpr_count:     108
    .vgpr_spill_count: 0
    .wavefront_size: 64
  - .args:
      - .offset:         0
        .size:           4
        .value_kind:     by_value
      - .offset:         4
        .size:           4
        .value_kind:     by_value
      - .offset:         8
        .size:           8
        .value_kind:     by_value
      - .offset:         16
        .size:           4
        .value_kind:     by_value
      - .offset:         24
        .size:           8
        .value_kind:     by_value
      - .actual_access:  read_only
        .address_space:  global
        .offset:         32
        .size:           8
        .value_kind:     global_buffer
      - .offset:         40
        .size:           8
        .value_kind:     by_value
      - .offset:         48
        .size:           8
        .value_kind:     by_value
      - .offset:         56
        .size:           8
        .value_kind:     by_value
      - .address_space:  global
        .offset:         64
        .size:           8
        .value_kind:     global_buffer
      - .offset:         72
        .size:           4
        .value_kind:     by_value
      - .offset:         80
        .size:           4
        .value_kind:     hidden_block_count_x
      - .offset:         84
        .size:           4
        .value_kind:     hidden_block_count_y
      - .offset:         88
        .size:           4
        .value_kind:     hidden_block_count_z
      - .offset:         92
        .size:           2
        .value_kind:     hidden_group_size_x
      - .offset:         94
        .size:           2
        .value_kind:     hidden_group_size_y
      - .offset:         96
        .size:           2
        .value_kind:     hidden_group_size_z
      - .offset:         98
        .size:           2
        .value_kind:     hidden_remainder_x
      - .offset:         100
        .size:           2
        .value_kind:     hidden_remainder_y
      - .offset:         102
        .size:           2
        .value_kind:     hidden_remainder_z
      - .offset:         120
        .size:           8
        .value_kind:     hidden_global_offset_x
      - .offset:         128
        .size:           8
        .value_kind:     hidden_global_offset_y
      - .offset:         136
        .size:           8
        .value_kind:     hidden_global_offset_z
      - .offset:         144
        .size:           2
        .value_kind:     hidden_grid_dims
    .group_segment_fixed_size: 0
    .kernarg_segment_align: 8
    .kernarg_segment_size: 336
    .language:       OpenCL C
    .language_version:
      - 2
      - 0
    .max_flat_workgroup_size: 64
    .name:           _ZL36rocblas_hemvn_kernel_upper_block_sumILi64ElfPKPffEviT1_lS3_lT2_lT0_lPT3_i
    .private_segment_fixed_size: 0
    .sgpr_count:     24
    .sgpr_spill_count: 0
    .symbol:         _ZL36rocblas_hemvn_kernel_upper_block_sumILi64ElfPKPffEviT1_lS3_lT2_lT0_lPT3_i.kd
    .uniform_work_group_size: 1
    .uses_dynamic_stack: false
    .vgpr_count:     7
    .vgpr_spill_count: 0
    .wavefront_size: 64
  - .args:
      - .offset:         0
        .size:           4
        .value_kind:     by_value
      - .offset:         4
        .size:           4
        .value_kind:     by_value
      - .offset:         8
        .size:           8
        .value_kind:     by_value
      - .address_space:  global
        .offset:         16
        .size:           8
        .value_kind:     global_buffer
      - .offset:         24
        .size:           8
        .value_kind:     by_value
      - .offset:         32
        .size:           4
        .value_kind:     by_value
      - .offset:         40
        .size:           8
        .value_kind:     by_value
      - .address_space:  global
        .offset:         48
        .size:           8
        .value_kind:     global_buffer
      - .offset:         56
        .size:           8
        .value_kind:     by_value
      - .offset:         64
        .size:           4
        .value_kind:     by_value
      - .offset:         72
        .size:           8
        .value_kind:     by_value
      - .offset:         80
        .size:           4
        .value_kind:     by_value
      - .offset:         88
        .size:           8
        .value_kind:     by_value
      - .address_space:  global
        .offset:         96
        .size:           8
        .value_kind:     global_buffer
      - .offset:         104
        .size:           4
        .value_kind:     by_value
      - .offset:         112
        .size:           4
        .value_kind:     hidden_block_count_x
      - .offset:         116
        .size:           4
        .value_kind:     hidden_block_count_y
      - .offset:         120
        .size:           4
        .value_kind:     hidden_block_count_z
      - .offset:         124
        .size:           2
        .value_kind:     hidden_group_size_x
      - .offset:         126
        .size:           2
        .value_kind:     hidden_group_size_y
      - .offset:         128
        .size:           2
        .value_kind:     hidden_group_size_z
      - .offset:         130
        .size:           2
        .value_kind:     hidden_remainder_x
      - .offset:         132
        .size:           2
        .value_kind:     hidden_remainder_y
      - .offset:         134
        .size:           2
        .value_kind:     hidden_remainder_z
      - .offset:         152
        .size:           8
        .value_kind:     hidden_global_offset_x
      - .offset:         160
        .size:           8
        .value_kind:     hidden_global_offset_y
      - .offset:         168
        .size:           8
        .value_kind:     hidden_global_offset_z
      - .offset:         176
        .size:           2
        .value_kind:     hidden_grid_dims
    .group_segment_fixed_size: 4800
    .kernarg_segment_align: 8
    .kernarg_segment_size: 368
    .language:       OpenCL C
    .language_version:
      - 2
      - 0
    .max_flat_workgroup_size: 256
    .name:           _ZL26rocblas_hemvn_kernel_upperILb0ELi64ELi4ELi33ELi32ELi16EifPKPKfPfEviT6_lT7_lT5_lS6_lS7_lS5_lT8_i
    .private_segment_fixed_size: 0
    .sgpr_count:     65
    .sgpr_spill_count: 0
    .symbol:         _ZL26rocblas_hemvn_kernel_upperILb0ELi64ELi4ELi33ELi32ELi16EifPKPKfPfEviT6_lT7_lT5_lS6_lS7_lS5_lT8_i.kd
    .uniform_work_group_size: 1
    .uses_dynamic_stack: false
    .vgpr_count:     128
    .vgpr_spill_count: 0
    .wavefront_size: 64
  - .args:
      - .offset:         0
        .size:           4
        .value_kind:     by_value
      - .offset:         4
        .size:           4
        .value_kind:     by_value
      - .offset:         8
        .size:           8
        .value_kind:     by_value
      - .offset:         16
        .size:           4
        .value_kind:     by_value
      - .offset:         24
        .size:           8
        .value_kind:     by_value
      - .actual_access:  read_only
        .address_space:  global
        .offset:         32
        .size:           8
        .value_kind:     global_buffer
      - .offset:         40
        .size:           8
        .value_kind:     by_value
      - .offset:         48
        .size:           4
        .value_kind:     by_value
      - .offset:         56
        .size:           8
        .value_kind:     by_value
      - .address_space:  global
        .offset:         64
        .size:           8
        .value_kind:     global_buffer
      - .offset:         72
        .size:           4
        .value_kind:     by_value
      - .offset:         80
        .size:           4
        .value_kind:     hidden_block_count_x
      - .offset:         84
        .size:           4
        .value_kind:     hidden_block_count_y
      - .offset:         88
        .size:           4
        .value_kind:     hidden_block_count_z
      - .offset:         92
        .size:           2
        .value_kind:     hidden_group_size_x
      - .offset:         94
        .size:           2
        .value_kind:     hidden_group_size_y
      - .offset:         96
        .size:           2
        .value_kind:     hidden_group_size_z
      - .offset:         98
        .size:           2
        .value_kind:     hidden_remainder_x
      - .offset:         100
        .size:           2
        .value_kind:     hidden_remainder_y
      - .offset:         102
        .size:           2
        .value_kind:     hidden_remainder_z
      - .offset:         120
        .size:           8
        .value_kind:     hidden_global_offset_x
      - .offset:         128
        .size:           8
        .value_kind:     hidden_global_offset_y
      - .offset:         136
        .size:           8
        .value_kind:     hidden_global_offset_z
      - .offset:         144
        .size:           2
        .value_kind:     hidden_grid_dims
    .group_segment_fixed_size: 0
    .kernarg_segment_align: 8
    .kernarg_segment_size: 336
    .language:       OpenCL C
    .language_version:
      - 2
      - 0
    .max_flat_workgroup_size: 64
    .name:           _ZL36rocblas_hemvn_kernel_upper_block_sumILi64EifPKPffEviT1_lS3_lT2_lT0_lPT3_i
    .private_segment_fixed_size: 0
    .sgpr_count:     23
    .sgpr_spill_count: 0
    .symbol:         _ZL36rocblas_hemvn_kernel_upper_block_sumILi64EifPKPffEviT1_lS3_lT2_lT0_lPT3_i.kd
    .uniform_work_group_size: 1
    .uses_dynamic_stack: false
    .vgpr_count:     6
    .vgpr_spill_count: 0
    .wavefront_size: 64
  - .args:
      - .offset:         0
        .size:           1
        .value_kind:     by_value
      - .offset:         4
        .size:           4
        .value_kind:     by_value
      - .offset:         8
        .size:           8
        .value_kind:     by_value
      - .offset:         16
        .size:           8
        .value_kind:     by_value
      - .address_space:  global
        .offset:         24
        .size:           8
        .value_kind:     global_buffer
      - .offset:         32
        .size:           8
        .value_kind:     by_value
      - .offset:         40
        .size:           8
        .value_kind:     by_value
      - .offset:         48
        .size:           8
        .value_kind:     by_value
      - .address_space:  global
        .offset:         56
        .size:           8
        .value_kind:     global_buffer
      - .offset:         64
        .size:           8
        .value_kind:     by_value
      - .offset:         72
        .size:           8
        .value_kind:     by_value
      - .offset:         80
        .size:           8
        .value_kind:     by_value
      - .offset:         88
        .size:           8
        .value_kind:     by_value
      - .offset:         96
        .size:           8
        .value_kind:     by_value
      - .actual_access:  read_only
        .address_space:  global
        .offset:         104
        .size:           8
        .value_kind:     global_buffer
      - .offset:         112
        .size:           8
        .value_kind:     by_value
      - .offset:         120
        .size:           8
        .value_kind:     by_value
      - .offset:         128
        .size:           8
        .value_kind:     by_value
      - .offset:         136
        .size:           4
        .value_kind:     by_value
    .group_segment_fixed_size: 5248
    .kernarg_segment_align: 8
    .kernarg_segment_size: 140
    .language:       OpenCL C
    .language_version:
      - 2
      - 0
    .max_flat_workgroup_size: 128
    .name:           _ZL50rocblas_symv_kernel_lower_double_buffered_diagonalILi32ELi4E24rocblas_internal_val_ptrIfEPKPKfPKPfEvbiT1_lT2_lllSA_lllS9_lT3_llli
    .private_segment_fixed_size: 0
    .sgpr_count:     33
    .sgpr_spill_count: 0
    .symbol:         _ZL50rocblas_symv_kernel_lower_double_buffered_diagonalILi32ELi4E24rocblas_internal_val_ptrIfEPKPKfPKPfEvbiT1_lT2_lllSA_lllS9_lT3_llli.kd
    .uniform_work_group_size: 1
    .uses_dynamic_stack: false
    .vgpr_count:     21
    .vgpr_spill_count: 0
    .wavefront_size: 64
  - .args:
      - .offset:         0
        .size:           1
        .value_kind:     by_value
      - .offset:         4
        .size:           4
        .value_kind:     by_value
      - .offset:         8
        .size:           8
        .value_kind:     by_value
      - .offset:         16
        .size:           8
        .value_kind:     by_value
      - .address_space:  global
        .offset:         24
        .size:           8
        .value_kind:     global_buffer
      - .offset:         32
        .size:           8
        .value_kind:     by_value
      - .offset:         40
        .size:           8
        .value_kind:     by_value
      - .offset:         48
        .size:           8
        .value_kind:     by_value
      - .address_space:  global
        .offset:         56
        .size:           8
        .value_kind:     global_buffer
      - .offset:         64
        .size:           8
        .value_kind:     by_value
      - .offset:         72
        .size:           8
        .value_kind:     by_value
      - .offset:         80
        .size:           8
        .value_kind:     by_value
      - .actual_access:  read_only
        .address_space:  global
        .offset:         88
        .size:           8
        .value_kind:     global_buffer
      - .offset:         96
        .size:           8
        .value_kind:     by_value
      - .offset:         104
        .size:           8
        .value_kind:     by_value
      - .offset:         112
        .size:           8
        .value_kind:     by_value
      - .offset:         120
        .size:           4
        .value_kind:     by_value
      - .offset:         128
        .size:           4
        .value_kind:     hidden_block_count_x
      - .offset:         132
        .size:           4
        .value_kind:     hidden_block_count_y
      - .offset:         136
        .size:           4
        .value_kind:     hidden_block_count_z
      - .offset:         140
        .size:           2
        .value_kind:     hidden_group_size_x
      - .offset:         142
        .size:           2
        .value_kind:     hidden_group_size_y
      - .offset:         144
        .size:           2
        .value_kind:     hidden_group_size_z
      - .offset:         146
        .size:           2
        .value_kind:     hidden_remainder_x
      - .offset:         148
        .size:           2
        .value_kind:     hidden_remainder_y
      - .offset:         150
        .size:           2
        .value_kind:     hidden_remainder_z
      - .offset:         168
        .size:           8
        .value_kind:     hidden_global_offset_x
      - .offset:         176
        .size:           8
        .value_kind:     hidden_global_offset_y
      - .offset:         184
        .size:           8
        .value_kind:     hidden_global_offset_z
      - .offset:         192
        .size:           2
        .value_kind:     hidden_grid_dims
    .group_segment_fixed_size: 3200
    .kernarg_segment_align: 8
    .kernarg_segment_size: 384
    .language:       OpenCL C
    .language_version:
      - 2
      - 0
    .max_flat_workgroup_size: 128
    .name:           _ZL54rocblas_symv_kernel_lower_double_buffered_non_diagonalILi32ELi4ELi4E24rocblas_internal_val_ptrIfEPKPKfPKPfEvbiT2_lT3_lllSA_lllT4_llli
    .private_segment_fixed_size: 0
    .sgpr_count:     32
    .sgpr_spill_count: 0
    .symbol:         _ZL54rocblas_symv_kernel_lower_double_buffered_non_diagonalILi32ELi4ELi4E24rocblas_internal_val_ptrIfEPKPKfPKPfEvbiT2_lT3_lllSA_lllT4_llli.kd
    .uniform_work_group_size: 1
    .uses_dynamic_stack: false
    .vgpr_count:     47
    .vgpr_spill_count: 0
    .wavefront_size: 64
  - .args:
      - .offset:         0
        .size:           1
        .value_kind:     by_value
      - .offset:         4
        .size:           4
        .value_kind:     by_value
      - .offset:         8
        .size:           8
        .value_kind:     by_value
      - .offset:         16
        .size:           8
        .value_kind:     by_value
      - .address_space:  global
        .offset:         24
        .size:           8
        .value_kind:     global_buffer
      - .offset:         32
        .size:           8
        .value_kind:     by_value
      - .offset:         40
        .size:           8
        .value_kind:     by_value
      - .offset:         48
        .size:           8
        .value_kind:     by_value
      - .address_space:  global
        .offset:         56
        .size:           8
        .value_kind:     global_buffer
      - .offset:         64
        .size:           8
        .value_kind:     by_value
      - .offset:         72
        .size:           8
        .value_kind:     by_value
      - .offset:         80
        .size:           8
        .value_kind:     by_value
      - .offset:         88
        .size:           8
        .value_kind:     by_value
      - .offset:         96
        .size:           8
        .value_kind:     by_value
      - .actual_access:  read_only
        .address_space:  global
        .offset:         104
        .size:           8
        .value_kind:     global_buffer
      - .offset:         112
        .size:           8
        .value_kind:     by_value
      - .offset:         120
        .size:           8
        .value_kind:     by_value
      - .offset:         128
        .size:           8
        .value_kind:     by_value
      - .offset:         136
        .size:           4
        .value_kind:     by_value
      - .offset:         140
        .size:           4
        .value_kind:     by_value
      - .offset:         144
        .size:           4
        .value_kind:     hidden_block_count_x
      - .offset:         148
        .size:           4
        .value_kind:     hidden_block_count_y
      - .offset:         152
        .size:           4
        .value_kind:     hidden_block_count_z
      - .offset:         156
        .size:           2
        .value_kind:     hidden_group_size_x
      - .offset:         158
        .size:           2
        .value_kind:     hidden_group_size_y
      - .offset:         160
        .size:           2
        .value_kind:     hidden_group_size_z
      - .offset:         162
        .size:           2
        .value_kind:     hidden_remainder_x
      - .offset:         164
        .size:           2
        .value_kind:     hidden_remainder_y
      - .offset:         166
        .size:           2
        .value_kind:     hidden_remainder_z
      - .offset:         184
        .size:           8
        .value_kind:     hidden_global_offset_x
      - .offset:         192
        .size:           8
        .value_kind:     hidden_global_offset_y
      - .offset:         200
        .size:           8
        .value_kind:     hidden_global_offset_z
      - .offset:         208
        .size:           2
        .value_kind:     hidden_grid_dims
    .group_segment_fixed_size: 5248
    .kernarg_segment_align: 8
    .kernarg_segment_size: 400
    .language:       OpenCL C
    .language_version:
      - 2
      - 0
    .max_flat_workgroup_size: 128
    .name:           _ZL58rocblas_symv_kernel_lower_double_buffered_diagonal_genericILi32ELi4E24rocblas_internal_val_ptrIfEPKPKfPKPfEvbiT1_lT2_lllSA_lllS9_lT3_lllii
    .private_segment_fixed_size: 0
    .sgpr_count:     35
    .sgpr_spill_count: 0
    .symbol:         _ZL58rocblas_symv_kernel_lower_double_buffered_diagonal_genericILi32ELi4E24rocblas_internal_val_ptrIfEPKPKfPKPfEvbiT1_lT2_lllSA_lllS9_lT3_lllii.kd
    .uniform_work_group_size: 1
    .uses_dynamic_stack: false
    .vgpr_count:     32
    .vgpr_spill_count: 0
    .wavefront_size: 64
  - .args:
      - .offset:         0
        .size:           1
        .value_kind:     by_value
      - .offset:         4
        .size:           4
        .value_kind:     by_value
      - .offset:         8
        .size:           8
        .value_kind:     by_value
      - .offset:         16
        .size:           8
        .value_kind:     by_value
      - .address_space:  global
        .offset:         24
        .size:           8
        .value_kind:     global_buffer
      - .offset:         32
        .size:           8
        .value_kind:     by_value
      - .offset:         40
        .size:           8
        .value_kind:     by_value
      - .offset:         48
        .size:           8
        .value_kind:     by_value
      - .address_space:  global
        .offset:         56
        .size:           8
        .value_kind:     global_buffer
      - .offset:         64
        .size:           8
        .value_kind:     by_value
      - .offset:         72
        .size:           8
        .value_kind:     by_value
      - .offset:         80
        .size:           8
        .value_kind:     by_value
      - .actual_access:  read_only
        .address_space:  global
        .offset:         88
        .size:           8
        .value_kind:     global_buffer
      - .offset:         96
        .size:           8
        .value_kind:     by_value
      - .offset:         104
        .size:           8
        .value_kind:     by_value
      - .offset:         112
        .size:           8
        .value_kind:     by_value
      - .offset:         120
        .size:           4
        .value_kind:     by_value
      - .offset:         124
        .size:           4
        .value_kind:     by_value
      - .offset:         128
        .size:           4
        .value_kind:     hidden_block_count_x
      - .offset:         132
        .size:           4
        .value_kind:     hidden_block_count_y
      - .offset:         136
        .size:           4
        .value_kind:     hidden_block_count_z
      - .offset:         140
        .size:           2
        .value_kind:     hidden_group_size_x
      - .offset:         142
        .size:           2
        .value_kind:     hidden_group_size_y
      - .offset:         144
        .size:           2
        .value_kind:     hidden_group_size_z
      - .offset:         146
        .size:           2
        .value_kind:     hidden_remainder_x
      - .offset:         148
        .size:           2
        .value_kind:     hidden_remainder_y
      - .offset:         150
        .size:           2
        .value_kind:     hidden_remainder_z
      - .offset:         168
        .size:           8
        .value_kind:     hidden_global_offset_x
      - .offset:         176
        .size:           8
        .value_kind:     hidden_global_offset_y
      - .offset:         184
        .size:           8
        .value_kind:     hidden_global_offset_z
      - .offset:         192
        .size:           2
        .value_kind:     hidden_grid_dims
    .group_segment_fixed_size: 3200
    .kernarg_segment_align: 8
    .kernarg_segment_size: 384
    .language:       OpenCL C
    .language_version:
      - 2
      - 0
    .max_flat_workgroup_size: 128
    .name:           _ZL62rocblas_symv_kernel_lower_double_buffered_non_diagonal_genericILi32ELi4ELi4E24rocblas_internal_val_ptrIfEPKPKfPKPfEvbiT2_lT3_lllSA_lllT4_lllii
    .private_segment_fixed_size: 0
    .sgpr_count:     45
    .sgpr_spill_count: 0
    .symbol:         _ZL62rocblas_symv_kernel_lower_double_buffered_non_diagonal_genericILi32ELi4ELi4E24rocblas_internal_val_ptrIfEPKPKfPKPfEvbiT2_lT3_lllSA_lllT4_lllii.kd
    .uniform_work_group_size: 1
    .uses_dynamic_stack: false
    .vgpr_count:     56
    .vgpr_spill_count: 0
    .wavefront_size: 64
  - .args:
      - .offset:         0
        .size:           4
        .value_kind:     by_value
      - .address_space:  global
        .offset:         8
        .size:           8
        .value_kind:     global_buffer
      - .offset:         16
        .size:           8
        .value_kind:     by_value
      - .address_space:  global
        .offset:         24
        .size:           8
        .value_kind:     global_buffer
      - .offset:         32
        .size:           8
        .value_kind:     by_value
      - .offset:         40
        .size:           8
        .value_kind:     by_value
      - .offset:         48
        .size:           8
        .value_kind:     by_value
      - .address_space:  global
        .offset:         56
        .size:           8
        .value_kind:     global_buffer
      - .offset:         64
        .size:           8
        .value_kind:     by_value
      - .offset:         72
        .size:           8
        .value_kind:     by_value
      - .offset:         80
        .size:           8
        .value_kind:     by_value
      - .address_space:  global
        .offset:         88
        .size:           8
        .value_kind:     global_buffer
      - .offset:         96
        .size:           8
        .value_kind:     by_value
      - .address_space:  global
        .offset:         104
        .size:           8
        .value_kind:     global_buffer
      - .offset:         112
        .size:           4
        .value_kind:     by_value
      - .offset:         120
        .size:           4
        .value_kind:     hidden_block_count_x
      - .offset:         124
        .size:           4
        .value_kind:     hidden_block_count_y
      - .offset:         128
        .size:           4
        .value_kind:     hidden_block_count_z
      - .offset:         132
        .size:           2
        .value_kind:     hidden_group_size_x
      - .offset:         134
        .size:           2
        .value_kind:     hidden_group_size_y
      - .offset:         136
        .size:           2
        .value_kind:     hidden_group_size_z
      - .offset:         138
        .size:           2
        .value_kind:     hidden_remainder_x
      - .offset:         140
        .size:           2
        .value_kind:     hidden_remainder_y
      - .offset:         142
        .size:           2
        .value_kind:     hidden_remainder_z
      - .offset:         160
        .size:           8
        .value_kind:     hidden_global_offset_x
      - .offset:         168
        .size:           8
        .value_kind:     hidden_global_offset_y
      - .offset:         176
        .size:           8
        .value_kind:     hidden_global_offset_z
      - .offset:         184
        .size:           2
        .value_kind:     hidden_grid_dims
    .group_segment_fixed_size: 4800
    .kernarg_segment_align: 8
    .kernarg_segment_size: 376
    .language:       OpenCL C
    .language_version:
      - 2
      - 0
    .max_flat_workgroup_size: 256
    .name:           _ZL26rocblas_hemvn_kernel_lowerILb0ELi64ELi4ELi33ELi32ELi16ElPKfPKS1_PfEviT6_lT7_lT5_lS6_lS7_lS5_lT8_i
    .private_segment_fixed_size: 0
    .sgpr_count:     52
    .sgpr_spill_count: 0
    .symbol:         _ZL26rocblas_hemvn_kernel_lowerILb0ELi64ELi4ELi33ELi32ELi16ElPKfPKS1_PfEviT6_lT7_lT5_lS6_lS7_lS5_lT8_i.kd
    .uniform_work_group_size: 1
    .uses_dynamic_stack: false
    .vgpr_count:     83
    .vgpr_spill_count: 0
    .wavefront_size: 64
  - .args:
      - .offset:         0
        .size:           4
        .value_kind:     by_value
      - .address_space:  global
        .offset:         8
        .size:           8
        .value_kind:     global_buffer
      - .offset:         16
        .size:           8
        .value_kind:     by_value
      - .address_space:  global
        .offset:         24
        .size:           8
        .value_kind:     global_buffer
      - .offset:         32
        .size:           8
        .value_kind:     by_value
      - .actual_access:  read_only
        .address_space:  global
        .offset:         40
        .size:           8
        .value_kind:     global_buffer
      - .offset:         48
        .size:           8
        .value_kind:     by_value
      - .offset:         56
        .size:           8
        .value_kind:     by_value
      - .offset:         64
        .size:           8
        .value_kind:     by_value
      - .actual_access:  read_only
        .address_space:  global
        .offset:         72
        .size:           8
        .value_kind:     global_buffer
      - .offset:         80
        .size:           4
        .value_kind:     by_value
      - .offset:         88
        .size:           4
        .value_kind:     hidden_block_count_x
      - .offset:         92
        .size:           4
        .value_kind:     hidden_block_count_y
      - .offset:         96
        .size:           4
        .value_kind:     hidden_block_count_z
      - .offset:         100
        .size:           2
        .value_kind:     hidden_group_size_x
      - .offset:         102
        .size:           2
        .value_kind:     hidden_group_size_y
      - .offset:         104
        .size:           2
        .value_kind:     hidden_group_size_z
      - .offset:         106
        .size:           2
        .value_kind:     hidden_remainder_x
      - .offset:         108
        .size:           2
        .value_kind:     hidden_remainder_y
      - .offset:         110
        .size:           2
        .value_kind:     hidden_remainder_z
      - .offset:         128
        .size:           8
        .value_kind:     hidden_global_offset_x
      - .offset:         136
        .size:           8
        .value_kind:     hidden_global_offset_y
      - .offset:         144
        .size:           8
        .value_kind:     hidden_global_offset_z
      - .offset:         152
        .size:           2
        .value_kind:     hidden_grid_dims
    .group_segment_fixed_size: 0
    .kernarg_segment_align: 8
    .kernarg_segment_size: 344
    .language:       OpenCL C
    .language_version:
      - 2
      - 0
    .max_flat_workgroup_size: 64
    .name:           _ZL36rocblas_hemvn_kernel_lower_block_sumILi64ElPKfPKPffEviT1_lS5_lT2_lT0_lPT3_i
    .private_segment_fixed_size: 0
    .sgpr_count:     24
    .sgpr_spill_count: 0
    .symbol:         _ZL36rocblas_hemvn_kernel_lower_block_sumILi64ElPKfPKPffEviT1_lS5_lT2_lT0_lPT3_i.kd
    .uniform_work_group_size: 1
    .uses_dynamic_stack: false
    .vgpr_count:     8
    .vgpr_spill_count: 0
    .wavefront_size: 64
  - .args:
      - .offset:         0
        .size:           4
        .value_kind:     by_value
      - .address_space:  global
        .offset:         8
        .size:           8
        .value_kind:     global_buffer
      - .offset:         16
        .size:           8
        .value_kind:     by_value
      - .address_space:  global
        .offset:         24
        .size:           8
        .value_kind:     global_buffer
      - .offset:         32
        .size:           8
        .value_kind:     by_value
      - .offset:         40
        .size:           4
        .value_kind:     by_value
      - .offset:         48
        .size:           8
        .value_kind:     by_value
      - .address_space:  global
        .offset:         56
        .size:           8
        .value_kind:     global_buffer
      - .offset:         64
        .size:           8
        .value_kind:     by_value
      - .offset:         72
        .size:           4
        .value_kind:     by_value
      - .offset:         80
        .size:           8
        .value_kind:     by_value
      - .address_space:  global
        .offset:         88
        .size:           8
        .value_kind:     global_buffer
      - .offset:         96
        .size:           8
        .value_kind:     by_value
      - .address_space:  global
        .offset:         104
        .size:           8
        .value_kind:     global_buffer
      - .offset:         112
        .size:           4
        .value_kind:     by_value
      - .offset:         120
        .size:           4
        .value_kind:     hidden_block_count_x
      - .offset:         124
        .size:           4
        .value_kind:     hidden_block_count_y
      - .offset:         128
        .size:           4
        .value_kind:     hidden_block_count_z
      - .offset:         132
        .size:           2
        .value_kind:     hidden_group_size_x
      - .offset:         134
        .size:           2
        .value_kind:     hidden_group_size_y
      - .offset:         136
        .size:           2
        .value_kind:     hidden_group_size_z
      - .offset:         138
        .size:           2
        .value_kind:     hidden_remainder_x
      - .offset:         140
        .size:           2
        .value_kind:     hidden_remainder_y
      - .offset:         142
        .size:           2
        .value_kind:     hidden_remainder_z
      - .offset:         160
        .size:           8
        .value_kind:     hidden_global_offset_x
      - .offset:         168
        .size:           8
        .value_kind:     hidden_global_offset_y
      - .offset:         176
        .size:           8
        .value_kind:     hidden_global_offset_z
      - .offset:         184
        .size:           2
        .value_kind:     hidden_grid_dims
    .group_segment_fixed_size: 4800
    .kernarg_segment_align: 8
    .kernarg_segment_size: 376
    .language:       OpenCL C
    .language_version:
      - 2
      - 0
    .max_flat_workgroup_size: 256
    .name:           _ZL26rocblas_hemvn_kernel_lowerILb0ELi64ELi4ELi33ELi32ELi16EiPKfPKS1_PfEviT6_lT7_lT5_lS6_lS7_lS5_lT8_i
    .private_segment_fixed_size: 0
    .sgpr_count:     50
    .sgpr_spill_count: 0
    .symbol:         _ZL26rocblas_hemvn_kernel_lowerILb0ELi64ELi4ELi33ELi32ELi16EiPKfPKS1_PfEviT6_lT7_lT5_lS6_lS7_lS5_lT8_i.kd
    .uniform_work_group_size: 1
    .uses_dynamic_stack: false
    .vgpr_count:     81
    .vgpr_spill_count: 0
    .wavefront_size: 64
  - .args:
      - .offset:         0
        .size:           4
        .value_kind:     by_value
      - .address_space:  global
        .offset:         8
        .size:           8
        .value_kind:     global_buffer
      - .offset:         16
        .size:           8
        .value_kind:     by_value
      - .address_space:  global
        .offset:         24
        .size:           8
        .value_kind:     global_buffer
      - .offset:         32
        .size:           8
        .value_kind:     by_value
      - .actual_access:  read_only
        .address_space:  global
        .offset:         40
        .size:           8
        .value_kind:     global_buffer
      - .offset:         48
        .size:           8
        .value_kind:     by_value
      - .offset:         56
        .size:           4
        .value_kind:     by_value
      - .offset:         64
        .size:           8
        .value_kind:     by_value
      - .actual_access:  read_only
        .address_space:  global
        .offset:         72
        .size:           8
        .value_kind:     global_buffer
      - .offset:         80
        .size:           4
        .value_kind:     by_value
      - .offset:         88
        .size:           4
        .value_kind:     hidden_block_count_x
      - .offset:         92
        .size:           4
        .value_kind:     hidden_block_count_y
      - .offset:         96
        .size:           4
        .value_kind:     hidden_block_count_z
      - .offset:         100
        .size:           2
        .value_kind:     hidden_group_size_x
      - .offset:         102
        .size:           2
        .value_kind:     hidden_group_size_y
      - .offset:         104
        .size:           2
        .value_kind:     hidden_group_size_z
      - .offset:         106
        .size:           2
        .value_kind:     hidden_remainder_x
      - .offset:         108
        .size:           2
        .value_kind:     hidden_remainder_y
      - .offset:         110
        .size:           2
        .value_kind:     hidden_remainder_z
      - .offset:         128
        .size:           8
        .value_kind:     hidden_global_offset_x
      - .offset:         136
        .size:           8
        .value_kind:     hidden_global_offset_y
      - .offset:         144
        .size:           8
        .value_kind:     hidden_global_offset_z
      - .offset:         152
        .size:           2
        .value_kind:     hidden_grid_dims
    .group_segment_fixed_size: 0
    .kernarg_segment_align: 8
    .kernarg_segment_size: 344
    .language:       OpenCL C
    .language_version:
      - 2
      - 0
    .max_flat_workgroup_size: 64
    .name:           _ZL36rocblas_hemvn_kernel_lower_block_sumILi64EiPKfPKPffEviT1_lS5_lT2_lT0_lPT3_i
    .private_segment_fixed_size: 0
    .sgpr_count:     24
    .sgpr_spill_count: 0
    .symbol:         _ZL36rocblas_hemvn_kernel_lower_block_sumILi64EiPKfPKPffEviT1_lS5_lT2_lT0_lPT3_i.kd
    .uniform_work_group_size: 1
    .uses_dynamic_stack: false
    .vgpr_count:     6
    .vgpr_spill_count: 0
    .wavefront_size: 64
  - .args:
      - .offset:         0
        .size:           4
        .value_kind:     by_value
      - .offset:         4
        .size:           4
        .value_kind:     by_value
      - .offset:         8
        .size:           8
        .value_kind:     by_value
      - .address_space:  global
        .offset:         16
        .size:           8
        .value_kind:     global_buffer
      - .offset:         24
        .size:           8
        .value_kind:     by_value
      - .offset:         32
        .size:           8
        .value_kind:     by_value
      - .offset:         40
        .size:           8
        .value_kind:     by_value
      - .address_space:  global
        .offset:         48
        .size:           8
        .value_kind:     global_buffer
      - .offset:         56
        .size:           8
        .value_kind:     by_value
      - .offset:         64
        .size:           8
        .value_kind:     by_value
      - .offset:         72
        .size:           8
        .value_kind:     by_value
      - .offset:         80
        .size:           4
        .value_kind:     by_value
      - .offset:         88
        .size:           8
        .value_kind:     by_value
      - .address_space:  global
        .offset:         96
        .size:           8
        .value_kind:     global_buffer
      - .offset:         104
        .size:           4
        .value_kind:     by_value
      - .offset:         112
        .size:           4
        .value_kind:     hidden_block_count_x
      - .offset:         116
        .size:           4
        .value_kind:     hidden_block_count_y
      - .offset:         120
        .size:           4
        .value_kind:     hidden_block_count_z
      - .offset:         124
        .size:           2
        .value_kind:     hidden_group_size_x
      - .offset:         126
        .size:           2
        .value_kind:     hidden_group_size_y
      - .offset:         128
        .size:           2
        .value_kind:     hidden_group_size_z
      - .offset:         130
        .size:           2
        .value_kind:     hidden_remainder_x
      - .offset:         132
        .size:           2
        .value_kind:     hidden_remainder_y
      - .offset:         134
        .size:           2
        .value_kind:     hidden_remainder_z
      - .offset:         152
        .size:           8
        .value_kind:     hidden_global_offset_x
      - .offset:         160
        .size:           8
        .value_kind:     hidden_global_offset_y
      - .offset:         168
        .size:           8
        .value_kind:     hidden_global_offset_z
      - .offset:         176
        .size:           2
        .value_kind:     hidden_grid_dims
    .group_segment_fixed_size: 4800
    .kernarg_segment_align: 8
    .kernarg_segment_size: 368
    .language:       OpenCL C
    .language_version:
      - 2
      - 0
    .max_flat_workgroup_size: 256
    .name:           _ZL26rocblas_hemvn_kernel_lowerILb0ELi64ELi4ELi33ELi32ELi16ElfPKPKfPfEviT6_lT7_lT5_lS6_lS7_lS5_lT8_i
    .private_segment_fixed_size: 0
    .sgpr_count:     54
    .sgpr_spill_count: 0
    .symbol:         _ZL26rocblas_hemvn_kernel_lowerILb0ELi64ELi4ELi33ELi32ELi16ElfPKPKfPfEviT6_lT7_lT5_lS6_lS7_lS5_lT8_i.kd
    .uniform_work_group_size: 1
    .uses_dynamic_stack: false
    .vgpr_count:     83
    .vgpr_spill_count: 0
    .wavefront_size: 64
  - .args:
      - .offset:         0
        .size:           4
        .value_kind:     by_value
      - .offset:         4
        .size:           4
        .value_kind:     by_value
      - .offset:         8
        .size:           8
        .value_kind:     by_value
      - .offset:         16
        .size:           4
        .value_kind:     by_value
      - .offset:         24
        .size:           8
        .value_kind:     by_value
      - .actual_access:  read_only
        .address_space:  global
        .offset:         32
        .size:           8
        .value_kind:     global_buffer
      - .offset:         40
        .size:           8
        .value_kind:     by_value
      - .offset:         48
        .size:           8
        .value_kind:     by_value
      - .offset:         56
        .size:           8
        .value_kind:     by_value
      - .actual_access:  read_only
        .address_space:  global
        .offset:         64
        .size:           8
        .value_kind:     global_buffer
      - .offset:         72
        .size:           4
        .value_kind:     by_value
      - .offset:         80
        .size:           4
        .value_kind:     hidden_block_count_x
      - .offset:         84
        .size:           4
        .value_kind:     hidden_block_count_y
      - .offset:         88
        .size:           4
        .value_kind:     hidden_block_count_z
      - .offset:         92
        .size:           2
        .value_kind:     hidden_group_size_x
      - .offset:         94
        .size:           2
        .value_kind:     hidden_group_size_y
      - .offset:         96
        .size:           2
        .value_kind:     hidden_group_size_z
      - .offset:         98
        .size:           2
        .value_kind:     hidden_remainder_x
      - .offset:         100
        .size:           2
        .value_kind:     hidden_remainder_y
      - .offset:         102
        .size:           2
        .value_kind:     hidden_remainder_z
      - .offset:         120
        .size:           8
        .value_kind:     hidden_global_offset_x
      - .offset:         128
        .size:           8
        .value_kind:     hidden_global_offset_y
      - .offset:         136
        .size:           8
        .value_kind:     hidden_global_offset_z
      - .offset:         144
        .size:           2
        .value_kind:     hidden_grid_dims
    .group_segment_fixed_size: 0
    .kernarg_segment_align: 8
    .kernarg_segment_size: 336
    .language:       OpenCL C
    .language_version:
      - 2
      - 0
    .max_flat_workgroup_size: 64
    .name:           _ZL36rocblas_hemvn_kernel_lower_block_sumILi64ElfPKPffEviT1_lS3_lT2_lT0_lPT3_i
    .private_segment_fixed_size: 0
    .sgpr_count:     26
    .sgpr_spill_count: 0
    .symbol:         _ZL36rocblas_hemvn_kernel_lower_block_sumILi64ElfPKPffEviT1_lS3_lT2_lT0_lPT3_i.kd
    .uniform_work_group_size: 1
    .uses_dynamic_stack: false
    .vgpr_count:     8
    .vgpr_spill_count: 0
    .wavefront_size: 64
  - .args:
      - .offset:         0
        .size:           4
        .value_kind:     by_value
      - .offset:         4
        .size:           4
        .value_kind:     by_value
      - .offset:         8
        .size:           8
        .value_kind:     by_value
      - .address_space:  global
        .offset:         16
        .size:           8
        .value_kind:     global_buffer
      - .offset:         24
        .size:           8
        .value_kind:     by_value
      - .offset:         32
        .size:           4
        .value_kind:     by_value
      - .offset:         40
        .size:           8
        .value_kind:     by_value
      - .address_space:  global
        .offset:         48
        .size:           8
        .value_kind:     global_buffer
      - .offset:         56
        .size:           8
        .value_kind:     by_value
      - .offset:         64
        .size:           4
        .value_kind:     by_value
      - .offset:         72
        .size:           8
        .value_kind:     by_value
      - .offset:         80
        .size:           4
        .value_kind:     by_value
      - .offset:         88
        .size:           8
        .value_kind:     by_value
      - .address_space:  global
        .offset:         96
        .size:           8
        .value_kind:     global_buffer
      - .offset:         104
        .size:           4
        .value_kind:     by_value
      - .offset:         112
        .size:           4
        .value_kind:     hidden_block_count_x
      - .offset:         116
        .size:           4
        .value_kind:     hidden_block_count_y
      - .offset:         120
        .size:           4
        .value_kind:     hidden_block_count_z
      - .offset:         124
        .size:           2
        .value_kind:     hidden_group_size_x
      - .offset:         126
        .size:           2
        .value_kind:     hidden_group_size_y
      - .offset:         128
        .size:           2
        .value_kind:     hidden_group_size_z
      - .offset:         130
        .size:           2
        .value_kind:     hidden_remainder_x
      - .offset:         132
        .size:           2
        .value_kind:     hidden_remainder_y
      - .offset:         134
        .size:           2
        .value_kind:     hidden_remainder_z
      - .offset:         152
        .size:           8
        .value_kind:     hidden_global_offset_x
      - .offset:         160
        .size:           8
        .value_kind:     hidden_global_offset_y
      - .offset:         168
        .size:           8
        .value_kind:     hidden_global_offset_z
      - .offset:         176
        .size:           2
        .value_kind:     hidden_grid_dims
    .group_segment_fixed_size: 4800
    .kernarg_segment_align: 8
    .kernarg_segment_size: 368
    .language:       OpenCL C
    .language_version:
      - 2
      - 0
    .max_flat_workgroup_size: 256
    .name:           _ZL26rocblas_hemvn_kernel_lowerILb0ELi64ELi4ELi33ELi32ELi16EifPKPKfPfEviT6_lT7_lT5_lS6_lS7_lS5_lT8_i
    .private_segment_fixed_size: 0
    .sgpr_count:     50
    .sgpr_spill_count: 0
    .symbol:         _ZL26rocblas_hemvn_kernel_lowerILb0ELi64ELi4ELi33ELi32ELi16EifPKPKfPfEviT6_lT7_lT5_lS6_lS7_lS5_lT8_i.kd
    .uniform_work_group_size: 1
    .uses_dynamic_stack: false
    .vgpr_count:     81
    .vgpr_spill_count: 0
    .wavefront_size: 64
  - .args:
      - .offset:         0
        .size:           4
        .value_kind:     by_value
      - .offset:         4
        .size:           4
        .value_kind:     by_value
      - .offset:         8
        .size:           8
        .value_kind:     by_value
      - .offset:         16
        .size:           4
        .value_kind:     by_value
      - .offset:         24
        .size:           8
        .value_kind:     by_value
      - .actual_access:  read_only
        .address_space:  global
        .offset:         32
        .size:           8
        .value_kind:     global_buffer
      - .offset:         40
        .size:           8
        .value_kind:     by_value
      - .offset:         48
        .size:           4
        .value_kind:     by_value
      - .offset:         56
        .size:           8
        .value_kind:     by_value
      - .actual_access:  read_only
        .address_space:  global
        .offset:         64
        .size:           8
        .value_kind:     global_buffer
      - .offset:         72
        .size:           4
        .value_kind:     by_value
      - .offset:         80
        .size:           4
        .value_kind:     hidden_block_count_x
      - .offset:         84
        .size:           4
        .value_kind:     hidden_block_count_y
      - .offset:         88
        .size:           4
        .value_kind:     hidden_block_count_z
      - .offset:         92
        .size:           2
        .value_kind:     hidden_group_size_x
      - .offset:         94
        .size:           2
        .value_kind:     hidden_group_size_y
      - .offset:         96
        .size:           2
        .value_kind:     hidden_group_size_z
      - .offset:         98
        .size:           2
        .value_kind:     hidden_remainder_x
      - .offset:         100
        .size:           2
        .value_kind:     hidden_remainder_y
      - .offset:         102
        .size:           2
        .value_kind:     hidden_remainder_z
      - .offset:         120
        .size:           8
        .value_kind:     hidden_global_offset_x
      - .offset:         128
        .size:           8
        .value_kind:     hidden_global_offset_y
      - .offset:         136
        .size:           8
        .value_kind:     hidden_global_offset_z
      - .offset:         144
        .size:           2
        .value_kind:     hidden_grid_dims
    .group_segment_fixed_size: 0
    .kernarg_segment_align: 8
    .kernarg_segment_size: 336
    .language:       OpenCL C
    .language_version:
      - 2
      - 0
    .max_flat_workgroup_size: 64
    .name:           _ZL36rocblas_hemvn_kernel_lower_block_sumILi64EifPKPffEviT1_lS3_lT2_lT0_lPT3_i
    .private_segment_fixed_size: 0
    .sgpr_count:     24
    .sgpr_spill_count: 0
    .symbol:         _ZL36rocblas_hemvn_kernel_lower_block_sumILi64EifPKPffEviT1_lS3_lT2_lT0_lPT3_i.kd
    .uniform_work_group_size: 1
    .uses_dynamic_stack: false
    .vgpr_count:     6
    .vgpr_spill_count: 0
    .wavefront_size: 64
  - .args:
      - .offset:         0
        .size:           1
        .value_kind:     by_value
      - .offset:         4
        .size:           4
        .value_kind:     by_value
      - .offset:         8
        .size:           8
        .value_kind:     by_value
      - .offset:         16
        .size:           8
        .value_kind:     by_value
      - .address_space:  global
        .offset:         24
        .size:           8
        .value_kind:     global_buffer
      - .offset:         32
        .size:           8
        .value_kind:     by_value
      - .offset:         40
        .size:           8
        .value_kind:     by_value
      - .offset:         48
        .size:           8
        .value_kind:     by_value
      - .address_space:  global
        .offset:         56
        .size:           8
        .value_kind:     global_buffer
      - .offset:         64
        .size:           8
        .value_kind:     by_value
      - .offset:         72
        .size:           8
        .value_kind:     by_value
      - .offset:         80
        .size:           8
        .value_kind:     by_value
      - .offset:         88
        .size:           8
        .value_kind:     by_value
      - .offset:         96
        .size:           8
        .value_kind:     by_value
      - .actual_access:  read_only
        .address_space:  global
        .offset:         104
        .size:           8
        .value_kind:     global_buffer
      - .offset:         112
        .size:           8
        .value_kind:     by_value
      - .offset:         120
        .size:           8
        .value_kind:     by_value
      - .offset:         128
        .size:           8
        .value_kind:     by_value
      - .offset:         136
        .size:           4
        .value_kind:     by_value
    .group_segment_fixed_size: 10496
    .kernarg_segment_align: 8
    .kernarg_segment_size: 140
    .language:       OpenCL C
    .language_version:
      - 2
      - 0
    .max_flat_workgroup_size: 128
    .name:           _ZL50rocblas_symv_kernel_upper_double_buffered_diagonalILi32ELi4E24rocblas_internal_val_ptrIdEPKPKdPKPdEvbiT1_lT2_lllSA_lllS9_lT3_llli
    .private_segment_fixed_size: 0
    .sgpr_count:     28
    .sgpr_spill_count: 0
    .symbol:         _ZL50rocblas_symv_kernel_upper_double_buffered_diagonalILi32ELi4E24rocblas_internal_val_ptrIdEPKPKdPKPdEvbiT1_lT2_lllSA_lllS9_lT3_llli.kd
    .uniform_work_group_size: 1
    .uses_dynamic_stack: false
    .vgpr_count:     29
    .vgpr_spill_count: 0
    .wavefront_size: 64
  - .args:
      - .offset:         0
        .size:           1
        .value_kind:     by_value
      - .offset:         4
        .size:           4
        .value_kind:     by_value
      - .offset:         8
        .size:           8
        .value_kind:     by_value
      - .offset:         16
        .size:           8
        .value_kind:     by_value
      - .address_space:  global
        .offset:         24
        .size:           8
        .value_kind:     global_buffer
      - .offset:         32
        .size:           8
        .value_kind:     by_value
      - .offset:         40
        .size:           8
        .value_kind:     by_value
      - .offset:         48
        .size:           8
        .value_kind:     by_value
      - .address_space:  global
        .offset:         56
        .size:           8
        .value_kind:     global_buffer
      - .offset:         64
        .size:           8
        .value_kind:     by_value
      - .offset:         72
        .size:           8
        .value_kind:     by_value
      - .offset:         80
        .size:           8
        .value_kind:     by_value
      - .actual_access:  read_only
        .address_space:  global
        .offset:         88
        .size:           8
        .value_kind:     global_buffer
      - .offset:         96
        .size:           8
        .value_kind:     by_value
      - .offset:         104
        .size:           8
        .value_kind:     by_value
      - .offset:         112
        .size:           8
        .value_kind:     by_value
      - .offset:         120
        .size:           4
        .value_kind:     by_value
      - .offset:         128
        .size:           4
        .value_kind:     hidden_block_count_x
      - .offset:         132
        .size:           4
        .value_kind:     hidden_block_count_y
      - .offset:         136
        .size:           4
        .value_kind:     hidden_block_count_z
      - .offset:         140
        .size:           2
        .value_kind:     hidden_group_size_x
      - .offset:         142
        .size:           2
        .value_kind:     hidden_group_size_y
      - .offset:         144
        .size:           2
        .value_kind:     hidden_group_size_z
      - .offset:         146
        .size:           2
        .value_kind:     hidden_remainder_x
      - .offset:         148
        .size:           2
        .value_kind:     hidden_remainder_y
      - .offset:         150
        .size:           2
        .value_kind:     hidden_remainder_z
      - .offset:         168
        .size:           8
        .value_kind:     hidden_global_offset_x
      - .offset:         176
        .size:           8
        .value_kind:     hidden_global_offset_y
      - .offset:         184
        .size:           8
        .value_kind:     hidden_global_offset_z
      - .offset:         192
        .size:           2
        .value_kind:     hidden_grid_dims
    .group_segment_fixed_size: 6400
    .kernarg_segment_align: 8
    .kernarg_segment_size: 384
    .language:       OpenCL C
    .language_version:
      - 2
      - 0
    .max_flat_workgroup_size: 128
    .name:           _ZL54rocblas_symv_kernel_upper_double_buffered_non_diagonalILi32ELi4ELi4E24rocblas_internal_val_ptrIdEPKPKdPKPdEvbiT2_lT3_lllSA_lllT4_llli
    .private_segment_fixed_size: 0
    .sgpr_count:     32
    .sgpr_spill_count: 0
    .symbol:         _ZL54rocblas_symv_kernel_upper_double_buffered_non_diagonalILi32ELi4ELi4E24rocblas_internal_val_ptrIdEPKPKdPKPdEvbiT2_lT3_lllSA_lllT4_llli.kd
    .uniform_work_group_size: 1
    .uses_dynamic_stack: false
    .vgpr_count:     71
    .vgpr_spill_count: 0
    .wavefront_size: 64
  - .args:
      - .offset:         0
        .size:           1
        .value_kind:     by_value
      - .offset:         4
        .size:           4
        .value_kind:     by_value
      - .offset:         8
        .size:           8
        .value_kind:     by_value
      - .offset:         16
        .size:           8
        .value_kind:     by_value
      - .address_space:  global
        .offset:         24
        .size:           8
        .value_kind:     global_buffer
      - .offset:         32
        .size:           8
        .value_kind:     by_value
      - .offset:         40
        .size:           8
        .value_kind:     by_value
      - .offset:         48
        .size:           8
        .value_kind:     by_value
      - .address_space:  global
        .offset:         56
        .size:           8
        .value_kind:     global_buffer
      - .offset:         64
        .size:           8
        .value_kind:     by_value
      - .offset:         72
        .size:           8
        .value_kind:     by_value
      - .offset:         80
        .size:           8
        .value_kind:     by_value
      - .offset:         88
        .size:           8
        .value_kind:     by_value
      - .offset:         96
        .size:           8
        .value_kind:     by_value
      - .actual_access:  read_only
        .address_space:  global
        .offset:         104
        .size:           8
        .value_kind:     global_buffer
      - .offset:         112
        .size:           8
        .value_kind:     by_value
      - .offset:         120
        .size:           8
        .value_kind:     by_value
      - .offset:         128
        .size:           8
        .value_kind:     by_value
      - .offset:         136
        .size:           4
        .value_kind:     by_value
      - .offset:         140
        .size:           4
        .value_kind:     by_value
      - .offset:         144
        .size:           4
        .value_kind:     hidden_block_count_x
      - .offset:         148
        .size:           4
        .value_kind:     hidden_block_count_y
      - .offset:         152
        .size:           4
        .value_kind:     hidden_block_count_z
      - .offset:         156
        .size:           2
        .value_kind:     hidden_group_size_x
      - .offset:         158
        .size:           2
        .value_kind:     hidden_group_size_y
      - .offset:         160
        .size:           2
        .value_kind:     hidden_group_size_z
      - .offset:         162
        .size:           2
        .value_kind:     hidden_remainder_x
      - .offset:         164
        .size:           2
        .value_kind:     hidden_remainder_y
      - .offset:         166
        .size:           2
        .value_kind:     hidden_remainder_z
      - .offset:         184
        .size:           8
        .value_kind:     hidden_global_offset_x
      - .offset:         192
        .size:           8
        .value_kind:     hidden_global_offset_y
      - .offset:         200
        .size:           8
        .value_kind:     hidden_global_offset_z
      - .offset:         208
        .size:           2
        .value_kind:     hidden_grid_dims
    .group_segment_fixed_size: 12544
    .kernarg_segment_align: 8
    .kernarg_segment_size: 400
    .language:       OpenCL C
    .language_version:
      - 2
      - 0
    .max_flat_workgroup_size: 256
    .name:           _ZL58rocblas_symv_kernel_upper_double_buffered_diagonal_genericILi32ELi8E24rocblas_internal_val_ptrIdEPKPKdPKPdEvbiT1_lT2_lllSA_lllS9_lT3_lllii
    .private_segment_fixed_size: 0
    .sgpr_count:     28
    .sgpr_spill_count: 0
    .symbol:         _ZL58rocblas_symv_kernel_upper_double_buffered_diagonal_genericILi32ELi8E24rocblas_internal_val_ptrIdEPKPKdPKPdEvbiT1_lT2_lllSA_lllS9_lT3_lllii.kd
    .uniform_work_group_size: 1
    .uses_dynamic_stack: false
    .vgpr_count:     33
    .vgpr_spill_count: 0
    .wavefront_size: 64
  - .args:
      - .offset:         0
        .size:           1
        .value_kind:     by_value
      - .offset:         4
        .size:           4
        .value_kind:     by_value
      - .offset:         8
        .size:           8
        .value_kind:     by_value
      - .offset:         16
        .size:           8
        .value_kind:     by_value
      - .address_space:  global
        .offset:         24
        .size:           8
        .value_kind:     global_buffer
      - .offset:         32
        .size:           8
        .value_kind:     by_value
      - .offset:         40
        .size:           8
        .value_kind:     by_value
      - .offset:         48
        .size:           8
        .value_kind:     by_value
      - .address_space:  global
        .offset:         56
        .size:           8
        .value_kind:     global_buffer
      - .offset:         64
        .size:           8
        .value_kind:     by_value
      - .offset:         72
        .size:           8
        .value_kind:     by_value
      - .offset:         80
        .size:           8
        .value_kind:     by_value
      - .actual_access:  read_only
        .address_space:  global
        .offset:         88
        .size:           8
        .value_kind:     global_buffer
      - .offset:         96
        .size:           8
        .value_kind:     by_value
      - .offset:         104
        .size:           8
        .value_kind:     by_value
      - .offset:         112
        .size:           8
        .value_kind:     by_value
      - .offset:         120
        .size:           4
        .value_kind:     by_value
      - .offset:         124
        .size:           4
        .value_kind:     by_value
      - .offset:         128
        .size:           4
        .value_kind:     hidden_block_count_x
      - .offset:         132
        .size:           4
        .value_kind:     hidden_block_count_y
      - .offset:         136
        .size:           4
        .value_kind:     hidden_block_count_z
      - .offset:         140
        .size:           2
        .value_kind:     hidden_group_size_x
      - .offset:         142
        .size:           2
        .value_kind:     hidden_group_size_y
      - .offset:         144
        .size:           2
        .value_kind:     hidden_group_size_z
      - .offset:         146
        .size:           2
        .value_kind:     hidden_remainder_x
      - .offset:         148
        .size:           2
        .value_kind:     hidden_remainder_y
      - .offset:         150
        .size:           2
        .value_kind:     hidden_remainder_z
      - .offset:         168
        .size:           8
        .value_kind:     hidden_global_offset_x
      - .offset:         176
        .size:           8
        .value_kind:     hidden_global_offset_y
      - .offset:         184
        .size:           8
        .value_kind:     hidden_global_offset_z
      - .offset:         192
        .size:           2
        .value_kind:     hidden_grid_dims
    .group_segment_fixed_size: 8448
    .kernarg_segment_align: 8
    .kernarg_segment_size: 384
    .language:       OpenCL C
    .language_version:
      - 2
      - 0
    .max_flat_workgroup_size: 256
    .name:           _ZL62rocblas_symv_kernel_upper_double_buffered_non_diagonal_genericILi32ELi8ELi2ELi0E24rocblas_internal_val_ptrIdEPKPKdPKPdEvbiT3_lT4_lllSA_lllT5_lllii
    .private_segment_fixed_size: 0
    .sgpr_count:     40
    .sgpr_spill_count: 0
    .symbol:         _ZL62rocblas_symv_kernel_upper_double_buffered_non_diagonal_genericILi32ELi8ELi2ELi0E24rocblas_internal_val_ptrIdEPKPKdPKPdEvbiT3_lT4_lllSA_lllT5_lllii.kd
    .uniform_work_group_size: 1
    .uses_dynamic_stack: false
    .vgpr_count:     53
    .vgpr_spill_count: 0
    .wavefront_size: 64
  - .args:
      - .offset:         0
        .size:           1
        .value_kind:     by_value
      - .offset:         4
        .size:           4
        .value_kind:     by_value
      - .offset:         8
        .size:           8
        .value_kind:     by_value
      - .offset:         16
        .size:           8
        .value_kind:     by_value
      - .address_space:  global
        .offset:         24
        .size:           8
        .value_kind:     global_buffer
      - .offset:         32
        .size:           8
        .value_kind:     by_value
      - .offset:         40
        .size:           8
        .value_kind:     by_value
      - .offset:         48
        .size:           8
        .value_kind:     by_value
      - .address_space:  global
        .offset:         56
        .size:           8
        .value_kind:     global_buffer
      - .offset:         64
        .size:           8
        .value_kind:     by_value
      - .offset:         72
        .size:           8
        .value_kind:     by_value
      - .offset:         80
        .size:           8
        .value_kind:     by_value
      - .actual_access:  read_only
        .address_space:  global
        .offset:         88
        .size:           8
        .value_kind:     global_buffer
      - .offset:         96
        .size:           8
        .value_kind:     by_value
      - .offset:         104
        .size:           8
        .value_kind:     by_value
      - .offset:         112
        .size:           8
        .value_kind:     by_value
      - .offset:         120
        .size:           4
        .value_kind:     by_value
      - .offset:         124
        .size:           4
        .value_kind:     by_value
      - .offset:         128
        .size:           4
        .value_kind:     hidden_block_count_x
      - .offset:         132
        .size:           4
        .value_kind:     hidden_block_count_y
      - .offset:         136
        .size:           4
        .value_kind:     hidden_block_count_z
      - .offset:         140
        .size:           2
        .value_kind:     hidden_group_size_x
      - .offset:         142
        .size:           2
        .value_kind:     hidden_group_size_y
      - .offset:         144
        .size:           2
        .value_kind:     hidden_group_size_z
      - .offset:         146
        .size:           2
        .value_kind:     hidden_remainder_x
      - .offset:         148
        .size:           2
        .value_kind:     hidden_remainder_y
      - .offset:         150
        .size:           2
        .value_kind:     hidden_remainder_z
      - .offset:         168
        .size:           8
        .value_kind:     hidden_global_offset_x
      - .offset:         176
        .size:           8
        .value_kind:     hidden_global_offset_y
      - .offset:         184
        .size:           8
        .value_kind:     hidden_global_offset_z
      - .offset:         192
        .size:           2
        .value_kind:     hidden_grid_dims
    .group_segment_fixed_size: 8448
    .kernarg_segment_align: 8
    .kernarg_segment_size: 384
    .language:       OpenCL C
    .language_version:
      - 2
      - 0
    .max_flat_workgroup_size: 256
    .name:           _ZL62rocblas_symv_kernel_upper_double_buffered_non_diagonal_genericILi32ELi8ELi2ELi1E24rocblas_internal_val_ptrIdEPKPKdPKPdEvbiT3_lT4_lllSA_lllT5_lllii
    .private_segment_fixed_size: 0
    .sgpr_count:     42
    .sgpr_spill_count: 0
    .symbol:         _ZL62rocblas_symv_kernel_upper_double_buffered_non_diagonal_genericILi32ELi8ELi2ELi1E24rocblas_internal_val_ptrIdEPKPKdPKPdEvbiT3_lT4_lllSA_lllT5_lllii.kd
    .uniform_work_group_size: 1
    .uses_dynamic_stack: false
    .vgpr_count:     55
    .vgpr_spill_count: 0
    .wavefront_size: 64
  - .args:
      - .offset:         0
        .size:           4
        .value_kind:     by_value
      - .address_space:  global
        .offset:         8
        .size:           8
        .value_kind:     global_buffer
      - .offset:         16
        .size:           8
        .value_kind:     by_value
      - .address_space:  global
        .offset:         24
        .size:           8
        .value_kind:     global_buffer
      - .offset:         32
        .size:           8
        .value_kind:     by_value
      - .offset:         40
        .size:           8
        .value_kind:     by_value
      - .offset:         48
        .size:           8
        .value_kind:     by_value
      - .address_space:  global
        .offset:         56
        .size:           8
        .value_kind:     global_buffer
      - .offset:         64
        .size:           8
        .value_kind:     by_value
      - .offset:         72
        .size:           8
        .value_kind:     by_value
      - .offset:         80
        .size:           8
        .value_kind:     by_value
      - .address_space:  global
        .offset:         88
        .size:           8
        .value_kind:     global_buffer
      - .offset:         96
        .size:           8
        .value_kind:     by_value
      - .address_space:  global
        .offset:         104
        .size:           8
        .value_kind:     global_buffer
      - .offset:         112
        .size:           4
        .value_kind:     by_value
      - .offset:         120
        .size:           4
        .value_kind:     hidden_block_count_x
      - .offset:         124
        .size:           4
        .value_kind:     hidden_block_count_y
      - .offset:         128
        .size:           4
        .value_kind:     hidden_block_count_z
      - .offset:         132
        .size:           2
        .value_kind:     hidden_group_size_x
      - .offset:         134
        .size:           2
        .value_kind:     hidden_group_size_y
      - .offset:         136
        .size:           2
        .value_kind:     hidden_group_size_z
      - .offset:         138
        .size:           2
        .value_kind:     hidden_remainder_x
      - .offset:         140
        .size:           2
        .value_kind:     hidden_remainder_y
      - .offset:         142
        .size:           2
        .value_kind:     hidden_remainder_z
      - .offset:         160
        .size:           8
        .value_kind:     hidden_global_offset_x
      - .offset:         168
        .size:           8
        .value_kind:     hidden_global_offset_y
      - .offset:         176
        .size:           8
        .value_kind:     hidden_global_offset_z
      - .offset:         184
        .size:           2
        .value_kind:     hidden_grid_dims
    .group_segment_fixed_size: 9600
    .kernarg_segment_align: 8
    .kernarg_segment_size: 376
    .language:       OpenCL C
    .language_version:
      - 2
      - 0
    .max_flat_workgroup_size: 256
    .name:           _ZL26rocblas_hemvn_kernel_upperILb0ELi64ELi4ELi33ELi32ELi16ElPKdPKS1_PdEviT6_lT7_lT5_lS6_lS7_lS5_lT8_i
    .private_segment_fixed_size: 0
    .sgpr_count:     46
    .sgpr_spill_count: 0
    .symbol:         _ZL26rocblas_hemvn_kernel_upperILb0ELi64ELi4ELi33ELi32ELi16ElPKdPKS1_PdEviT6_lT7_lT5_lS6_lS7_lS5_lT8_i.kd
    .uniform_work_group_size: 1
    .uses_dynamic_stack: false
    .vgpr_count:     161
    .vgpr_spill_count: 0
    .wavefront_size: 64
  - .args:
      - .offset:         0
        .size:           4
        .value_kind:     by_value
      - .address_space:  global
        .offset:         8
        .size:           8
        .value_kind:     global_buffer
      - .offset:         16
        .size:           8
        .value_kind:     by_value
      - .address_space:  global
        .offset:         24
        .size:           8
        .value_kind:     global_buffer
      - .offset:         32
        .size:           8
        .value_kind:     by_value
      - .actual_access:  read_only
        .address_space:  global
        .offset:         40
        .size:           8
        .value_kind:     global_buffer
      - .offset:         48
        .size:           8
        .value_kind:     by_value
      - .offset:         56
        .size:           8
        .value_kind:     by_value
      - .offset:         64
        .size:           8
        .value_kind:     by_value
      - .address_space:  global
        .offset:         72
        .size:           8
        .value_kind:     global_buffer
      - .offset:         80
        .size:           4
        .value_kind:     by_value
      - .offset:         88
        .size:           4
        .value_kind:     hidden_block_count_x
      - .offset:         92
        .size:           4
        .value_kind:     hidden_block_count_y
      - .offset:         96
        .size:           4
        .value_kind:     hidden_block_count_z
      - .offset:         100
        .size:           2
        .value_kind:     hidden_group_size_x
      - .offset:         102
        .size:           2
        .value_kind:     hidden_group_size_y
      - .offset:         104
        .size:           2
        .value_kind:     hidden_group_size_z
      - .offset:         106
        .size:           2
        .value_kind:     hidden_remainder_x
      - .offset:         108
        .size:           2
        .value_kind:     hidden_remainder_y
      - .offset:         110
        .size:           2
        .value_kind:     hidden_remainder_z
      - .offset:         128
        .size:           8
        .value_kind:     hidden_global_offset_x
      - .offset:         136
        .size:           8
        .value_kind:     hidden_global_offset_y
      - .offset:         144
        .size:           8
        .value_kind:     hidden_global_offset_z
      - .offset:         152
        .size:           2
        .value_kind:     hidden_grid_dims
    .group_segment_fixed_size: 0
    .kernarg_segment_align: 8
    .kernarg_segment_size: 344
    .language:       OpenCL C
    .language_version:
      - 2
      - 0
    .max_flat_workgroup_size: 64
    .name:           _ZL36rocblas_hemvn_kernel_upper_block_sumILi64ElPKdPKPddEviT1_lS5_lT2_lT0_lPT3_i
    .private_segment_fixed_size: 0
    .sgpr_count:     28
    .sgpr_spill_count: 0
    .symbol:         _ZL36rocblas_hemvn_kernel_upper_block_sumILi64ElPKdPKPddEviT1_lS5_lT2_lT0_lPT3_i.kd
    .uniform_work_group_size: 1
    .uses_dynamic_stack: false
    .vgpr_count:     9
    .vgpr_spill_count: 0
    .wavefront_size: 64
  - .args:
      - .offset:         0
        .size:           4
        .value_kind:     by_value
      - .address_space:  global
        .offset:         8
        .size:           8
        .value_kind:     global_buffer
      - .offset:         16
        .size:           8
        .value_kind:     by_value
      - .address_space:  global
        .offset:         24
        .size:           8
        .value_kind:     global_buffer
      - .offset:         32
        .size:           8
        .value_kind:     by_value
      - .offset:         40
        .size:           4
        .value_kind:     by_value
      - .offset:         48
        .size:           8
        .value_kind:     by_value
      - .address_space:  global
        .offset:         56
        .size:           8
        .value_kind:     global_buffer
      - .offset:         64
        .size:           8
        .value_kind:     by_value
      - .offset:         72
        .size:           4
        .value_kind:     by_value
      - .offset:         80
        .size:           8
        .value_kind:     by_value
      - .address_space:  global
        .offset:         88
        .size:           8
        .value_kind:     global_buffer
      - .offset:         96
        .size:           8
        .value_kind:     by_value
      - .address_space:  global
        .offset:         104
        .size:           8
        .value_kind:     global_buffer
      - .offset:         112
        .size:           4
        .value_kind:     by_value
      - .offset:         120
        .size:           4
        .value_kind:     hidden_block_count_x
      - .offset:         124
        .size:           4
        .value_kind:     hidden_block_count_y
      - .offset:         128
        .size:           4
        .value_kind:     hidden_block_count_z
      - .offset:         132
        .size:           2
        .value_kind:     hidden_group_size_x
      - .offset:         134
        .size:           2
        .value_kind:     hidden_group_size_y
      - .offset:         136
        .size:           2
        .value_kind:     hidden_group_size_z
      - .offset:         138
        .size:           2
        .value_kind:     hidden_remainder_x
      - .offset:         140
        .size:           2
        .value_kind:     hidden_remainder_y
      - .offset:         142
        .size:           2
        .value_kind:     hidden_remainder_z
      - .offset:         160
        .size:           8
        .value_kind:     hidden_global_offset_x
      - .offset:         168
        .size:           8
        .value_kind:     hidden_global_offset_y
      - .offset:         176
        .size:           8
        .value_kind:     hidden_global_offset_z
      - .offset:         184
        .size:           2
        .value_kind:     hidden_grid_dims
    .group_segment_fixed_size: 9600
    .kernarg_segment_align: 8
    .kernarg_segment_size: 376
    .language:       OpenCL C
    .language_version:
      - 2
      - 0
    .max_flat_workgroup_size: 256
    .name:           _ZL26rocblas_hemvn_kernel_upperILb0ELi64ELi4ELi33ELi32ELi16EiPKdPKS1_PdEviT6_lT7_lT5_lS6_lS7_lS5_lT8_i
    .private_segment_fixed_size: 0
    .sgpr_count:     63
    .sgpr_spill_count: 0
    .symbol:         _ZL26rocblas_hemvn_kernel_upperILb0ELi64ELi4ELi33ELi32ELi16EiPKdPKS1_PdEviT6_lT7_lT5_lS6_lS7_lS5_lT8_i.kd
    .uniform_work_group_size: 1
    .uses_dynamic_stack: false
    .vgpr_count:     182
    .vgpr_spill_count: 0
    .wavefront_size: 64
  - .args:
      - .offset:         0
        .size:           4
        .value_kind:     by_value
      - .address_space:  global
        .offset:         8
        .size:           8
        .value_kind:     global_buffer
      - .offset:         16
        .size:           8
        .value_kind:     by_value
      - .address_space:  global
        .offset:         24
        .size:           8
        .value_kind:     global_buffer
      - .offset:         32
        .size:           8
        .value_kind:     by_value
      - .actual_access:  read_only
        .address_space:  global
        .offset:         40
        .size:           8
        .value_kind:     global_buffer
      - .offset:         48
        .size:           8
        .value_kind:     by_value
      - .offset:         56
        .size:           4
        .value_kind:     by_value
      - .offset:         64
        .size:           8
        .value_kind:     by_value
      - .address_space:  global
        .offset:         72
        .size:           8
        .value_kind:     global_buffer
      - .offset:         80
        .size:           4
        .value_kind:     by_value
      - .offset:         88
        .size:           4
        .value_kind:     hidden_block_count_x
      - .offset:         92
        .size:           4
        .value_kind:     hidden_block_count_y
      - .offset:         96
        .size:           4
        .value_kind:     hidden_block_count_z
      - .offset:         100
        .size:           2
        .value_kind:     hidden_group_size_x
      - .offset:         102
        .size:           2
        .value_kind:     hidden_group_size_y
      - .offset:         104
        .size:           2
        .value_kind:     hidden_group_size_z
      - .offset:         106
        .size:           2
        .value_kind:     hidden_remainder_x
      - .offset:         108
        .size:           2
        .value_kind:     hidden_remainder_y
      - .offset:         110
        .size:           2
        .value_kind:     hidden_remainder_z
      - .offset:         128
        .size:           8
        .value_kind:     hidden_global_offset_x
      - .offset:         136
        .size:           8
        .value_kind:     hidden_global_offset_y
      - .offset:         144
        .size:           8
        .value_kind:     hidden_global_offset_z
      - .offset:         152
        .size:           2
        .value_kind:     hidden_grid_dims
    .group_segment_fixed_size: 0
    .kernarg_segment_align: 8
    .kernarg_segment_size: 344
    .language:       OpenCL C
    .language_version:
      - 2
      - 0
    .max_flat_workgroup_size: 64
    .name:           _ZL36rocblas_hemvn_kernel_upper_block_sumILi64EiPKdPKPddEviT1_lS5_lT2_lT0_lPT3_i
    .private_segment_fixed_size: 0
    .sgpr_count:     28
    .sgpr_spill_count: 0
    .symbol:         _ZL36rocblas_hemvn_kernel_upper_block_sumILi64EiPKdPKPddEviT1_lS5_lT2_lT0_lPT3_i.kd
    .uniform_work_group_size: 1
    .uses_dynamic_stack: false
    .vgpr_count:     9
    .vgpr_spill_count: 0
    .wavefront_size: 64
  - .args:
      - .offset:         0
        .size:           4
        .value_kind:     by_value
      - .offset:         8
        .size:           8
        .value_kind:     by_value
      - .offset:         16
        .size:           8
        .value_kind:     by_value
      - .address_space:  global
        .offset:         24
        .size:           8
        .value_kind:     global_buffer
      - .offset:         32
        .size:           8
        .value_kind:     by_value
      - .offset:         40
        .size:           8
        .value_kind:     by_value
      - .offset:         48
        .size:           8
        .value_kind:     by_value
      - .address_space:  global
        .offset:         56
        .size:           8
        .value_kind:     global_buffer
      - .offset:         64
        .size:           8
        .value_kind:     by_value
      - .offset:         72
        .size:           8
        .value_kind:     by_value
      - .offset:         80
        .size:           8
        .value_kind:     by_value
      - .offset:         88
        .size:           8
        .value_kind:     by_value
      - .offset:         96
        .size:           8
        .value_kind:     by_value
      - .address_space:  global
        .offset:         104
        .size:           8
        .value_kind:     global_buffer
      - .offset:         112
        .size:           4
        .value_kind:     by_value
      - .offset:         120
        .size:           4
        .value_kind:     hidden_block_count_x
      - .offset:         124
        .size:           4
        .value_kind:     hidden_block_count_y
      - .offset:         128
        .size:           4
        .value_kind:     hidden_block_count_z
      - .offset:         132
        .size:           2
        .value_kind:     hidden_group_size_x
      - .offset:         134
        .size:           2
        .value_kind:     hidden_group_size_y
      - .offset:         136
        .size:           2
        .value_kind:     hidden_group_size_z
      - .offset:         138
        .size:           2
        .value_kind:     hidden_remainder_x
      - .offset:         140
        .size:           2
        .value_kind:     hidden_remainder_y
      - .offset:         142
        .size:           2
        .value_kind:     hidden_remainder_z
      - .offset:         160
        .size:           8
        .value_kind:     hidden_global_offset_x
      - .offset:         168
        .size:           8
        .value_kind:     hidden_global_offset_y
      - .offset:         176
        .size:           8
        .value_kind:     hidden_global_offset_z
      - .offset:         184
        .size:           2
        .value_kind:     hidden_grid_dims
    .group_segment_fixed_size: 9600
    .kernarg_segment_align: 8
    .kernarg_segment_size: 376
    .language:       OpenCL C
    .language_version:
      - 2
      - 0
    .max_flat_workgroup_size: 256
    .name:           _ZL26rocblas_hemvn_kernel_upperILb0ELi64ELi4ELi33ELi32ELi16EldPKPKdPdEviT6_lT7_lT5_lS6_lS7_lS5_lT8_i
    .private_segment_fixed_size: 0
    .sgpr_count:     46
    .sgpr_spill_count: 0
    .symbol:         _ZL26rocblas_hemvn_kernel_upperILb0ELi64ELi4ELi33ELi32ELi16EldPKPKdPdEviT6_lT7_lT5_lS6_lS7_lS5_lT8_i.kd
    .uniform_work_group_size: 1
    .uses_dynamic_stack: false
    .vgpr_count:     161
    .vgpr_spill_count: 0
    .wavefront_size: 64
  - .args:
      - .offset:         0
        .size:           4
        .value_kind:     by_value
      - .offset:         8
        .size:           8
        .value_kind:     by_value
      - .offset:         16
        .size:           8
        .value_kind:     by_value
      - .offset:         24
        .size:           8
        .value_kind:     by_value
      - .offset:         32
        .size:           8
        .value_kind:     by_value
      - .actual_access:  read_only
        .address_space:  global
        .offset:         40
        .size:           8
        .value_kind:     global_buffer
      - .offset:         48
        .size:           8
        .value_kind:     by_value
      - .offset:         56
        .size:           8
        .value_kind:     by_value
      - .offset:         64
        .size:           8
        .value_kind:     by_value
      - .address_space:  global
        .offset:         72
        .size:           8
        .value_kind:     global_buffer
      - .offset:         80
        .size:           4
        .value_kind:     by_value
      - .offset:         88
        .size:           4
        .value_kind:     hidden_block_count_x
      - .offset:         92
        .size:           4
        .value_kind:     hidden_block_count_y
      - .offset:         96
        .size:           4
        .value_kind:     hidden_block_count_z
      - .offset:         100
        .size:           2
        .value_kind:     hidden_group_size_x
      - .offset:         102
        .size:           2
        .value_kind:     hidden_group_size_y
      - .offset:         104
        .size:           2
        .value_kind:     hidden_group_size_z
      - .offset:         106
        .size:           2
        .value_kind:     hidden_remainder_x
      - .offset:         108
        .size:           2
        .value_kind:     hidden_remainder_y
      - .offset:         110
        .size:           2
        .value_kind:     hidden_remainder_z
      - .offset:         128
        .size:           8
        .value_kind:     hidden_global_offset_x
      - .offset:         136
        .size:           8
        .value_kind:     hidden_global_offset_y
      - .offset:         144
        .size:           8
        .value_kind:     hidden_global_offset_z
      - .offset:         152
        .size:           2
        .value_kind:     hidden_grid_dims
    .group_segment_fixed_size: 0
    .kernarg_segment_align: 8
    .kernarg_segment_size: 344
    .language:       OpenCL C
    .language_version:
      - 2
      - 0
    .max_flat_workgroup_size: 64
    .name:           _ZL36rocblas_hemvn_kernel_upper_block_sumILi64EldPKPddEviT1_lS3_lT2_lT0_lPT3_i
    .private_segment_fixed_size: 0
    .sgpr_count:     26
    .sgpr_spill_count: 0
    .symbol:         _ZL36rocblas_hemvn_kernel_upper_block_sumILi64EldPKPddEviT1_lS3_lT2_lT0_lPT3_i.kd
    .uniform_work_group_size: 1
    .uses_dynamic_stack: false
    .vgpr_count:     9
    .vgpr_spill_count: 0
    .wavefront_size: 64
  - .args:
      - .offset:         0
        .size:           4
        .value_kind:     by_value
      - .offset:         8
        .size:           8
        .value_kind:     by_value
      - .offset:         16
        .size:           8
        .value_kind:     by_value
      - .address_space:  global
        .offset:         24
        .size:           8
        .value_kind:     global_buffer
      - .offset:         32
        .size:           8
        .value_kind:     by_value
      - .offset:         40
        .size:           4
        .value_kind:     by_value
      - .offset:         48
        .size:           8
        .value_kind:     by_value
      - .address_space:  global
        .offset:         56
        .size:           8
        .value_kind:     global_buffer
      - .offset:         64
        .size:           8
        .value_kind:     by_value
      - .offset:         72
        .size:           4
        .value_kind:     by_value
      - .offset:         80
        .size:           8
        .value_kind:     by_value
      - .offset:         88
        .size:           8
        .value_kind:     by_value
      - .offset:         96
        .size:           8
        .value_kind:     by_value
      - .address_space:  global
        .offset:         104
        .size:           8
        .value_kind:     global_buffer
      - .offset:         112
        .size:           4
        .value_kind:     by_value
      - .offset:         120
        .size:           4
        .value_kind:     hidden_block_count_x
      - .offset:         124
        .size:           4
        .value_kind:     hidden_block_count_y
      - .offset:         128
        .size:           4
        .value_kind:     hidden_block_count_z
      - .offset:         132
        .size:           2
        .value_kind:     hidden_group_size_x
      - .offset:         134
        .size:           2
        .value_kind:     hidden_group_size_y
      - .offset:         136
        .size:           2
        .value_kind:     hidden_group_size_z
      - .offset:         138
        .size:           2
        .value_kind:     hidden_remainder_x
      - .offset:         140
        .size:           2
        .value_kind:     hidden_remainder_y
      - .offset:         142
        .size:           2
        .value_kind:     hidden_remainder_z
      - .offset:         160
        .size:           8
        .value_kind:     hidden_global_offset_x
      - .offset:         168
        .size:           8
        .value_kind:     hidden_global_offset_y
      - .offset:         176
        .size:           8
        .value_kind:     hidden_global_offset_z
      - .offset:         184
        .size:           2
        .value_kind:     hidden_grid_dims
    .group_segment_fixed_size: 9600
    .kernarg_segment_align: 8
    .kernarg_segment_size: 376
    .language:       OpenCL C
    .language_version:
      - 2
      - 0
    .max_flat_workgroup_size: 256
    .name:           _ZL26rocblas_hemvn_kernel_upperILb0ELi64ELi4ELi33ELi32ELi16EidPKPKdPdEviT6_lT7_lT5_lS6_lS7_lS5_lT8_i
    .private_segment_fixed_size: 0
    .sgpr_count:     63
    .sgpr_spill_count: 0
    .symbol:         _ZL26rocblas_hemvn_kernel_upperILb0ELi64ELi4ELi33ELi32ELi16EidPKPKdPdEviT6_lT7_lT5_lS6_lS7_lS5_lT8_i.kd
    .uniform_work_group_size: 1
    .uses_dynamic_stack: false
    .vgpr_count:     182
    .vgpr_spill_count: 0
    .wavefront_size: 64
  - .args:
      - .offset:         0
        .size:           4
        .value_kind:     by_value
      - .offset:         8
        .size:           8
        .value_kind:     by_value
      - .offset:         16
        .size:           8
        .value_kind:     by_value
      - .offset:         24
        .size:           8
        .value_kind:     by_value
      - .offset:         32
        .size:           8
        .value_kind:     by_value
      - .actual_access:  read_only
        .address_space:  global
        .offset:         40
        .size:           8
        .value_kind:     global_buffer
      - .offset:         48
        .size:           8
        .value_kind:     by_value
      - .offset:         56
        .size:           4
        .value_kind:     by_value
      - .offset:         64
        .size:           8
        .value_kind:     by_value
      - .address_space:  global
        .offset:         72
        .size:           8
        .value_kind:     global_buffer
      - .offset:         80
        .size:           4
        .value_kind:     by_value
      - .offset:         88
        .size:           4
        .value_kind:     hidden_block_count_x
      - .offset:         92
        .size:           4
        .value_kind:     hidden_block_count_y
      - .offset:         96
        .size:           4
        .value_kind:     hidden_block_count_z
      - .offset:         100
        .size:           2
        .value_kind:     hidden_group_size_x
      - .offset:         102
        .size:           2
        .value_kind:     hidden_group_size_y
      - .offset:         104
        .size:           2
        .value_kind:     hidden_group_size_z
      - .offset:         106
        .size:           2
        .value_kind:     hidden_remainder_x
      - .offset:         108
        .size:           2
        .value_kind:     hidden_remainder_y
      - .offset:         110
        .size:           2
        .value_kind:     hidden_remainder_z
      - .offset:         128
        .size:           8
        .value_kind:     hidden_global_offset_x
      - .offset:         136
        .size:           8
        .value_kind:     hidden_global_offset_y
      - .offset:         144
        .size:           8
        .value_kind:     hidden_global_offset_z
      - .offset:         152
        .size:           2
        .value_kind:     hidden_grid_dims
    .group_segment_fixed_size: 0
    .kernarg_segment_align: 8
    .kernarg_segment_size: 344
    .language:       OpenCL C
    .language_version:
      - 2
      - 0
    .max_flat_workgroup_size: 64
    .name:           _ZL36rocblas_hemvn_kernel_upper_block_sumILi64EidPKPddEviT1_lS3_lT2_lT0_lPT3_i
    .private_segment_fixed_size: 0
    .sgpr_count:     25
    .sgpr_spill_count: 0
    .symbol:         _ZL36rocblas_hemvn_kernel_upper_block_sumILi64EidPKPddEviT1_lS3_lT2_lT0_lPT3_i.kd
    .uniform_work_group_size: 1
    .uses_dynamic_stack: false
    .vgpr_count:     9
    .vgpr_spill_count: 0
    .wavefront_size: 64
  - .args:
      - .offset:         0
        .size:           1
        .value_kind:     by_value
      - .offset:         4
        .size:           4
        .value_kind:     by_value
      - .offset:         8
        .size:           8
        .value_kind:     by_value
      - .offset:         16
        .size:           8
        .value_kind:     by_value
      - .address_space:  global
        .offset:         24
        .size:           8
        .value_kind:     global_buffer
      - .offset:         32
        .size:           8
        .value_kind:     by_value
      - .offset:         40
        .size:           8
        .value_kind:     by_value
      - .offset:         48
        .size:           8
        .value_kind:     by_value
      - .address_space:  global
        .offset:         56
        .size:           8
        .value_kind:     global_buffer
      - .offset:         64
        .size:           8
        .value_kind:     by_value
      - .offset:         72
        .size:           8
        .value_kind:     by_value
      - .offset:         80
        .size:           8
        .value_kind:     by_value
      - .offset:         88
        .size:           8
        .value_kind:     by_value
      - .offset:         96
        .size:           8
        .value_kind:     by_value
      - .actual_access:  read_only
        .address_space:  global
        .offset:         104
        .size:           8
        .value_kind:     global_buffer
      - .offset:         112
        .size:           8
        .value_kind:     by_value
      - .offset:         120
        .size:           8
        .value_kind:     by_value
      - .offset:         128
        .size:           8
        .value_kind:     by_value
      - .offset:         136
        .size:           4
        .value_kind:     by_value
    .group_segment_fixed_size: 10496
    .kernarg_segment_align: 8
    .kernarg_segment_size: 140
    .language:       OpenCL C
    .language_version:
      - 2
      - 0
    .max_flat_workgroup_size: 128
    .name:           _ZL50rocblas_symv_kernel_lower_double_buffered_diagonalILi32ELi4E24rocblas_internal_val_ptrIdEPKPKdPKPdEvbiT1_lT2_lllSA_lllS9_lT3_llli
    .private_segment_fixed_size: 0
    .sgpr_count:     28
    .sgpr_spill_count: 0
    .symbol:         _ZL50rocblas_symv_kernel_lower_double_buffered_diagonalILi32ELi4E24rocblas_internal_val_ptrIdEPKPKdPKPdEvbiT1_lT2_lllSA_lllS9_lT3_llli.kd
    .uniform_work_group_size: 1
    .uses_dynamic_stack: false
    .vgpr_count:     31
    .vgpr_spill_count: 0
    .wavefront_size: 64
  - .args:
      - .offset:         0
        .size:           1
        .value_kind:     by_value
      - .offset:         4
        .size:           4
        .value_kind:     by_value
      - .offset:         8
        .size:           8
        .value_kind:     by_value
      - .offset:         16
        .size:           8
        .value_kind:     by_value
      - .address_space:  global
        .offset:         24
        .size:           8
        .value_kind:     global_buffer
      - .offset:         32
        .size:           8
        .value_kind:     by_value
      - .offset:         40
        .size:           8
        .value_kind:     by_value
      - .offset:         48
        .size:           8
        .value_kind:     by_value
      - .address_space:  global
        .offset:         56
        .size:           8
        .value_kind:     global_buffer
      - .offset:         64
        .size:           8
        .value_kind:     by_value
      - .offset:         72
        .size:           8
        .value_kind:     by_value
      - .offset:         80
        .size:           8
        .value_kind:     by_value
      - .actual_access:  read_only
        .address_space:  global
        .offset:         88
        .size:           8
        .value_kind:     global_buffer
      - .offset:         96
        .size:           8
        .value_kind:     by_value
      - .offset:         104
        .size:           8
        .value_kind:     by_value
      - .offset:         112
        .size:           8
        .value_kind:     by_value
      - .offset:         120
        .size:           4
        .value_kind:     by_value
      - .offset:         128
        .size:           4
        .value_kind:     hidden_block_count_x
      - .offset:         132
        .size:           4
        .value_kind:     hidden_block_count_y
      - .offset:         136
        .size:           4
        .value_kind:     hidden_block_count_z
      - .offset:         140
        .size:           2
        .value_kind:     hidden_group_size_x
      - .offset:         142
        .size:           2
        .value_kind:     hidden_group_size_y
      - .offset:         144
        .size:           2
        .value_kind:     hidden_group_size_z
      - .offset:         146
        .size:           2
        .value_kind:     hidden_remainder_x
      - .offset:         148
        .size:           2
        .value_kind:     hidden_remainder_y
      - .offset:         150
        .size:           2
        .value_kind:     hidden_remainder_z
      - .offset:         168
        .size:           8
        .value_kind:     hidden_global_offset_x
      - .offset:         176
        .size:           8
        .value_kind:     hidden_global_offset_y
      - .offset:         184
        .size:           8
        .value_kind:     hidden_global_offset_z
      - .offset:         192
        .size:           2
        .value_kind:     hidden_grid_dims
    .group_segment_fixed_size: 6400
    .kernarg_segment_align: 8
    .kernarg_segment_size: 384
    .language:       OpenCL C
    .language_version:
      - 2
      - 0
    .max_flat_workgroup_size: 128
    .name:           _ZL54rocblas_symv_kernel_lower_double_buffered_non_diagonalILi32ELi4ELi4E24rocblas_internal_val_ptrIdEPKPKdPKPdEvbiT2_lT3_lllSA_lllT4_llli
    .private_segment_fixed_size: 0
    .sgpr_count:     32
    .sgpr_spill_count: 0
    .symbol:         _ZL54rocblas_symv_kernel_lower_double_buffered_non_diagonalILi32ELi4ELi4E24rocblas_internal_val_ptrIdEPKPKdPKPdEvbiT2_lT3_lllSA_lllT4_llli.kd
    .uniform_work_group_size: 1
    .uses_dynamic_stack: false
    .vgpr_count:     69
    .vgpr_spill_count: 0
    .wavefront_size: 64
  - .args:
      - .offset:         0
        .size:           1
        .value_kind:     by_value
      - .offset:         4
        .size:           4
        .value_kind:     by_value
      - .offset:         8
        .size:           8
        .value_kind:     by_value
      - .offset:         16
        .size:           8
        .value_kind:     by_value
      - .address_space:  global
        .offset:         24
        .size:           8
        .value_kind:     global_buffer
      - .offset:         32
        .size:           8
        .value_kind:     by_value
      - .offset:         40
        .size:           8
        .value_kind:     by_value
      - .offset:         48
        .size:           8
        .value_kind:     by_value
      - .address_space:  global
        .offset:         56
        .size:           8
        .value_kind:     global_buffer
      - .offset:         64
        .size:           8
        .value_kind:     by_value
      - .offset:         72
        .size:           8
        .value_kind:     by_value
      - .offset:         80
        .size:           8
        .value_kind:     by_value
      - .offset:         88
        .size:           8
        .value_kind:     by_value
      - .offset:         96
        .size:           8
        .value_kind:     by_value
      - .actual_access:  read_only
        .address_space:  global
        .offset:         104
        .size:           8
        .value_kind:     global_buffer
      - .offset:         112
        .size:           8
        .value_kind:     by_value
      - .offset:         120
        .size:           8
        .value_kind:     by_value
      - .offset:         128
        .size:           8
        .value_kind:     by_value
      - .offset:         136
        .size:           4
        .value_kind:     by_value
      - .offset:         140
        .size:           4
        .value_kind:     by_value
      - .offset:         144
        .size:           4
        .value_kind:     hidden_block_count_x
      - .offset:         148
        .size:           4
        .value_kind:     hidden_block_count_y
      - .offset:         152
        .size:           4
        .value_kind:     hidden_block_count_z
      - .offset:         156
        .size:           2
        .value_kind:     hidden_group_size_x
      - .offset:         158
        .size:           2
        .value_kind:     hidden_group_size_y
      - .offset:         160
        .size:           2
        .value_kind:     hidden_group_size_z
      - .offset:         162
        .size:           2
        .value_kind:     hidden_remainder_x
      - .offset:         164
        .size:           2
        .value_kind:     hidden_remainder_y
      - .offset:         166
        .size:           2
        .value_kind:     hidden_remainder_z
      - .offset:         184
        .size:           8
        .value_kind:     hidden_global_offset_x
      - .offset:         192
        .size:           8
        .value_kind:     hidden_global_offset_y
      - .offset:         200
        .size:           8
        .value_kind:     hidden_global_offset_z
      - .offset:         208
        .size:           2
        .value_kind:     hidden_grid_dims
    .group_segment_fixed_size: 10496
    .kernarg_segment_align: 8
    .kernarg_segment_size: 400
    .language:       OpenCL C
    .language_version:
      - 2
      - 0
    .max_flat_workgroup_size: 128
    .name:           _ZL58rocblas_symv_kernel_lower_double_buffered_diagonal_genericILi32ELi4E24rocblas_internal_val_ptrIdEPKPKdPKPdEvbiT1_lT2_lllSA_lllS9_lT3_lllii
    .private_segment_fixed_size: 0
    .sgpr_count:     28
    .sgpr_spill_count: 0
    .symbol:         _ZL58rocblas_symv_kernel_lower_double_buffered_diagonal_genericILi32ELi4E24rocblas_internal_val_ptrIdEPKPKdPKPdEvbiT1_lT2_lllSA_lllS9_lT3_lllii.kd
    .uniform_work_group_size: 1
    .uses_dynamic_stack: false
    .vgpr_count:     44
    .vgpr_spill_count: 0
    .wavefront_size: 64
  - .args:
      - .offset:         0
        .size:           1
        .value_kind:     by_value
      - .offset:         4
        .size:           4
        .value_kind:     by_value
      - .offset:         8
        .size:           8
        .value_kind:     by_value
      - .offset:         16
        .size:           8
        .value_kind:     by_value
      - .address_space:  global
        .offset:         24
        .size:           8
        .value_kind:     global_buffer
      - .offset:         32
        .size:           8
        .value_kind:     by_value
      - .offset:         40
        .size:           8
        .value_kind:     by_value
      - .offset:         48
        .size:           8
        .value_kind:     by_value
      - .address_space:  global
        .offset:         56
        .size:           8
        .value_kind:     global_buffer
      - .offset:         64
        .size:           8
        .value_kind:     by_value
      - .offset:         72
        .size:           8
        .value_kind:     by_value
      - .offset:         80
        .size:           8
        .value_kind:     by_value
      - .actual_access:  read_only
        .address_space:  global
        .offset:         88
        .size:           8
        .value_kind:     global_buffer
      - .offset:         96
        .size:           8
        .value_kind:     by_value
      - .offset:         104
        .size:           8
        .value_kind:     by_value
      - .offset:         112
        .size:           8
        .value_kind:     by_value
      - .offset:         120
        .size:           4
        .value_kind:     by_value
      - .offset:         124
        .size:           4
        .value_kind:     by_value
      - .offset:         128
        .size:           4
        .value_kind:     hidden_block_count_x
      - .offset:         132
        .size:           4
        .value_kind:     hidden_block_count_y
      - .offset:         136
        .size:           4
        .value_kind:     hidden_block_count_z
      - .offset:         140
        .size:           2
        .value_kind:     hidden_group_size_x
      - .offset:         142
        .size:           2
        .value_kind:     hidden_group_size_y
      - .offset:         144
        .size:           2
        .value_kind:     hidden_group_size_z
      - .offset:         146
        .size:           2
        .value_kind:     hidden_remainder_x
      - .offset:         148
        .size:           2
        .value_kind:     hidden_remainder_y
      - .offset:         150
        .size:           2
        .value_kind:     hidden_remainder_z
      - .offset:         168
        .size:           8
        .value_kind:     hidden_global_offset_x
      - .offset:         176
        .size:           8
        .value_kind:     hidden_global_offset_y
      - .offset:         184
        .size:           8
        .value_kind:     hidden_global_offset_z
      - .offset:         192
        .size:           2
        .value_kind:     hidden_grid_dims
    .group_segment_fixed_size: 6400
    .kernarg_segment_align: 8
    .kernarg_segment_size: 384
    .language:       OpenCL C
    .language_version:
      - 2
      - 0
    .max_flat_workgroup_size: 128
    .name:           _ZL62rocblas_symv_kernel_lower_double_buffered_non_diagonal_genericILi32ELi4ELi4E24rocblas_internal_val_ptrIdEPKPKdPKPdEvbiT2_lT3_lllSA_lllT4_lllii
    .private_segment_fixed_size: 0
    .sgpr_count:     44
    .sgpr_spill_count: 0
    .symbol:         _ZL62rocblas_symv_kernel_lower_double_buffered_non_diagonal_genericILi32ELi4ELi4E24rocblas_internal_val_ptrIdEPKPKdPKPdEvbiT2_lT3_lllSA_lllT4_lllii.kd
    .uniform_work_group_size: 1
    .uses_dynamic_stack: false
    .vgpr_count:     84
    .vgpr_spill_count: 0
    .wavefront_size: 64
  - .args:
      - .offset:         0
        .size:           4
        .value_kind:     by_value
      - .address_space:  global
        .offset:         8
        .size:           8
        .value_kind:     global_buffer
      - .offset:         16
        .size:           8
        .value_kind:     by_value
      - .address_space:  global
        .offset:         24
        .size:           8
        .value_kind:     global_buffer
      - .offset:         32
        .size:           8
        .value_kind:     by_value
      - .offset:         40
        .size:           8
        .value_kind:     by_value
      - .offset:         48
        .size:           8
        .value_kind:     by_value
      - .address_space:  global
        .offset:         56
        .size:           8
        .value_kind:     global_buffer
      - .offset:         64
        .size:           8
        .value_kind:     by_value
      - .offset:         72
        .size:           8
        .value_kind:     by_value
      - .offset:         80
        .size:           8
        .value_kind:     by_value
      - .address_space:  global
        .offset:         88
        .size:           8
        .value_kind:     global_buffer
      - .offset:         96
        .size:           8
        .value_kind:     by_value
      - .address_space:  global
        .offset:         104
        .size:           8
        .value_kind:     global_buffer
      - .offset:         112
        .size:           4
        .value_kind:     by_value
      - .offset:         120
        .size:           4
        .value_kind:     hidden_block_count_x
      - .offset:         124
        .size:           4
        .value_kind:     hidden_block_count_y
      - .offset:         128
        .size:           4
        .value_kind:     hidden_block_count_z
      - .offset:         132
        .size:           2
        .value_kind:     hidden_group_size_x
      - .offset:         134
        .size:           2
        .value_kind:     hidden_group_size_y
      - .offset:         136
        .size:           2
        .value_kind:     hidden_group_size_z
      - .offset:         138
        .size:           2
        .value_kind:     hidden_remainder_x
      - .offset:         140
        .size:           2
        .value_kind:     hidden_remainder_y
      - .offset:         142
        .size:           2
        .value_kind:     hidden_remainder_z
      - .offset:         160
        .size:           8
        .value_kind:     hidden_global_offset_x
      - .offset:         168
        .size:           8
        .value_kind:     hidden_global_offset_y
      - .offset:         176
        .size:           8
        .value_kind:     hidden_global_offset_z
      - .offset:         184
        .size:           2
        .value_kind:     hidden_grid_dims
    .group_segment_fixed_size: 9600
    .kernarg_segment_align: 8
    .kernarg_segment_size: 376
    .language:       OpenCL C
    .language_version:
      - 2
      - 0
    .max_flat_workgroup_size: 256
    .name:           _ZL26rocblas_hemvn_kernel_lowerILb0ELi64ELi4ELi33ELi32ELi16ElPKdPKS1_PdEviT6_lT7_lT5_lS6_lS7_lS5_lT8_i
    .private_segment_fixed_size: 0
    .sgpr_count:     50
    .sgpr_spill_count: 0
    .symbol:         _ZL26rocblas_hemvn_kernel_lowerILb0ELi64ELi4ELi33ELi32ELi16ElPKdPKS1_PdEviT6_lT7_lT5_lS6_lS7_lS5_lT8_i.kd
    .uniform_work_group_size: 1
    .uses_dynamic_stack: false
    .vgpr_count:     115
    .vgpr_spill_count: 0
    .wavefront_size: 64
  - .args:
      - .offset:         0
        .size:           4
        .value_kind:     by_value
      - .address_space:  global
        .offset:         8
        .size:           8
        .value_kind:     global_buffer
      - .offset:         16
        .size:           8
        .value_kind:     by_value
      - .address_space:  global
        .offset:         24
        .size:           8
        .value_kind:     global_buffer
      - .offset:         32
        .size:           8
        .value_kind:     by_value
      - .actual_access:  read_only
        .address_space:  global
        .offset:         40
        .size:           8
        .value_kind:     global_buffer
      - .offset:         48
        .size:           8
        .value_kind:     by_value
      - .offset:         56
        .size:           8
        .value_kind:     by_value
      - .offset:         64
        .size:           8
        .value_kind:     by_value
      - .actual_access:  read_only
        .address_space:  global
        .offset:         72
        .size:           8
        .value_kind:     global_buffer
      - .offset:         80
        .size:           4
        .value_kind:     by_value
      - .offset:         88
        .size:           4
        .value_kind:     hidden_block_count_x
      - .offset:         92
        .size:           4
        .value_kind:     hidden_block_count_y
      - .offset:         96
        .size:           4
        .value_kind:     hidden_block_count_z
      - .offset:         100
        .size:           2
        .value_kind:     hidden_group_size_x
      - .offset:         102
        .size:           2
        .value_kind:     hidden_group_size_y
      - .offset:         104
        .size:           2
        .value_kind:     hidden_group_size_z
      - .offset:         106
        .size:           2
        .value_kind:     hidden_remainder_x
      - .offset:         108
        .size:           2
        .value_kind:     hidden_remainder_y
      - .offset:         110
        .size:           2
        .value_kind:     hidden_remainder_z
      - .offset:         128
        .size:           8
        .value_kind:     hidden_global_offset_x
      - .offset:         136
        .size:           8
        .value_kind:     hidden_global_offset_y
      - .offset:         144
        .size:           8
        .value_kind:     hidden_global_offset_z
      - .offset:         152
        .size:           2
        .value_kind:     hidden_grid_dims
    .group_segment_fixed_size: 0
    .kernarg_segment_align: 8
    .kernarg_segment_size: 344
    .language:       OpenCL C
    .language_version:
      - 2
      - 0
    .max_flat_workgroup_size: 64
    .name:           _ZL36rocblas_hemvn_kernel_lower_block_sumILi64ElPKdPKPddEviT1_lS5_lT2_lT0_lPT3_i
    .private_segment_fixed_size: 0
    .sgpr_count:     28
    .sgpr_spill_count: 0
    .symbol:         _ZL36rocblas_hemvn_kernel_lower_block_sumILi64ElPKdPKPddEviT1_lS5_lT2_lT0_lPT3_i.kd
    .uniform_work_group_size: 1
    .uses_dynamic_stack: false
    .vgpr_count:     9
    .vgpr_spill_count: 0
    .wavefront_size: 64
  - .args:
      - .offset:         0
        .size:           4
        .value_kind:     by_value
      - .address_space:  global
        .offset:         8
        .size:           8
        .value_kind:     global_buffer
      - .offset:         16
        .size:           8
        .value_kind:     by_value
      - .address_space:  global
        .offset:         24
        .size:           8
        .value_kind:     global_buffer
      - .offset:         32
        .size:           8
        .value_kind:     by_value
      - .offset:         40
        .size:           4
        .value_kind:     by_value
      - .offset:         48
        .size:           8
        .value_kind:     by_value
      - .address_space:  global
        .offset:         56
        .size:           8
        .value_kind:     global_buffer
      - .offset:         64
        .size:           8
        .value_kind:     by_value
      - .offset:         72
        .size:           4
        .value_kind:     by_value
      - .offset:         80
        .size:           8
        .value_kind:     by_value
      - .address_space:  global
        .offset:         88
        .size:           8
        .value_kind:     global_buffer
      - .offset:         96
        .size:           8
        .value_kind:     by_value
      - .address_space:  global
        .offset:         104
        .size:           8
        .value_kind:     global_buffer
      - .offset:         112
        .size:           4
        .value_kind:     by_value
      - .offset:         120
        .size:           4
        .value_kind:     hidden_block_count_x
      - .offset:         124
        .size:           4
        .value_kind:     hidden_block_count_y
      - .offset:         128
        .size:           4
        .value_kind:     hidden_block_count_z
      - .offset:         132
        .size:           2
        .value_kind:     hidden_group_size_x
      - .offset:         134
        .size:           2
        .value_kind:     hidden_group_size_y
      - .offset:         136
        .size:           2
        .value_kind:     hidden_group_size_z
      - .offset:         138
        .size:           2
        .value_kind:     hidden_remainder_x
      - .offset:         140
        .size:           2
        .value_kind:     hidden_remainder_y
      - .offset:         142
        .size:           2
        .value_kind:     hidden_remainder_z
      - .offset:         160
        .size:           8
        .value_kind:     hidden_global_offset_x
      - .offset:         168
        .size:           8
        .value_kind:     hidden_global_offset_y
      - .offset:         176
        .size:           8
        .value_kind:     hidden_global_offset_z
      - .offset:         184
        .size:           2
        .value_kind:     hidden_grid_dims
    .group_segment_fixed_size: 9600
    .kernarg_segment_align: 8
    .kernarg_segment_size: 376
    .language:       OpenCL C
    .language_version:
      - 2
      - 0
    .max_flat_workgroup_size: 256
    .name:           _ZL26rocblas_hemvn_kernel_lowerILb0ELi64ELi4ELi33ELi32ELi16EiPKdPKS1_PdEviT6_lT7_lT5_lS6_lS7_lS5_lT8_i
    .private_segment_fixed_size: 0
    .sgpr_count:     50
    .sgpr_spill_count: 0
    .symbol:         _ZL26rocblas_hemvn_kernel_lowerILb0ELi64ELi4ELi33ELi32ELi16EiPKdPKS1_PdEviT6_lT7_lT5_lS6_lS7_lS5_lT8_i.kd
    .uniform_work_group_size: 1
    .uses_dynamic_stack: false
    .vgpr_count:     113
    .vgpr_spill_count: 0
    .wavefront_size: 64
  - .args:
      - .offset:         0
        .size:           4
        .value_kind:     by_value
      - .address_space:  global
        .offset:         8
        .size:           8
        .value_kind:     global_buffer
      - .offset:         16
        .size:           8
        .value_kind:     by_value
      - .address_space:  global
        .offset:         24
        .size:           8
        .value_kind:     global_buffer
      - .offset:         32
        .size:           8
        .value_kind:     by_value
      - .actual_access:  read_only
        .address_space:  global
        .offset:         40
        .size:           8
        .value_kind:     global_buffer
      - .offset:         48
        .size:           8
        .value_kind:     by_value
      - .offset:         56
        .size:           4
        .value_kind:     by_value
      - .offset:         64
        .size:           8
        .value_kind:     by_value
      - .actual_access:  read_only
        .address_space:  global
        .offset:         72
        .size:           8
        .value_kind:     global_buffer
      - .offset:         80
        .size:           4
        .value_kind:     by_value
      - .offset:         88
        .size:           4
        .value_kind:     hidden_block_count_x
      - .offset:         92
        .size:           4
        .value_kind:     hidden_block_count_y
      - .offset:         96
        .size:           4
        .value_kind:     hidden_block_count_z
      - .offset:         100
        .size:           2
        .value_kind:     hidden_group_size_x
      - .offset:         102
        .size:           2
        .value_kind:     hidden_group_size_y
      - .offset:         104
        .size:           2
        .value_kind:     hidden_group_size_z
      - .offset:         106
        .size:           2
        .value_kind:     hidden_remainder_x
      - .offset:         108
        .size:           2
        .value_kind:     hidden_remainder_y
      - .offset:         110
        .size:           2
        .value_kind:     hidden_remainder_z
      - .offset:         128
        .size:           8
        .value_kind:     hidden_global_offset_x
      - .offset:         136
        .size:           8
        .value_kind:     hidden_global_offset_y
      - .offset:         144
        .size:           8
        .value_kind:     hidden_global_offset_z
      - .offset:         152
        .size:           2
        .value_kind:     hidden_grid_dims
    .group_segment_fixed_size: 0
    .kernarg_segment_align: 8
    .kernarg_segment_size: 344
    .language:       OpenCL C
    .language_version:
      - 2
      - 0
    .max_flat_workgroup_size: 64
    .name:           _ZL36rocblas_hemvn_kernel_lower_block_sumILi64EiPKdPKPddEviT1_lS5_lT2_lT0_lPT3_i
    .private_segment_fixed_size: 0
    .sgpr_count:     28
    .sgpr_spill_count: 0
    .symbol:         _ZL36rocblas_hemvn_kernel_lower_block_sumILi64EiPKdPKPddEviT1_lS5_lT2_lT0_lPT3_i.kd
    .uniform_work_group_size: 1
    .uses_dynamic_stack: false
    .vgpr_count:     9
    .vgpr_spill_count: 0
    .wavefront_size: 64
  - .args:
      - .offset:         0
        .size:           4
        .value_kind:     by_value
      - .offset:         8
        .size:           8
        .value_kind:     by_value
      - .offset:         16
        .size:           8
        .value_kind:     by_value
      - .address_space:  global
        .offset:         24
        .size:           8
        .value_kind:     global_buffer
      - .offset:         32
        .size:           8
        .value_kind:     by_value
      - .offset:         40
        .size:           8
        .value_kind:     by_value
      - .offset:         48
        .size:           8
        .value_kind:     by_value
      - .address_space:  global
        .offset:         56
        .size:           8
        .value_kind:     global_buffer
      - .offset:         64
        .size:           8
        .value_kind:     by_value
      - .offset:         72
        .size:           8
        .value_kind:     by_value
      - .offset:         80
        .size:           8
        .value_kind:     by_value
      - .offset:         88
        .size:           8
        .value_kind:     by_value
      - .offset:         96
        .size:           8
        .value_kind:     by_value
      - .address_space:  global
        .offset:         104
        .size:           8
        .value_kind:     global_buffer
      - .offset:         112
        .size:           4
        .value_kind:     by_value
      - .offset:         120
        .size:           4
        .value_kind:     hidden_block_count_x
      - .offset:         124
        .size:           4
        .value_kind:     hidden_block_count_y
      - .offset:         128
        .size:           4
        .value_kind:     hidden_block_count_z
      - .offset:         132
        .size:           2
        .value_kind:     hidden_group_size_x
      - .offset:         134
        .size:           2
        .value_kind:     hidden_group_size_y
      - .offset:         136
        .size:           2
        .value_kind:     hidden_group_size_z
      - .offset:         138
        .size:           2
        .value_kind:     hidden_remainder_x
      - .offset:         140
        .size:           2
        .value_kind:     hidden_remainder_y
      - .offset:         142
        .size:           2
        .value_kind:     hidden_remainder_z
      - .offset:         160
        .size:           8
        .value_kind:     hidden_global_offset_x
      - .offset:         168
        .size:           8
        .value_kind:     hidden_global_offset_y
      - .offset:         176
        .size:           8
        .value_kind:     hidden_global_offset_z
      - .offset:         184
        .size:           2
        .value_kind:     hidden_grid_dims
    .group_segment_fixed_size: 9600
    .kernarg_segment_align: 8
    .kernarg_segment_size: 376
    .language:       OpenCL C
    .language_version:
      - 2
      - 0
    .max_flat_workgroup_size: 256
    .name:           _ZL26rocblas_hemvn_kernel_lowerILb0ELi64ELi4ELi33ELi32ELi16EldPKPKdPdEviT6_lT7_lT5_lS6_lS7_lS5_lT8_i
    .private_segment_fixed_size: 0
    .sgpr_count:     50
    .sgpr_spill_count: 0
    .symbol:         _ZL26rocblas_hemvn_kernel_lowerILb0ELi64ELi4ELi33ELi32ELi16EldPKPKdPdEviT6_lT7_lT5_lS6_lS7_lS5_lT8_i.kd
    .uniform_work_group_size: 1
    .uses_dynamic_stack: false
    .vgpr_count:     115
    .vgpr_spill_count: 0
    .wavefront_size: 64
  - .args:
      - .offset:         0
        .size:           4
        .value_kind:     by_value
      - .offset:         8
        .size:           8
        .value_kind:     by_value
      - .offset:         16
        .size:           8
        .value_kind:     by_value
      - .offset:         24
        .size:           8
        .value_kind:     by_value
      - .offset:         32
        .size:           8
        .value_kind:     by_value
      - .actual_access:  read_only
        .address_space:  global
        .offset:         40
        .size:           8
        .value_kind:     global_buffer
      - .offset:         48
        .size:           8
        .value_kind:     by_value
      - .offset:         56
        .size:           8
        .value_kind:     by_value
      - .offset:         64
        .size:           8
        .value_kind:     by_value
      - .actual_access:  read_only
        .address_space:  global
        .offset:         72
        .size:           8
        .value_kind:     global_buffer
      - .offset:         80
        .size:           4
        .value_kind:     by_value
      - .offset:         88
        .size:           4
        .value_kind:     hidden_block_count_x
      - .offset:         92
        .size:           4
        .value_kind:     hidden_block_count_y
      - .offset:         96
        .size:           4
        .value_kind:     hidden_block_count_z
      - .offset:         100
        .size:           2
        .value_kind:     hidden_group_size_x
      - .offset:         102
        .size:           2
        .value_kind:     hidden_group_size_y
      - .offset:         104
        .size:           2
        .value_kind:     hidden_group_size_z
      - .offset:         106
        .size:           2
        .value_kind:     hidden_remainder_x
      - .offset:         108
        .size:           2
        .value_kind:     hidden_remainder_y
      - .offset:         110
        .size:           2
        .value_kind:     hidden_remainder_z
      - .offset:         128
        .size:           8
        .value_kind:     hidden_global_offset_x
      - .offset:         136
        .size:           8
        .value_kind:     hidden_global_offset_y
      - .offset:         144
        .size:           8
        .value_kind:     hidden_global_offset_z
      - .offset:         152
        .size:           2
        .value_kind:     hidden_grid_dims
    .group_segment_fixed_size: 0
    .kernarg_segment_align: 8
    .kernarg_segment_size: 344
    .language:       OpenCL C
    .language_version:
      - 2
      - 0
    .max_flat_workgroup_size: 64
    .name:           _ZL36rocblas_hemvn_kernel_lower_block_sumILi64EldPKPddEviT1_lS3_lT2_lT0_lPT3_i
    .private_segment_fixed_size: 0
    .sgpr_count:     26
    .sgpr_spill_count: 0
    .symbol:         _ZL36rocblas_hemvn_kernel_lower_block_sumILi64EldPKPddEviT1_lS3_lT2_lT0_lPT3_i.kd
    .uniform_work_group_size: 1
    .uses_dynamic_stack: false
    .vgpr_count:     9
    .vgpr_spill_count: 0
    .wavefront_size: 64
  - .args:
      - .offset:         0
        .size:           4
        .value_kind:     by_value
      - .offset:         8
        .size:           8
        .value_kind:     by_value
      - .offset:         16
        .size:           8
        .value_kind:     by_value
      - .address_space:  global
        .offset:         24
        .size:           8
        .value_kind:     global_buffer
      - .offset:         32
        .size:           8
        .value_kind:     by_value
      - .offset:         40
        .size:           4
        .value_kind:     by_value
      - .offset:         48
        .size:           8
        .value_kind:     by_value
      - .address_space:  global
        .offset:         56
        .size:           8
        .value_kind:     global_buffer
      - .offset:         64
        .size:           8
        .value_kind:     by_value
      - .offset:         72
        .size:           4
        .value_kind:     by_value
      - .offset:         80
        .size:           8
        .value_kind:     by_value
      - .offset:         88
        .size:           8
        .value_kind:     by_value
      - .offset:         96
        .size:           8
        .value_kind:     by_value
      - .address_space:  global
        .offset:         104
        .size:           8
        .value_kind:     global_buffer
      - .offset:         112
        .size:           4
        .value_kind:     by_value
      - .offset:         120
        .size:           4
        .value_kind:     hidden_block_count_x
      - .offset:         124
        .size:           4
        .value_kind:     hidden_block_count_y
      - .offset:         128
        .size:           4
        .value_kind:     hidden_block_count_z
      - .offset:         132
        .size:           2
        .value_kind:     hidden_group_size_x
      - .offset:         134
        .size:           2
        .value_kind:     hidden_group_size_y
      - .offset:         136
        .size:           2
        .value_kind:     hidden_group_size_z
      - .offset:         138
        .size:           2
        .value_kind:     hidden_remainder_x
      - .offset:         140
        .size:           2
        .value_kind:     hidden_remainder_y
      - .offset:         142
        .size:           2
        .value_kind:     hidden_remainder_z
      - .offset:         160
        .size:           8
        .value_kind:     hidden_global_offset_x
      - .offset:         168
        .size:           8
        .value_kind:     hidden_global_offset_y
      - .offset:         176
        .size:           8
        .value_kind:     hidden_global_offset_z
      - .offset:         184
        .size:           2
        .value_kind:     hidden_grid_dims
    .group_segment_fixed_size: 9600
    .kernarg_segment_align: 8
    .kernarg_segment_size: 376
    .language:       OpenCL C
    .language_version:
      - 2
      - 0
    .max_flat_workgroup_size: 256
    .name:           _ZL26rocblas_hemvn_kernel_lowerILb0ELi64ELi4ELi33ELi32ELi16EidPKPKdPdEviT6_lT7_lT5_lS6_lS7_lS5_lT8_i
    .private_segment_fixed_size: 0
    .sgpr_count:     50
    .sgpr_spill_count: 0
    .symbol:         _ZL26rocblas_hemvn_kernel_lowerILb0ELi64ELi4ELi33ELi32ELi16EidPKPKdPdEviT6_lT7_lT5_lS6_lS7_lS5_lT8_i.kd
    .uniform_work_group_size: 1
    .uses_dynamic_stack: false
    .vgpr_count:     113
    .vgpr_spill_count: 0
    .wavefront_size: 64
  - .args:
      - .offset:         0
        .size:           4
        .value_kind:     by_value
      - .offset:         8
        .size:           8
        .value_kind:     by_value
      - .offset:         16
        .size:           8
        .value_kind:     by_value
      - .offset:         24
        .size:           8
        .value_kind:     by_value
      - .offset:         32
        .size:           8
        .value_kind:     by_value
      - .actual_access:  read_only
        .address_space:  global
        .offset:         40
        .size:           8
        .value_kind:     global_buffer
      - .offset:         48
        .size:           8
        .value_kind:     by_value
      - .offset:         56
        .size:           4
        .value_kind:     by_value
      - .offset:         64
        .size:           8
        .value_kind:     by_value
      - .actual_access:  read_only
        .address_space:  global
        .offset:         72
        .size:           8
        .value_kind:     global_buffer
      - .offset:         80
        .size:           4
        .value_kind:     by_value
      - .offset:         88
        .size:           4
        .value_kind:     hidden_block_count_x
      - .offset:         92
        .size:           4
        .value_kind:     hidden_block_count_y
      - .offset:         96
        .size:           4
        .value_kind:     hidden_block_count_z
      - .offset:         100
        .size:           2
        .value_kind:     hidden_group_size_x
      - .offset:         102
        .size:           2
        .value_kind:     hidden_group_size_y
      - .offset:         104
        .size:           2
        .value_kind:     hidden_group_size_z
      - .offset:         106
        .size:           2
        .value_kind:     hidden_remainder_x
      - .offset:         108
        .size:           2
        .value_kind:     hidden_remainder_y
      - .offset:         110
        .size:           2
        .value_kind:     hidden_remainder_z
      - .offset:         128
        .size:           8
        .value_kind:     hidden_global_offset_x
      - .offset:         136
        .size:           8
        .value_kind:     hidden_global_offset_y
      - .offset:         144
        .size:           8
        .value_kind:     hidden_global_offset_z
      - .offset:         152
        .size:           2
        .value_kind:     hidden_grid_dims
    .group_segment_fixed_size: 0
    .kernarg_segment_align: 8
    .kernarg_segment_size: 344
    .language:       OpenCL C
    .language_version:
      - 2
      - 0
    .max_flat_workgroup_size: 64
    .name:           _ZL36rocblas_hemvn_kernel_lower_block_sumILi64EidPKPddEviT1_lS3_lT2_lT0_lPT3_i
    .private_segment_fixed_size: 0
    .sgpr_count:     25
    .sgpr_spill_count: 0
    .symbol:         _ZL36rocblas_hemvn_kernel_lower_block_sumILi64EidPKPddEviT1_lS3_lT2_lT0_lPT3_i.kd
    .uniform_work_group_size: 1
    .uses_dynamic_stack: false
    .vgpr_count:     9
    .vgpr_spill_count: 0
    .wavefront_size: 64
  - .args:
      - .offset:         0
        .size:           4
        .value_kind:     by_value
      - .address_space:  global
        .offset:         8
        .size:           8
        .value_kind:     global_buffer
      - .offset:         16
        .size:           8
        .value_kind:     by_value
      - .address_space:  global
        .offset:         24
        .size:           8
        .value_kind:     global_buffer
      - .offset:         32
        .size:           8
        .value_kind:     by_value
      - .offset:         40
        .size:           8
        .value_kind:     by_value
      - .offset:         48
        .size:           8
        .value_kind:     by_value
      - .address_space:  global
        .offset:         56
        .size:           8
        .value_kind:     global_buffer
      - .offset:         64
        .size:           8
        .value_kind:     by_value
      - .offset:         72
        .size:           8
        .value_kind:     by_value
      - .offset:         80
        .size:           8
        .value_kind:     by_value
      - .address_space:  global
        .offset:         88
        .size:           8
        .value_kind:     global_buffer
      - .offset:         96
        .size:           8
        .value_kind:     by_value
      - .address_space:  global
        .offset:         104
        .size:           8
        .value_kind:     global_buffer
      - .offset:         112
        .size:           4
        .value_kind:     by_value
      - .offset:         120
        .size:           4
        .value_kind:     hidden_block_count_x
      - .offset:         124
        .size:           4
        .value_kind:     hidden_block_count_y
      - .offset:         128
        .size:           4
        .value_kind:     hidden_block_count_z
      - .offset:         132
        .size:           2
        .value_kind:     hidden_group_size_x
      - .offset:         134
        .size:           2
        .value_kind:     hidden_group_size_y
      - .offset:         136
        .size:           2
        .value_kind:     hidden_group_size_z
      - .offset:         138
        .size:           2
        .value_kind:     hidden_remainder_x
      - .offset:         140
        .size:           2
        .value_kind:     hidden_remainder_y
      - .offset:         142
        .size:           2
        .value_kind:     hidden_remainder_z
      - .offset:         160
        .size:           8
        .value_kind:     hidden_global_offset_x
      - .offset:         168
        .size:           8
        .value_kind:     hidden_global_offset_y
      - .offset:         176
        .size:           8
        .value_kind:     hidden_global_offset_z
      - .offset:         184
        .size:           2
        .value_kind:     hidden_grid_dims
    .group_segment_fixed_size: 9600
    .kernarg_segment_align: 8
    .kernarg_segment_size: 376
    .language:       OpenCL C
    .language_version:
      - 2
      - 0
    .max_flat_workgroup_size: 256
    .name:           _ZL26rocblas_hemvn_kernel_upperILb0ELi64ELi4ELi33ELi32ELi16ElPK19rocblas_complex_numIfEPKS3_PS1_EviT6_lT7_lT5_lS8_lS9_lS7_lT8_i
    .private_segment_fixed_size: 0
    .sgpr_count:     46
    .sgpr_spill_count: 0
    .symbol:         _ZL26rocblas_hemvn_kernel_upperILb0ELi64ELi4ELi33ELi32ELi16ElPK19rocblas_complex_numIfEPKS3_PS1_EviT6_lT7_lT5_lS8_lS9_lS7_lT8_i.kd
    .uniform_work_group_size: 1
    .uses_dynamic_stack: false
    .vgpr_count:     146
    .vgpr_spill_count: 0
    .wavefront_size: 64
  - .args:
      - .offset:         0
        .size:           4
        .value_kind:     by_value
      - .address_space:  global
        .offset:         8
        .size:           8
        .value_kind:     global_buffer
      - .offset:         16
        .size:           8
        .value_kind:     by_value
      - .address_space:  global
        .offset:         24
        .size:           8
        .value_kind:     global_buffer
      - .offset:         32
        .size:           8
        .value_kind:     by_value
      - .offset:         40
        .size:           4
        .value_kind:     by_value
      - .offset:         48
        .size:           8
        .value_kind:     by_value
      - .address_space:  global
        .offset:         56
        .size:           8
        .value_kind:     global_buffer
      - .offset:         64
        .size:           8
        .value_kind:     by_value
      - .offset:         72
        .size:           4
        .value_kind:     by_value
      - .offset:         80
        .size:           8
        .value_kind:     by_value
      - .address_space:  global
        .offset:         88
        .size:           8
        .value_kind:     global_buffer
      - .offset:         96
        .size:           8
        .value_kind:     by_value
      - .address_space:  global
        .offset:         104
        .size:           8
        .value_kind:     global_buffer
      - .offset:         112
        .size:           4
        .value_kind:     by_value
      - .offset:         120
        .size:           4
        .value_kind:     hidden_block_count_x
      - .offset:         124
        .size:           4
        .value_kind:     hidden_block_count_y
      - .offset:         128
        .size:           4
        .value_kind:     hidden_block_count_z
      - .offset:         132
        .size:           2
        .value_kind:     hidden_group_size_x
      - .offset:         134
        .size:           2
        .value_kind:     hidden_group_size_y
      - .offset:         136
        .size:           2
        .value_kind:     hidden_group_size_z
      - .offset:         138
        .size:           2
        .value_kind:     hidden_remainder_x
      - .offset:         140
        .size:           2
        .value_kind:     hidden_remainder_y
      - .offset:         142
        .size:           2
        .value_kind:     hidden_remainder_z
      - .offset:         160
        .size:           8
        .value_kind:     hidden_global_offset_x
      - .offset:         168
        .size:           8
        .value_kind:     hidden_global_offset_y
      - .offset:         176
        .size:           8
        .value_kind:     hidden_global_offset_z
      - .offset:         184
        .size:           2
        .value_kind:     hidden_grid_dims
    .group_segment_fixed_size: 9600
    .kernarg_segment_align: 8
    .kernarg_segment_size: 376
    .language:       OpenCL C
    .language_version:
      - 2
      - 0
    .max_flat_workgroup_size: 256
    .name:           _ZL26rocblas_hemvn_kernel_upperILb0ELi64ELi4ELi33ELi32ELi16EiPK19rocblas_complex_numIfEPKS3_PS1_EviT6_lT7_lT5_lS8_lS9_lS7_lT8_i
    .private_segment_fixed_size: 0
    .sgpr_count:     48
    .sgpr_spill_count: 0
    .symbol:         _ZL26rocblas_hemvn_kernel_upperILb0ELi64ELi4ELi33ELi32ELi16EiPK19rocblas_complex_numIfEPKS3_PS1_EviT6_lT7_lT5_lS8_lS9_lS7_lT8_i.kd
    .uniform_work_group_size: 1
    .uses_dynamic_stack: false
    .vgpr_count:     157
    .vgpr_spill_count: 0
    .wavefront_size: 64
  - .args:
      - .offset:         0
        .size:           4
        .value_kind:     by_value
      - .offset:         4
        .size:           8
        .value_kind:     by_value
      - .offset:         16
        .size:           8
        .value_kind:     by_value
      - .address_space:  global
        .offset:         24
        .size:           8
        .value_kind:     global_buffer
      - .offset:         32
        .size:           8
        .value_kind:     by_value
      - .offset:         40
        .size:           8
        .value_kind:     by_value
      - .offset:         48
        .size:           8
        .value_kind:     by_value
      - .address_space:  global
        .offset:         56
        .size:           8
        .value_kind:     global_buffer
      - .offset:         64
        .size:           8
        .value_kind:     by_value
      - .offset:         72
        .size:           8
        .value_kind:     by_value
      - .offset:         80
        .size:           8
        .value_kind:     by_value
      - .offset:         88
        .size:           8
        .value_kind:     by_value
      - .offset:         96
        .size:           8
        .value_kind:     by_value
      - .address_space:  global
        .offset:         104
        .size:           8
        .value_kind:     global_buffer
      - .offset:         112
        .size:           4
        .value_kind:     by_value
      - .offset:         120
        .size:           4
        .value_kind:     hidden_block_count_x
      - .offset:         124
        .size:           4
        .value_kind:     hidden_block_count_y
      - .offset:         128
        .size:           4
        .value_kind:     hidden_block_count_z
      - .offset:         132
        .size:           2
        .value_kind:     hidden_group_size_x
      - .offset:         134
        .size:           2
        .value_kind:     hidden_group_size_y
      - .offset:         136
        .size:           2
        .value_kind:     hidden_group_size_z
      - .offset:         138
        .size:           2
        .value_kind:     hidden_remainder_x
      - .offset:         140
        .size:           2
        .value_kind:     hidden_remainder_y
      - .offset:         142
        .size:           2
        .value_kind:     hidden_remainder_z
      - .offset:         160
        .size:           8
        .value_kind:     hidden_global_offset_x
      - .offset:         168
        .size:           8
        .value_kind:     hidden_global_offset_y
      - .offset:         176
        .size:           8
        .value_kind:     hidden_global_offset_z
      - .offset:         184
        .size:           2
        .value_kind:     hidden_grid_dims
    .group_segment_fixed_size: 9600
    .kernarg_segment_align: 8
    .kernarg_segment_size: 376
    .language:       OpenCL C
    .language_version:
      - 2
      - 0
    .max_flat_workgroup_size: 256
    .name:           _ZL26rocblas_hemvn_kernel_upperILb0ELi64ELi4ELi33ELi32ELi16El19rocblas_complex_numIfEPKPKS1_PS1_EviT6_lT7_lT5_lS8_lS9_lS7_lT8_i
    .private_segment_fixed_size: 0
    .sgpr_count:     46
    .sgpr_spill_count: 0
    .symbol:         _ZL26rocblas_hemvn_kernel_upperILb0ELi64ELi4ELi33ELi32ELi16El19rocblas_complex_numIfEPKPKS1_PS1_EviT6_lT7_lT5_lS8_lS9_lS7_lT8_i.kd
    .uniform_work_group_size: 1
    .uses_dynamic_stack: false
    .vgpr_count:     146
    .vgpr_spill_count: 0
    .wavefront_size: 64
  - .args:
      - .offset:         0
        .size:           4
        .value_kind:     by_value
      - .offset:         4
        .size:           8
        .value_kind:     by_value
      - .offset:         16
        .size:           8
        .value_kind:     by_value
      - .address_space:  global
        .offset:         24
        .size:           8
        .value_kind:     global_buffer
      - .offset:         32
        .size:           8
        .value_kind:     by_value
      - .offset:         40
        .size:           4
        .value_kind:     by_value
      - .offset:         48
        .size:           8
        .value_kind:     by_value
      - .address_space:  global
        .offset:         56
        .size:           8
        .value_kind:     global_buffer
      - .offset:         64
        .size:           8
        .value_kind:     by_value
      - .offset:         72
        .size:           4
        .value_kind:     by_value
      - .offset:         80
        .size:           8
        .value_kind:     by_value
      - .offset:         88
        .size:           8
        .value_kind:     by_value
      - .offset:         96
        .size:           8
        .value_kind:     by_value
      - .address_space:  global
        .offset:         104
        .size:           8
        .value_kind:     global_buffer
      - .offset:         112
        .size:           4
        .value_kind:     by_value
      - .offset:         120
        .size:           4
        .value_kind:     hidden_block_count_x
      - .offset:         124
        .size:           4
        .value_kind:     hidden_block_count_y
      - .offset:         128
        .size:           4
        .value_kind:     hidden_block_count_z
      - .offset:         132
        .size:           2
        .value_kind:     hidden_group_size_x
      - .offset:         134
        .size:           2
        .value_kind:     hidden_group_size_y
      - .offset:         136
        .size:           2
        .value_kind:     hidden_group_size_z
      - .offset:         138
        .size:           2
        .value_kind:     hidden_remainder_x
      - .offset:         140
        .size:           2
        .value_kind:     hidden_remainder_y
      - .offset:         142
        .size:           2
        .value_kind:     hidden_remainder_z
      - .offset:         160
        .size:           8
        .value_kind:     hidden_global_offset_x
      - .offset:         168
        .size:           8
        .value_kind:     hidden_global_offset_y
      - .offset:         176
        .size:           8
        .value_kind:     hidden_global_offset_z
      - .offset:         184
        .size:           2
        .value_kind:     hidden_grid_dims
    .group_segment_fixed_size: 9600
    .kernarg_segment_align: 8
    .kernarg_segment_size: 376
    .language:       OpenCL C
    .language_version:
      - 2
      - 0
    .max_flat_workgroup_size: 256
    .name:           _ZL26rocblas_hemvn_kernel_upperILb0ELi64ELi4ELi33ELi32ELi16Ei19rocblas_complex_numIfEPKPKS1_PS1_EviT6_lT7_lT5_lS8_lS9_lS7_lT8_i
    .private_segment_fixed_size: 0
    .sgpr_count:     48
    .sgpr_spill_count: 0
    .symbol:         _ZL26rocblas_hemvn_kernel_upperILb0ELi64ELi4ELi33ELi32ELi16Ei19rocblas_complex_numIfEPKPKS1_PS1_EviT6_lT7_lT5_lS8_lS9_lS7_lT8_i.kd
    .uniform_work_group_size: 1
    .uses_dynamic_stack: false
    .vgpr_count:     157
    .vgpr_spill_count: 0
    .wavefront_size: 64
  - .args:
      - .offset:         0
        .size:           4
        .value_kind:     by_value
      - .address_space:  global
        .offset:         8
        .size:           8
        .value_kind:     global_buffer
      - .offset:         16
        .size:           8
        .value_kind:     by_value
      - .address_space:  global
        .offset:         24
        .size:           8
        .value_kind:     global_buffer
      - .offset:         32
        .size:           8
        .value_kind:     by_value
      - .offset:         40
        .size:           8
        .value_kind:     by_value
      - .offset:         48
        .size:           8
        .value_kind:     by_value
      - .address_space:  global
        .offset:         56
        .size:           8
        .value_kind:     global_buffer
      - .offset:         64
        .size:           8
        .value_kind:     by_value
      - .offset:         72
        .size:           8
        .value_kind:     by_value
      - .offset:         80
        .size:           8
        .value_kind:     by_value
      - .address_space:  global
        .offset:         88
        .size:           8
        .value_kind:     global_buffer
      - .offset:         96
        .size:           8
        .value_kind:     by_value
      - .address_space:  global
        .offset:         104
        .size:           8
        .value_kind:     global_buffer
      - .offset:         112
        .size:           4
        .value_kind:     by_value
      - .offset:         120
        .size:           4
        .value_kind:     hidden_block_count_x
      - .offset:         124
        .size:           4
        .value_kind:     hidden_block_count_y
      - .offset:         128
        .size:           4
        .value_kind:     hidden_block_count_z
      - .offset:         132
        .size:           2
        .value_kind:     hidden_group_size_x
      - .offset:         134
        .size:           2
        .value_kind:     hidden_group_size_y
      - .offset:         136
        .size:           2
        .value_kind:     hidden_group_size_z
      - .offset:         138
        .size:           2
        .value_kind:     hidden_remainder_x
      - .offset:         140
        .size:           2
        .value_kind:     hidden_remainder_y
      - .offset:         142
        .size:           2
        .value_kind:     hidden_remainder_z
      - .offset:         160
        .size:           8
        .value_kind:     hidden_global_offset_x
      - .offset:         168
        .size:           8
        .value_kind:     hidden_global_offset_y
      - .offset:         176
        .size:           8
        .value_kind:     hidden_global_offset_z
      - .offset:         184
        .size:           2
        .value_kind:     hidden_grid_dims
    .group_segment_fixed_size: 9600
    .kernarg_segment_align: 8
    .kernarg_segment_size: 376
    .language:       OpenCL C
    .language_version:
      - 2
      - 0
    .max_flat_workgroup_size: 256
    .name:           _ZL26rocblas_hemvn_kernel_lowerILb0ELi64ELi4ELi33ELi32ELi16ElPK19rocblas_complex_numIfEPKS3_PS1_EviT6_lT7_lT5_lS8_lS9_lS7_lT8_i
    .private_segment_fixed_size: 0
    .sgpr_count:     50
    .sgpr_spill_count: 0
    .symbol:         _ZL26rocblas_hemvn_kernel_lowerILb0ELi64ELi4ELi33ELi32ELi16ElPK19rocblas_complex_numIfEPKS3_PS1_EviT6_lT7_lT5_lS8_lS9_lS7_lT8_i.kd
    .uniform_work_group_size: 1
    .uses_dynamic_stack: false
    .vgpr_count:     121
    .vgpr_spill_count: 0
    .wavefront_size: 64
  - .args:
      - .offset:         0
        .size:           4
        .value_kind:     by_value
      - .address_space:  global
        .offset:         8
        .size:           8
        .value_kind:     global_buffer
      - .offset:         16
        .size:           8
        .value_kind:     by_value
      - .address_space:  global
        .offset:         24
        .size:           8
        .value_kind:     global_buffer
      - .offset:         32
        .size:           8
        .value_kind:     by_value
      - .offset:         40
        .size:           4
        .value_kind:     by_value
      - .offset:         48
        .size:           8
        .value_kind:     by_value
      - .address_space:  global
        .offset:         56
        .size:           8
        .value_kind:     global_buffer
      - .offset:         64
        .size:           8
        .value_kind:     by_value
      - .offset:         72
        .size:           4
        .value_kind:     by_value
      - .offset:         80
        .size:           8
        .value_kind:     by_value
      - .address_space:  global
        .offset:         88
        .size:           8
        .value_kind:     global_buffer
      - .offset:         96
        .size:           8
        .value_kind:     by_value
      - .address_space:  global
        .offset:         104
        .size:           8
        .value_kind:     global_buffer
      - .offset:         112
        .size:           4
        .value_kind:     by_value
      - .offset:         120
        .size:           4
        .value_kind:     hidden_block_count_x
      - .offset:         124
        .size:           4
        .value_kind:     hidden_block_count_y
      - .offset:         128
        .size:           4
        .value_kind:     hidden_block_count_z
      - .offset:         132
        .size:           2
        .value_kind:     hidden_group_size_x
      - .offset:         134
        .size:           2
        .value_kind:     hidden_group_size_y
      - .offset:         136
        .size:           2
        .value_kind:     hidden_group_size_z
      - .offset:         138
        .size:           2
        .value_kind:     hidden_remainder_x
      - .offset:         140
        .size:           2
        .value_kind:     hidden_remainder_y
      - .offset:         142
        .size:           2
        .value_kind:     hidden_remainder_z
      - .offset:         160
        .size:           8
        .value_kind:     hidden_global_offset_x
      - .offset:         168
        .size:           8
        .value_kind:     hidden_global_offset_y
      - .offset:         176
        .size:           8
        .value_kind:     hidden_global_offset_z
      - .offset:         184
        .size:           2
        .value_kind:     hidden_grid_dims
    .group_segment_fixed_size: 9600
    .kernarg_segment_align: 8
    .kernarg_segment_size: 376
    .language:       OpenCL C
    .language_version:
      - 2
      - 0
    .max_flat_workgroup_size: 256
    .name:           _ZL26rocblas_hemvn_kernel_lowerILb0ELi64ELi4ELi33ELi32ELi16EiPK19rocblas_complex_numIfEPKS3_PS1_EviT6_lT7_lT5_lS8_lS9_lS7_lT8_i
    .private_segment_fixed_size: 0
    .sgpr_count:     50
    .sgpr_spill_count: 0
    .symbol:         _ZL26rocblas_hemvn_kernel_lowerILb0ELi64ELi4ELi33ELi32ELi16EiPK19rocblas_complex_numIfEPKS3_PS1_EviT6_lT7_lT5_lS8_lS9_lS7_lT8_i.kd
    .uniform_work_group_size: 1
    .uses_dynamic_stack: false
    .vgpr_count:     119
    .vgpr_spill_count: 0
    .wavefront_size: 64
  - .args:
      - .offset:         0
        .size:           4
        .value_kind:     by_value
      - .offset:         4
        .size:           8
        .value_kind:     by_value
      - .offset:         16
        .size:           8
        .value_kind:     by_value
      - .address_space:  global
        .offset:         24
        .size:           8
        .value_kind:     global_buffer
      - .offset:         32
        .size:           8
        .value_kind:     by_value
      - .offset:         40
        .size:           8
        .value_kind:     by_value
      - .offset:         48
        .size:           8
        .value_kind:     by_value
      - .address_space:  global
        .offset:         56
        .size:           8
        .value_kind:     global_buffer
      - .offset:         64
        .size:           8
        .value_kind:     by_value
      - .offset:         72
        .size:           8
        .value_kind:     by_value
      - .offset:         80
        .size:           8
        .value_kind:     by_value
      - .offset:         88
        .size:           8
        .value_kind:     by_value
      - .offset:         96
        .size:           8
        .value_kind:     by_value
      - .address_space:  global
        .offset:         104
        .size:           8
        .value_kind:     global_buffer
      - .offset:         112
        .size:           4
        .value_kind:     by_value
      - .offset:         120
        .size:           4
        .value_kind:     hidden_block_count_x
      - .offset:         124
        .size:           4
        .value_kind:     hidden_block_count_y
      - .offset:         128
        .size:           4
        .value_kind:     hidden_block_count_z
      - .offset:         132
        .size:           2
        .value_kind:     hidden_group_size_x
      - .offset:         134
        .size:           2
        .value_kind:     hidden_group_size_y
      - .offset:         136
        .size:           2
        .value_kind:     hidden_group_size_z
      - .offset:         138
        .size:           2
        .value_kind:     hidden_remainder_x
      - .offset:         140
        .size:           2
        .value_kind:     hidden_remainder_y
      - .offset:         142
        .size:           2
        .value_kind:     hidden_remainder_z
      - .offset:         160
        .size:           8
        .value_kind:     hidden_global_offset_x
      - .offset:         168
        .size:           8
        .value_kind:     hidden_global_offset_y
      - .offset:         176
        .size:           8
        .value_kind:     hidden_global_offset_z
      - .offset:         184
        .size:           2
        .value_kind:     hidden_grid_dims
    .group_segment_fixed_size: 9600
    .kernarg_segment_align: 8
    .kernarg_segment_size: 376
    .language:       OpenCL C
    .language_version:
      - 2
      - 0
    .max_flat_workgroup_size: 256
    .name:           _ZL26rocblas_hemvn_kernel_lowerILb0ELi64ELi4ELi33ELi32ELi16El19rocblas_complex_numIfEPKPKS1_PS1_EviT6_lT7_lT5_lS8_lS9_lS7_lT8_i
    .private_segment_fixed_size: 0
    .sgpr_count:     50
    .sgpr_spill_count: 0
    .symbol:         _ZL26rocblas_hemvn_kernel_lowerILb0ELi64ELi4ELi33ELi32ELi16El19rocblas_complex_numIfEPKPKS1_PS1_EviT6_lT7_lT5_lS8_lS9_lS7_lT8_i.kd
    .uniform_work_group_size: 1
    .uses_dynamic_stack: false
    .vgpr_count:     121
    .vgpr_spill_count: 0
    .wavefront_size: 64
  - .args:
      - .offset:         0
        .size:           4
        .value_kind:     by_value
      - .offset:         4
        .size:           8
        .value_kind:     by_value
      - .offset:         16
        .size:           8
        .value_kind:     by_value
      - .address_space:  global
        .offset:         24
        .size:           8
        .value_kind:     global_buffer
      - .offset:         32
        .size:           8
        .value_kind:     by_value
      - .offset:         40
        .size:           4
        .value_kind:     by_value
      - .offset:         48
        .size:           8
        .value_kind:     by_value
      - .address_space:  global
        .offset:         56
        .size:           8
        .value_kind:     global_buffer
      - .offset:         64
        .size:           8
        .value_kind:     by_value
      - .offset:         72
        .size:           4
        .value_kind:     by_value
      - .offset:         80
        .size:           8
        .value_kind:     by_value
      - .offset:         88
        .size:           8
        .value_kind:     by_value
      - .offset:         96
        .size:           8
        .value_kind:     by_value
      - .address_space:  global
        .offset:         104
        .size:           8
        .value_kind:     global_buffer
      - .offset:         112
        .size:           4
        .value_kind:     by_value
      - .offset:         120
        .size:           4
        .value_kind:     hidden_block_count_x
      - .offset:         124
        .size:           4
        .value_kind:     hidden_block_count_y
      - .offset:         128
        .size:           4
        .value_kind:     hidden_block_count_z
      - .offset:         132
        .size:           2
        .value_kind:     hidden_group_size_x
      - .offset:         134
        .size:           2
        .value_kind:     hidden_group_size_y
      - .offset:         136
        .size:           2
        .value_kind:     hidden_group_size_z
      - .offset:         138
        .size:           2
        .value_kind:     hidden_remainder_x
      - .offset:         140
        .size:           2
        .value_kind:     hidden_remainder_y
      - .offset:         142
        .size:           2
        .value_kind:     hidden_remainder_z
      - .offset:         160
        .size:           8
        .value_kind:     hidden_global_offset_x
      - .offset:         168
        .size:           8
        .value_kind:     hidden_global_offset_y
      - .offset:         176
        .size:           8
        .value_kind:     hidden_global_offset_z
      - .offset:         184
        .size:           2
        .value_kind:     hidden_grid_dims
    .group_segment_fixed_size: 9600
    .kernarg_segment_align: 8
    .kernarg_segment_size: 376
    .language:       OpenCL C
    .language_version:
      - 2
      - 0
    .max_flat_workgroup_size: 256
    .name:           _ZL26rocblas_hemvn_kernel_lowerILb0ELi64ELi4ELi33ELi32ELi16Ei19rocblas_complex_numIfEPKPKS1_PS1_EviT6_lT7_lT5_lS8_lS9_lS7_lT8_i
    .private_segment_fixed_size: 0
    .sgpr_count:     50
    .sgpr_spill_count: 0
    .symbol:         _ZL26rocblas_hemvn_kernel_lowerILb0ELi64ELi4ELi33ELi32ELi16Ei19rocblas_complex_numIfEPKPKS1_PS1_EviT6_lT7_lT5_lS8_lS9_lS7_lT8_i.kd
    .uniform_work_group_size: 1
    .uses_dynamic_stack: false
    .vgpr_count:     119
    .vgpr_spill_count: 0
    .wavefront_size: 64
  - .args:
      - .offset:         0
        .size:           4
        .value_kind:     by_value
      - .address_space:  global
        .offset:         8
        .size:           8
        .value_kind:     global_buffer
      - .offset:         16
        .size:           8
        .value_kind:     by_value
      - .address_space:  global
        .offset:         24
        .size:           8
        .value_kind:     global_buffer
      - .offset:         32
        .size:           8
        .value_kind:     by_value
      - .offset:         40
        .size:           8
        .value_kind:     by_value
      - .offset:         48
        .size:           8
        .value_kind:     by_value
      - .address_space:  global
        .offset:         56
        .size:           8
        .value_kind:     global_buffer
      - .offset:         64
        .size:           8
        .value_kind:     by_value
      - .offset:         72
        .size:           8
        .value_kind:     by_value
      - .offset:         80
        .size:           8
        .value_kind:     by_value
      - .address_space:  global
        .offset:         88
        .size:           8
        .value_kind:     global_buffer
      - .offset:         96
        .size:           8
        .value_kind:     by_value
      - .address_space:  global
        .offset:         104
        .size:           8
        .value_kind:     global_buffer
      - .offset:         112
        .size:           4
        .value_kind:     by_value
      - .offset:         120
        .size:           4
        .value_kind:     hidden_block_count_x
      - .offset:         124
        .size:           4
        .value_kind:     hidden_block_count_y
      - .offset:         128
        .size:           4
        .value_kind:     hidden_block_count_z
      - .offset:         132
        .size:           2
        .value_kind:     hidden_group_size_x
      - .offset:         134
        .size:           2
        .value_kind:     hidden_group_size_y
      - .offset:         136
        .size:           2
        .value_kind:     hidden_group_size_z
      - .offset:         138
        .size:           2
        .value_kind:     hidden_remainder_x
      - .offset:         140
        .size:           2
        .value_kind:     hidden_remainder_y
      - .offset:         142
        .size:           2
        .value_kind:     hidden_remainder_z
      - .offset:         160
        .size:           8
        .value_kind:     hidden_global_offset_x
      - .offset:         168
        .size:           8
        .value_kind:     hidden_global_offset_y
      - .offset:         176
        .size:           8
        .value_kind:     hidden_global_offset_z
      - .offset:         184
        .size:           2
        .value_kind:     hidden_grid_dims
    .group_segment_fixed_size: 19200
    .kernarg_segment_align: 8
    .kernarg_segment_size: 376
    .language:       OpenCL C
    .language_version:
      - 2
      - 0
    .max_flat_workgroup_size: 256
    .name:           _ZL26rocblas_hemvn_kernel_upperILb0ELi64ELi4ELi33ELi32ELi16ElPK19rocblas_complex_numIdEPKS3_PS1_EviT6_lT7_lT5_lS8_lS9_lS7_lT8_i
    .private_segment_fixed_size: 0
    .sgpr_count:     46
    .sgpr_spill_count: 0
    .symbol:         _ZL26rocblas_hemvn_kernel_upperILb0ELi64ELi4ELi33ELi32ELi16ElPK19rocblas_complex_numIdEPKS3_PS1_EviT6_lT7_lT5_lS8_lS9_lS7_lT8_i.kd
    .uniform_work_group_size: 1
    .uses_dynamic_stack: false
    .vgpr_count:     256
    .vgpr_spill_count: 0
    .wavefront_size: 64
  - .args:
      - .offset:         0
        .size:           4
        .value_kind:     by_value
      - .address_space:  global
        .offset:         8
        .size:           8
        .value_kind:     global_buffer
      - .offset:         16
        .size:           8
        .value_kind:     by_value
      - .address_space:  global
        .offset:         24
        .size:           8
        .value_kind:     global_buffer
      - .offset:         32
        .size:           8
        .value_kind:     by_value
      - .offset:         40
        .size:           4
        .value_kind:     by_value
      - .offset:         48
        .size:           8
        .value_kind:     by_value
      - .address_space:  global
        .offset:         56
        .size:           8
        .value_kind:     global_buffer
      - .offset:         64
        .size:           8
        .value_kind:     by_value
      - .offset:         72
        .size:           4
        .value_kind:     by_value
      - .offset:         80
        .size:           8
        .value_kind:     by_value
      - .address_space:  global
        .offset:         88
        .size:           8
        .value_kind:     global_buffer
      - .offset:         96
        .size:           8
        .value_kind:     by_value
      - .address_space:  global
        .offset:         104
        .size:           8
        .value_kind:     global_buffer
      - .offset:         112
        .size:           4
        .value_kind:     by_value
      - .offset:         120
        .size:           4
        .value_kind:     hidden_block_count_x
      - .offset:         124
        .size:           4
        .value_kind:     hidden_block_count_y
      - .offset:         128
        .size:           4
        .value_kind:     hidden_block_count_z
      - .offset:         132
        .size:           2
        .value_kind:     hidden_group_size_x
      - .offset:         134
        .size:           2
        .value_kind:     hidden_group_size_y
      - .offset:         136
        .size:           2
        .value_kind:     hidden_group_size_z
      - .offset:         138
        .size:           2
        .value_kind:     hidden_remainder_x
      - .offset:         140
        .size:           2
        .value_kind:     hidden_remainder_y
      - .offset:         142
        .size:           2
        .value_kind:     hidden_remainder_z
      - .offset:         160
        .size:           8
        .value_kind:     hidden_global_offset_x
      - .offset:         168
        .size:           8
        .value_kind:     hidden_global_offset_y
      - .offset:         176
        .size:           8
        .value_kind:     hidden_global_offset_z
      - .offset:         184
        .size:           2
        .value_kind:     hidden_grid_dims
    .group_segment_fixed_size: 19200
    .kernarg_segment_align: 8
    .kernarg_segment_size: 376
    .language:       OpenCL C
    .language_version:
      - 2
      - 0
    .max_flat_workgroup_size: 256
    .name:           _ZL26rocblas_hemvn_kernel_upperILb0ELi64ELi4ELi33ELi32ELi16EiPK19rocblas_complex_numIdEPKS3_PS1_EviT6_lT7_lT5_lS8_lS9_lS7_lT8_i
    .private_segment_fixed_size: 0
    .sgpr_count:     48
    .sgpr_spill_count: 0
    .symbol:         _ZL26rocblas_hemvn_kernel_upperILb0ELi64ELi4ELi33ELi32ELi16EiPK19rocblas_complex_numIdEPKS3_PS1_EviT6_lT7_lT5_lS8_lS9_lS7_lT8_i.kd
    .uniform_work_group_size: 1
    .uses_dynamic_stack: false
    .vgpr_count:     239
    .vgpr_spill_count: 0
    .wavefront_size: 64
  - .args:
      - .offset:         0
        .size:           4
        .value_kind:     by_value
      - .offset:         8
        .size:           16
        .value_kind:     by_value
      - .offset:         24
        .size:           8
        .value_kind:     by_value
      - .address_space:  global
        .offset:         32
        .size:           8
        .value_kind:     global_buffer
      - .offset:         40
        .size:           8
        .value_kind:     by_value
      - .offset:         48
        .size:           8
        .value_kind:     by_value
      - .offset:         56
        .size:           8
        .value_kind:     by_value
      - .address_space:  global
        .offset:         64
        .size:           8
        .value_kind:     global_buffer
      - .offset:         72
        .size:           8
        .value_kind:     by_value
      - .offset:         80
        .size:           8
        .value_kind:     by_value
      - .offset:         88
        .size:           8
        .value_kind:     by_value
      - .offset:         96
        .size:           16
        .value_kind:     by_value
      - .offset:         112
        .size:           8
        .value_kind:     by_value
      - .address_space:  global
        .offset:         120
        .size:           8
        .value_kind:     global_buffer
      - .offset:         128
        .size:           4
        .value_kind:     by_value
      - .offset:         136
        .size:           4
        .value_kind:     hidden_block_count_x
      - .offset:         140
        .size:           4
        .value_kind:     hidden_block_count_y
      - .offset:         144
        .size:           4
        .value_kind:     hidden_block_count_z
      - .offset:         148
        .size:           2
        .value_kind:     hidden_group_size_x
      - .offset:         150
        .size:           2
        .value_kind:     hidden_group_size_y
      - .offset:         152
        .size:           2
        .value_kind:     hidden_group_size_z
      - .offset:         154
        .size:           2
        .value_kind:     hidden_remainder_x
      - .offset:         156
        .size:           2
        .value_kind:     hidden_remainder_y
      - .offset:         158
        .size:           2
        .value_kind:     hidden_remainder_z
      - .offset:         176
        .size:           8
        .value_kind:     hidden_global_offset_x
      - .offset:         184
        .size:           8
        .value_kind:     hidden_global_offset_y
      - .offset:         192
        .size:           8
        .value_kind:     hidden_global_offset_z
      - .offset:         200
        .size:           2
        .value_kind:     hidden_grid_dims
    .group_segment_fixed_size: 19200
    .kernarg_segment_align: 8
    .kernarg_segment_size: 392
    .language:       OpenCL C
    .language_version:
      - 2
      - 0
    .max_flat_workgroup_size: 256
    .name:           _ZL26rocblas_hemvn_kernel_upperILb0ELi64ELi4ELi33ELi32ELi16El19rocblas_complex_numIdEPKPKS1_PS1_EviT6_lT7_lT5_lS8_lS9_lS7_lT8_i
    .private_segment_fixed_size: 0
    .sgpr_count:     46
    .sgpr_spill_count: 0
    .symbol:         _ZL26rocblas_hemvn_kernel_upperILb0ELi64ELi4ELi33ELi32ELi16El19rocblas_complex_numIdEPKPKS1_PS1_EviT6_lT7_lT5_lS8_lS9_lS7_lT8_i.kd
    .uniform_work_group_size: 1
    .uses_dynamic_stack: false
    .vgpr_count:     256
    .vgpr_spill_count: 0
    .wavefront_size: 64
  - .args:
      - .offset:         0
        .size:           4
        .value_kind:     by_value
      - .offset:         8
        .size:           16
        .value_kind:     by_value
      - .offset:         24
        .size:           8
        .value_kind:     by_value
      - .address_space:  global
        .offset:         32
        .size:           8
        .value_kind:     global_buffer
      - .offset:         40
        .size:           8
        .value_kind:     by_value
      - .offset:         48
        .size:           4
        .value_kind:     by_value
      - .offset:         56
        .size:           8
        .value_kind:     by_value
      - .address_space:  global
        .offset:         64
        .size:           8
        .value_kind:     global_buffer
      - .offset:         72
        .size:           8
        .value_kind:     by_value
      - .offset:         80
        .size:           4
        .value_kind:     by_value
      - .offset:         88
        .size:           8
        .value_kind:     by_value
      - .offset:         96
        .size:           16
        .value_kind:     by_value
      - .offset:         112
        .size:           8
        .value_kind:     by_value
      - .address_space:  global
        .offset:         120
        .size:           8
        .value_kind:     global_buffer
      - .offset:         128
        .size:           4
        .value_kind:     by_value
      - .offset:         136
        .size:           4
        .value_kind:     hidden_block_count_x
      - .offset:         140
        .size:           4
        .value_kind:     hidden_block_count_y
      - .offset:         144
        .size:           4
        .value_kind:     hidden_block_count_z
      - .offset:         148
        .size:           2
        .value_kind:     hidden_group_size_x
      - .offset:         150
        .size:           2
        .value_kind:     hidden_group_size_y
      - .offset:         152
        .size:           2
        .value_kind:     hidden_group_size_z
      - .offset:         154
        .size:           2
        .value_kind:     hidden_remainder_x
      - .offset:         156
        .size:           2
        .value_kind:     hidden_remainder_y
      - .offset:         158
        .size:           2
        .value_kind:     hidden_remainder_z
      - .offset:         176
        .size:           8
        .value_kind:     hidden_global_offset_x
      - .offset:         184
        .size:           8
        .value_kind:     hidden_global_offset_y
      - .offset:         192
        .size:           8
        .value_kind:     hidden_global_offset_z
      - .offset:         200
        .size:           2
        .value_kind:     hidden_grid_dims
    .group_segment_fixed_size: 19200
    .kernarg_segment_align: 8
    .kernarg_segment_size: 392
    .language:       OpenCL C
    .language_version:
      - 2
      - 0
    .max_flat_workgroup_size: 256
    .name:           _ZL26rocblas_hemvn_kernel_upperILb0ELi64ELi4ELi33ELi32ELi16Ei19rocblas_complex_numIdEPKPKS1_PS1_EviT6_lT7_lT5_lS8_lS9_lS7_lT8_i
    .private_segment_fixed_size: 0
    .sgpr_count:     48
    .sgpr_spill_count: 0
    .symbol:         _ZL26rocblas_hemvn_kernel_upperILb0ELi64ELi4ELi33ELi32ELi16Ei19rocblas_complex_numIdEPKPKS1_PS1_EviT6_lT7_lT5_lS8_lS9_lS7_lT8_i.kd
    .uniform_work_group_size: 1
    .uses_dynamic_stack: false
    .vgpr_count:     239
    .vgpr_spill_count: 0
    .wavefront_size: 64
  - .args:
      - .offset:         0
        .size:           4
        .value_kind:     by_value
      - .address_space:  global
        .offset:         8
        .size:           8
        .value_kind:     global_buffer
      - .offset:         16
        .size:           8
        .value_kind:     by_value
      - .address_space:  global
        .offset:         24
        .size:           8
        .value_kind:     global_buffer
      - .offset:         32
        .size:           8
        .value_kind:     by_value
      - .offset:         40
        .size:           8
        .value_kind:     by_value
      - .offset:         48
        .size:           8
        .value_kind:     by_value
      - .address_space:  global
        .offset:         56
        .size:           8
        .value_kind:     global_buffer
      - .offset:         64
        .size:           8
        .value_kind:     by_value
      - .offset:         72
        .size:           8
        .value_kind:     by_value
      - .offset:         80
        .size:           8
        .value_kind:     by_value
      - .address_space:  global
        .offset:         88
        .size:           8
        .value_kind:     global_buffer
      - .offset:         96
        .size:           8
        .value_kind:     by_value
      - .address_space:  global
        .offset:         104
        .size:           8
        .value_kind:     global_buffer
      - .offset:         112
        .size:           4
        .value_kind:     by_value
      - .offset:         120
        .size:           4
        .value_kind:     hidden_block_count_x
      - .offset:         124
        .size:           4
        .value_kind:     hidden_block_count_y
      - .offset:         128
        .size:           4
        .value_kind:     hidden_block_count_z
      - .offset:         132
        .size:           2
        .value_kind:     hidden_group_size_x
      - .offset:         134
        .size:           2
        .value_kind:     hidden_group_size_y
      - .offset:         136
        .size:           2
        .value_kind:     hidden_group_size_z
      - .offset:         138
        .size:           2
        .value_kind:     hidden_remainder_x
      - .offset:         140
        .size:           2
        .value_kind:     hidden_remainder_y
      - .offset:         142
        .size:           2
        .value_kind:     hidden_remainder_z
      - .offset:         160
        .size:           8
        .value_kind:     hidden_global_offset_x
      - .offset:         168
        .size:           8
        .value_kind:     hidden_global_offset_y
      - .offset:         176
        .size:           8
        .value_kind:     hidden_global_offset_z
      - .offset:         184
        .size:           2
        .value_kind:     hidden_grid_dims
    .group_segment_fixed_size: 19200
    .kernarg_segment_align: 8
    .kernarg_segment_size: 376
    .language:       OpenCL C
    .language_version:
      - 2
      - 0
    .max_flat_workgroup_size: 256
    .name:           _ZL26rocblas_hemvn_kernel_lowerILb0ELi64ELi4ELi33ELi32ELi16ElPK19rocblas_complex_numIdEPKS3_PS1_EviT6_lT7_lT5_lS8_lS9_lS7_lT8_i
    .private_segment_fixed_size: 0
    .sgpr_count:     48
    .sgpr_spill_count: 0
    .symbol:         _ZL26rocblas_hemvn_kernel_lowerILb0ELi64ELi4ELi33ELi32ELi16ElPK19rocblas_complex_numIdEPKS3_PS1_EviT6_lT7_lT5_lS8_lS9_lS7_lT8_i.kd
    .uniform_work_group_size: 1
    .uses_dynamic_stack: false
    .vgpr_count:     215
    .vgpr_spill_count: 0
    .wavefront_size: 64
  - .args:
      - .offset:         0
        .size:           4
        .value_kind:     by_value
      - .address_space:  global
        .offset:         8
        .size:           8
        .value_kind:     global_buffer
      - .offset:         16
        .size:           8
        .value_kind:     by_value
      - .address_space:  global
        .offset:         24
        .size:           8
        .value_kind:     global_buffer
      - .offset:         32
        .size:           8
        .value_kind:     by_value
      - .offset:         40
        .size:           4
        .value_kind:     by_value
      - .offset:         48
        .size:           8
        .value_kind:     by_value
      - .address_space:  global
        .offset:         56
        .size:           8
        .value_kind:     global_buffer
      - .offset:         64
        .size:           8
        .value_kind:     by_value
      - .offset:         72
        .size:           4
        .value_kind:     by_value
      - .offset:         80
        .size:           8
        .value_kind:     by_value
      - .address_space:  global
        .offset:         88
        .size:           8
        .value_kind:     global_buffer
      - .offset:         96
        .size:           8
        .value_kind:     by_value
      - .address_space:  global
        .offset:         104
        .size:           8
        .value_kind:     global_buffer
      - .offset:         112
        .size:           4
        .value_kind:     by_value
      - .offset:         120
        .size:           4
        .value_kind:     hidden_block_count_x
      - .offset:         124
        .size:           4
        .value_kind:     hidden_block_count_y
      - .offset:         128
        .size:           4
        .value_kind:     hidden_block_count_z
      - .offset:         132
        .size:           2
        .value_kind:     hidden_group_size_x
      - .offset:         134
        .size:           2
        .value_kind:     hidden_group_size_y
      - .offset:         136
        .size:           2
        .value_kind:     hidden_group_size_z
      - .offset:         138
        .size:           2
        .value_kind:     hidden_remainder_x
      - .offset:         140
        .size:           2
        .value_kind:     hidden_remainder_y
      - .offset:         142
        .size:           2
        .value_kind:     hidden_remainder_z
      - .offset:         160
        .size:           8
        .value_kind:     hidden_global_offset_x
      - .offset:         168
        .size:           8
        .value_kind:     hidden_global_offset_y
      - .offset:         176
        .size:           8
        .value_kind:     hidden_global_offset_z
      - .offset:         184
        .size:           2
        .value_kind:     hidden_grid_dims
    .group_segment_fixed_size: 19200
    .kernarg_segment_align: 8
    .kernarg_segment_size: 376
    .language:       OpenCL C
    .language_version:
      - 2
      - 0
    .max_flat_workgroup_size: 256
    .name:           _ZL26rocblas_hemvn_kernel_lowerILb0ELi64ELi4ELi33ELi32ELi16EiPK19rocblas_complex_numIdEPKS3_PS1_EviT6_lT7_lT5_lS8_lS9_lS7_lT8_i
    .private_segment_fixed_size: 0
    .sgpr_count:     50
    .sgpr_spill_count: 0
    .symbol:         _ZL26rocblas_hemvn_kernel_lowerILb0ELi64ELi4ELi33ELi32ELi16EiPK19rocblas_complex_numIdEPKS3_PS1_EviT6_lT7_lT5_lS8_lS9_lS7_lT8_i.kd
    .uniform_work_group_size: 1
    .uses_dynamic_stack: false
    .vgpr_count:     213
    .vgpr_spill_count: 0
    .wavefront_size: 64
  - .args:
      - .offset:         0
        .size:           4
        .value_kind:     by_value
      - .offset:         8
        .size:           16
        .value_kind:     by_value
      - .offset:         24
        .size:           8
        .value_kind:     by_value
      - .address_space:  global
        .offset:         32
        .size:           8
        .value_kind:     global_buffer
      - .offset:         40
        .size:           8
        .value_kind:     by_value
      - .offset:         48
        .size:           8
        .value_kind:     by_value
      - .offset:         56
        .size:           8
        .value_kind:     by_value
      - .address_space:  global
        .offset:         64
        .size:           8
        .value_kind:     global_buffer
      - .offset:         72
        .size:           8
        .value_kind:     by_value
      - .offset:         80
        .size:           8
        .value_kind:     by_value
      - .offset:         88
        .size:           8
        .value_kind:     by_value
      - .offset:         96
        .size:           16
        .value_kind:     by_value
      - .offset:         112
        .size:           8
        .value_kind:     by_value
      - .address_space:  global
        .offset:         120
        .size:           8
        .value_kind:     global_buffer
      - .offset:         128
        .size:           4
        .value_kind:     by_value
      - .offset:         136
        .size:           4
        .value_kind:     hidden_block_count_x
      - .offset:         140
        .size:           4
        .value_kind:     hidden_block_count_y
      - .offset:         144
        .size:           4
        .value_kind:     hidden_block_count_z
      - .offset:         148
        .size:           2
        .value_kind:     hidden_group_size_x
      - .offset:         150
        .size:           2
        .value_kind:     hidden_group_size_y
      - .offset:         152
        .size:           2
        .value_kind:     hidden_group_size_z
      - .offset:         154
        .size:           2
        .value_kind:     hidden_remainder_x
      - .offset:         156
        .size:           2
        .value_kind:     hidden_remainder_y
      - .offset:         158
        .size:           2
        .value_kind:     hidden_remainder_z
      - .offset:         176
        .size:           8
        .value_kind:     hidden_global_offset_x
      - .offset:         184
        .size:           8
        .value_kind:     hidden_global_offset_y
      - .offset:         192
        .size:           8
        .value_kind:     hidden_global_offset_z
      - .offset:         200
        .size:           2
        .value_kind:     hidden_grid_dims
    .group_segment_fixed_size: 19200
    .kernarg_segment_align: 8
    .kernarg_segment_size: 392
    .language:       OpenCL C
    .language_version:
      - 2
      - 0
    .max_flat_workgroup_size: 256
    .name:           _ZL26rocblas_hemvn_kernel_lowerILb0ELi64ELi4ELi33ELi32ELi16El19rocblas_complex_numIdEPKPKS1_PS1_EviT6_lT7_lT5_lS8_lS9_lS7_lT8_i
    .private_segment_fixed_size: 0
    .sgpr_count:     48
    .sgpr_spill_count: 0
    .symbol:         _ZL26rocblas_hemvn_kernel_lowerILb0ELi64ELi4ELi33ELi32ELi16El19rocblas_complex_numIdEPKPKS1_PS1_EviT6_lT7_lT5_lS8_lS9_lS7_lT8_i.kd
    .uniform_work_group_size: 1
    .uses_dynamic_stack: false
    .vgpr_count:     215
    .vgpr_spill_count: 0
    .wavefront_size: 64
  - .args:
      - .offset:         0
        .size:           4
        .value_kind:     by_value
      - .offset:         8
        .size:           16
        .value_kind:     by_value
      - .offset:         24
        .size:           8
        .value_kind:     by_value
      - .address_space:  global
        .offset:         32
        .size:           8
        .value_kind:     global_buffer
      - .offset:         40
        .size:           8
        .value_kind:     by_value
      - .offset:         48
        .size:           4
        .value_kind:     by_value
      - .offset:         56
        .size:           8
        .value_kind:     by_value
      - .address_space:  global
        .offset:         64
        .size:           8
        .value_kind:     global_buffer
      - .offset:         72
        .size:           8
        .value_kind:     by_value
      - .offset:         80
        .size:           4
        .value_kind:     by_value
      - .offset:         88
        .size:           8
        .value_kind:     by_value
      - .offset:         96
        .size:           16
        .value_kind:     by_value
      - .offset:         112
        .size:           8
        .value_kind:     by_value
      - .address_space:  global
        .offset:         120
        .size:           8
        .value_kind:     global_buffer
      - .offset:         128
        .size:           4
        .value_kind:     by_value
      - .offset:         136
        .size:           4
        .value_kind:     hidden_block_count_x
      - .offset:         140
        .size:           4
        .value_kind:     hidden_block_count_y
      - .offset:         144
        .size:           4
        .value_kind:     hidden_block_count_z
      - .offset:         148
        .size:           2
        .value_kind:     hidden_group_size_x
      - .offset:         150
        .size:           2
        .value_kind:     hidden_group_size_y
      - .offset:         152
        .size:           2
        .value_kind:     hidden_group_size_z
      - .offset:         154
        .size:           2
        .value_kind:     hidden_remainder_x
      - .offset:         156
        .size:           2
        .value_kind:     hidden_remainder_y
      - .offset:         158
        .size:           2
        .value_kind:     hidden_remainder_z
      - .offset:         176
        .size:           8
        .value_kind:     hidden_global_offset_x
      - .offset:         184
        .size:           8
        .value_kind:     hidden_global_offset_y
      - .offset:         192
        .size:           8
        .value_kind:     hidden_global_offset_z
      - .offset:         200
        .size:           2
        .value_kind:     hidden_grid_dims
    .group_segment_fixed_size: 19200
    .kernarg_segment_align: 8
    .kernarg_segment_size: 392
    .language:       OpenCL C
    .language_version:
      - 2
      - 0
    .max_flat_workgroup_size: 256
    .name:           _ZL26rocblas_hemvn_kernel_lowerILb0ELi64ELi4ELi33ELi32ELi16Ei19rocblas_complex_numIdEPKPKS1_PS1_EviT6_lT7_lT5_lS8_lS9_lS7_lT8_i
    .private_segment_fixed_size: 0
    .sgpr_count:     50
    .sgpr_spill_count: 0
    .symbol:         _ZL26rocblas_hemvn_kernel_lowerILb0ELi64ELi4ELi33ELi32ELi16Ei19rocblas_complex_numIdEPKPKS1_PS1_EviT6_lT7_lT5_lS8_lS9_lS7_lT8_i.kd
    .uniform_work_group_size: 1
    .uses_dynamic_stack: false
    .vgpr_count:     213
    .vgpr_spill_count: 0
    .wavefront_size: 64
amdhsa.target:   amdgcn-amd-amdhsa--gfx906
amdhsa.version:
  - 1
  - 2
...

	.end_amdgpu_metadata
